;; amdgpu-corpus repo=vllm-project/vllm kind=compiled arch=gfx90a opt=O3
	.text
	.amdgcn_target "amdgcn-amd-amdhsa--gfx90a"
	.amdhsa_code_object_version 6
	.section	.text._ZN12tensorrt_llm7kernels21fusedQKNormRopeKernelIN3c104HalfEfLi64ELb1EEEvPviiifPKvS6_S6_PKlii,"axG",@progbits,_ZN12tensorrt_llm7kernels21fusedQKNormRopeKernelIN3c104HalfEfLi64ELb1EEEvPviiifPKvS6_S6_PKlii,comdat
	.protected	_ZN12tensorrt_llm7kernels21fusedQKNormRopeKernelIN3c104HalfEfLi64ELb1EEEvPviiifPKvS6_S6_PKlii ; -- Begin function _ZN12tensorrt_llm7kernels21fusedQKNormRopeKernelIN3c104HalfEfLi64ELb1EEEvPviiifPKvS6_S6_PKlii
	.globl	_ZN12tensorrt_llm7kernels21fusedQKNormRopeKernelIN3c104HalfEfLi64ELb1EEEvPviiifPKvS6_S6_PKlii
	.p2align	8
	.type	_ZN12tensorrt_llm7kernels21fusedQKNormRopeKernelIN3c104HalfEfLi64ELb1EEEvPviiifPKvS6_S6_PKlii,@function
_ZN12tensorrt_llm7kernels21fusedQKNormRopeKernelIN3c104HalfEfLi64ELb1EEEvPviiifPKvS6_S6_PKlii: ; @_ZN12tensorrt_llm7kernels21fusedQKNormRopeKernelIN3c104HalfEfLi64ELb1EEEvPviiifPKvS6_S6_PKlii
; %bb.0:
	s_load_dwordx4 s[8:11], s[4:5], 0x8
	s_load_dwordx2 s[12:13], s[4:5], 0x38
	s_load_dword s1, s[4:5], 0x4c
	v_lshrrev_b32_e32 v2, 5, v0
	s_waitcnt lgkmcnt(0)
	s_add_i32 s0, s9, s8
	s_abs_i32 s2, s0
	v_cvt_f32_u32_e32 v1, s2
	s_bfe_u32 s1, s1, 0xb0005
	s_mul_i32 s6, s6, s1
	s_sub_i32 s1, 0, s2
	v_rcp_iflag_f32_e32 v3, v1
	v_add_u32_e32 v1, s6, v2
	v_sub_u32_e32 v4, 0, v1
	v_max_i32_e32 v4, v1, v4
	v_mul_f32_e32 v3, 0x4f7ffffe, v3
	v_cvt_u32_f32_e32 v3, v3
	v_xor_b32_e32 v2, s0, v1
	v_ashrrev_i32_e32 v2, 31, v2
	v_mul_lo_u32 v5, s1, v3
	v_mul_hi_u32 v5, v3, v5
	v_add_u32_e32 v3, v3, v5
	v_mul_hi_u32 v3, v4, v3
	v_mul_lo_u32 v5, v3, s2
	v_sub_u32_e32 v4, v4, v5
	v_add_u32_e32 v5, 1, v3
	v_cmp_le_u32_e32 vcc, s2, v4
	v_cndmask_b32_e32 v3, v3, v5, vcc
	v_subrev_u32_e32 v5, s2, v4
	v_cndmask_b32_e32 v4, v4, v5, vcc
	v_add_u32_e32 v5, 1, v3
	v_cmp_le_u32_e32 vcc, s2, v4
	v_cndmask_b32_e32 v3, v3, v5, vcc
	v_xor_b32_e32 v3, v3, v2
	v_sub_u32_e32 v2, v3, v2
	v_cmp_gt_i32_e32 vcc, s12, v2
	s_and_saveexec_b64 s[2:3], vcc
	s_cbranch_execz .LBB0_4
; %bb.1:
	v_and_b32_e32 v3, 31, v0
	v_mul_lo_u32 v0, v2, s0
	v_sub_u32_e32 v0, v1, v0
	v_mov_b32_e32 v1, s8
	v_cmp_gt_i32_e32 vcc, s8, v0
	v_cndmask_b32_e64 v1, v1, 0, vcc
	s_add_i32 s0, s0, s10
	s_load_dwordx2 s[2:3], s[4:5], 0x0
	v_sub_u32_e32 v0, v0, v1
	v_mul_lo_u32 v4, v2, s0
	v_add3_u32 v0, v4, v1, v0
	v_lshlrev_b32_e32 v1, 1, v3
	v_lshl_or_b32 v0, v0, 6, v1
	v_ashrrev_i32_e32 v1, 31, v0
	v_lshlrev_b64 v[0:1], 1, v[0:1]
	s_waitcnt lgkmcnt(0)
	v_mov_b32_e32 v4, s3
	v_add_co_u32_e64 v0, s[0:1], s2, v0
	v_addc_co_u32_e64 v1, s[0:1], v4, v1, s[0:1]
	global_load_dword v7, v[0:1], off
	s_load_dwordx8 s[0:7], s[4:5], 0x18
	v_lshlrev_b32_e32 v6, 2, v3
	s_waitcnt lgkmcnt(0)
	v_mov_b32_e32 v4, s3
	v_mov_b32_e32 v5, s1
	;; [unrolled: 1-line block ×4, first 2 shown]
	v_cndmask_b32_e32 v5, v4, v5, vcc
	v_cndmask_b32_e32 v4, v8, v9, vcc
	v_add_co_u32_e32 v4, vcc, v4, v6
	v_addc_co_u32_e32 v5, vcc, 0, v5, vcc
	global_load_dword v10, v[4:5], off
	v_mbcnt_lo_u32_b32 v4, -1, 0
	v_mbcnt_hi_u32_b32 v11, -1, v4
	v_and_b32_e32 v4, 0x60, v11
	v_add_u32_e32 v12, 32, v4
	v_xor_b32_e32 v8, 16, v11
	v_cmp_lt_i32_e32 vcc, v8, v12
	s_mov_b32 s0, 0x800000
	s_lshr_b32 s2, s13, 31
	s_add_i32 s2, s13, s2
	s_mov_b32 s1, 0
	s_waitcnt vmcnt(1)
	v_cvt_f32_f16_e32 v4, v7
	v_cvt_f32_f16_sdwa v5, v7 dst_sel:DWORD dst_unused:UNUSED_PAD src0_sel:WORD_1
	v_cndmask_b32_e32 v7, v11, v8, vcc
	v_lshlrev_b32_e32 v7, 2, v7
	v_pk_mul_f32 v[8:9], v[4:5], v[4:5]
	v_add_f32_e32 v8, v9, v8
	ds_bpermute_b32 v7, v7, v8
	v_xor_b32_e32 v9, 8, v11
	v_cmp_lt_i32_e32 vcc, v9, v12
	v_cndmask_b32_e32 v9, v11, v9, vcc
	v_lshlrev_b32_e32 v9, 2, v9
	s_waitcnt lgkmcnt(0)
	v_add_f32_e32 v7, v8, v7
	ds_bpermute_b32 v8, v9, v7
	v_xor_b32_e32 v9, 4, v11
	v_cmp_lt_i32_e32 vcc, v9, v12
	v_cndmask_b32_e32 v9, v11, v9, vcc
	v_lshlrev_b32_e32 v9, 2, v9
	s_waitcnt lgkmcnt(0)
	;; [unrolled: 7-line block ×4, first 2 shown]
	v_add_f32_e32 v7, v7, v8
	ds_bpermute_b32 v8, v9, v7
	v_mov_b32_e32 v9, s11
	s_waitcnt lgkmcnt(0)
	v_add_f32_e32 v7, v7, v8
	v_fmac_f32_e32 v9, 0x3c800000, v7
	v_mul_f32_e32 v7, 0x4b800000, v9
	v_cmp_gt_f32_e32 vcc, s0, v9
	v_cndmask_b32_e32 v7, v9, v7, vcc
	v_rsq_f32_e32 v7, v7
	s_waitcnt vmcnt(0)
	v_cvt_f32_f16_e32 v8, v10
	v_cvt_f32_f16_sdwa v9, v10 dst_sel:DWORD dst_unused:UNUSED_PAD src0_sel:WORD_1
	s_ashr_i32 s0, s2, 1
	v_mul_f32_e32 v10, 0x45800000, v7
	v_cndmask_b32_e32 v10, v7, v10, vcc
	v_pk_mul_f32 v[8:9], v[10:11], v[8:9] op_sel_hi:[0,1]
	v_pk_mul_f32 v[4:5], v[8:9], v[4:5]
	v_cmp_gt_i32_e32 vcc, s0, v3
	s_and_saveexec_b64 s[2:3], vcc
	s_cbranch_execz .LBB0_3
; %bb.2:
	v_ashrrev_i32_e32 v3, 31, v2
	v_lshlrev_b64 v[2:3], 3, v[2:3]
	v_mov_b32_e32 v7, s7
	v_add_co_u32_e32 v2, vcc, s6, v2
	v_addc_co_u32_e32 v3, vcc, v7, v3, vcc
	global_load_dwordx2 v[2:3], v[2:3], off
	s_ashr_i32 s6, s13, 31
	v_mov_b32_e32 v7, s5
	s_lshl_b64 s[0:1], s[0:1], 2
	v_mov_b32_e32 v8, s1
	s_waitcnt vmcnt(0)
	v_mul_lo_u32 v9, v3, s13
	v_mul_lo_u32 v10, v2, s6
	v_mad_u64_u32 v[2:3], s[6:7], v2, s13, 0
	v_add3_u32 v3, v3, v10, v9
	v_lshlrev_b64 v[2:3], 2, v[2:3]
	v_add_co_u32_e32 v2, vcc, s4, v2
	v_addc_co_u32_e32 v3, vcc, v7, v3, vcc
	v_add_co_u32_e32 v2, vcc, v2, v6
	v_addc_co_u32_e32 v3, vcc, 0, v3, vcc
	;; [unrolled: 2-line block ×3, first 2 shown]
	global_load_dword v8, v[6:7], off
	global_load_dword v9, v[2:3], off
	s_waitcnt vmcnt(1)
	v_mul_f32_e32 v6, v5, v8
	s_waitcnt vmcnt(0)
	v_pk_mul_f32 v[2:3], v[4:5], v[8:9]
	v_mov_b32_e32 v3, v2
	v_pk_fma_f32 v[2:3], v[4:5], v[8:9], v[2:3]
	v_fma_f32 v6, v4, v9, -v6
	v_mov_b32_e32 v7, v3
	v_pk_mov_b32 v[4:5], v[6:7], v[6:7] op_sel:[0,1]
.LBB0_3:
	s_or_b64 exec, exec, s[2:3]
	v_cvt_f16_f32_e32 v2, v4
	v_cvt_f16_f32_e32 v3, v5
	v_pack_b32_f16 v2, v2, v3
	global_store_dword v[0:1], v2, off
.LBB0_4:
	s_endpgm
	.section	.rodata,"a",@progbits
	.p2align	6, 0x0
	.amdhsa_kernel _ZN12tensorrt_llm7kernels21fusedQKNormRopeKernelIN3c104HalfEfLi64ELb1EEEvPviiifPKvS6_S6_PKlii
		.amdhsa_group_segment_fixed_size 0
		.amdhsa_private_segment_fixed_size 0
		.amdhsa_kernarg_size 320
		.amdhsa_user_sgpr_count 6
		.amdhsa_user_sgpr_private_segment_buffer 1
		.amdhsa_user_sgpr_dispatch_ptr 0
		.amdhsa_user_sgpr_queue_ptr 0
		.amdhsa_user_sgpr_kernarg_segment_ptr 1
		.amdhsa_user_sgpr_dispatch_id 0
		.amdhsa_user_sgpr_flat_scratch_init 0
		.amdhsa_user_sgpr_kernarg_preload_length 0
		.amdhsa_user_sgpr_kernarg_preload_offset 0
		.amdhsa_user_sgpr_private_segment_size 0
		.amdhsa_uses_dynamic_stack 0
		.amdhsa_system_sgpr_private_segment_wavefront_offset 0
		.amdhsa_system_sgpr_workgroup_id_x 1
		.amdhsa_system_sgpr_workgroup_id_y 0
		.amdhsa_system_sgpr_workgroup_id_z 0
		.amdhsa_system_sgpr_workgroup_info 0
		.amdhsa_system_vgpr_workitem_id 0
		.amdhsa_next_free_vgpr 13
		.amdhsa_next_free_sgpr 14
		.amdhsa_accum_offset 16
		.amdhsa_reserve_vcc 1
		.amdhsa_reserve_flat_scratch 0
		.amdhsa_float_round_mode_32 0
		.amdhsa_float_round_mode_16_64 0
		.amdhsa_float_denorm_mode_32 3
		.amdhsa_float_denorm_mode_16_64 3
		.amdhsa_dx10_clamp 1
		.amdhsa_ieee_mode 1
		.amdhsa_fp16_overflow 0
		.amdhsa_tg_split 0
		.amdhsa_exception_fp_ieee_invalid_op 0
		.amdhsa_exception_fp_denorm_src 0
		.amdhsa_exception_fp_ieee_div_zero 0
		.amdhsa_exception_fp_ieee_overflow 0
		.amdhsa_exception_fp_ieee_underflow 0
		.amdhsa_exception_fp_ieee_inexact 0
		.amdhsa_exception_int_div_zero 0
	.end_amdhsa_kernel
	.section	.text._ZN12tensorrt_llm7kernels21fusedQKNormRopeKernelIN3c104HalfEfLi64ELb1EEEvPviiifPKvS6_S6_PKlii,"axG",@progbits,_ZN12tensorrt_llm7kernels21fusedQKNormRopeKernelIN3c104HalfEfLi64ELb1EEEvPviiifPKvS6_S6_PKlii,comdat
.Lfunc_end0:
	.size	_ZN12tensorrt_llm7kernels21fusedQKNormRopeKernelIN3c104HalfEfLi64ELb1EEEvPviiifPKvS6_S6_PKlii, .Lfunc_end0-_ZN12tensorrt_llm7kernels21fusedQKNormRopeKernelIN3c104HalfEfLi64ELb1EEEvPviiifPKvS6_S6_PKlii
                                        ; -- End function
	.section	.AMDGPU.csdata,"",@progbits
; Kernel info:
; codeLenInByte = 908
; NumSgprs: 18
; NumVgprs: 13
; NumAgprs: 0
; TotalNumVgprs: 13
; ScratchSize: 0
; MemoryBound: 0
; FloatMode: 240
; IeeeMode: 1
; LDSByteSize: 0 bytes/workgroup (compile time only)
; SGPRBlocks: 2
; VGPRBlocks: 1
; NumSGPRsForWavesPerEU: 18
; NumVGPRsForWavesPerEU: 13
; AccumOffset: 16
; Occupancy: 8
; WaveLimiterHint : 1
; COMPUTE_PGM_RSRC2:SCRATCH_EN: 0
; COMPUTE_PGM_RSRC2:USER_SGPR: 6
; COMPUTE_PGM_RSRC2:TRAP_HANDLER: 0
; COMPUTE_PGM_RSRC2:TGID_X_EN: 1
; COMPUTE_PGM_RSRC2:TGID_Y_EN: 0
; COMPUTE_PGM_RSRC2:TGID_Z_EN: 0
; COMPUTE_PGM_RSRC2:TIDIG_COMP_CNT: 0
; COMPUTE_PGM_RSRC3_GFX90A:ACCUM_OFFSET: 3
; COMPUTE_PGM_RSRC3_GFX90A:TG_SPLIT: 0
	.section	.text._ZN12tensorrt_llm7kernels21fusedQKNormRopeKernelIN3c104HalfEfLi64ELb0EEEvPviiifPKvS6_S6_PKlii,"axG",@progbits,_ZN12tensorrt_llm7kernels21fusedQKNormRopeKernelIN3c104HalfEfLi64ELb0EEEvPviiifPKvS6_S6_PKlii,comdat
	.protected	_ZN12tensorrt_llm7kernels21fusedQKNormRopeKernelIN3c104HalfEfLi64ELb0EEEvPviiifPKvS6_S6_PKlii ; -- Begin function _ZN12tensorrt_llm7kernels21fusedQKNormRopeKernelIN3c104HalfEfLi64ELb0EEEvPviiifPKvS6_S6_PKlii
	.globl	_ZN12tensorrt_llm7kernels21fusedQKNormRopeKernelIN3c104HalfEfLi64ELb0EEEvPviiifPKvS6_S6_PKlii
	.p2align	8
	.type	_ZN12tensorrt_llm7kernels21fusedQKNormRopeKernelIN3c104HalfEfLi64ELb0EEEvPviiifPKvS6_S6_PKlii,@function
_ZN12tensorrt_llm7kernels21fusedQKNormRopeKernelIN3c104HalfEfLi64ELb0EEEvPviiifPKvS6_S6_PKlii: ; @_ZN12tensorrt_llm7kernels21fusedQKNormRopeKernelIN3c104HalfEfLi64ELb0EEEvPviiifPKvS6_S6_PKlii
; %bb.0:
	s_load_dwordx4 s[8:11], s[4:5], 0x8
	s_load_dwordx2 s[12:13], s[4:5], 0x38
	s_load_dword s1, s[4:5], 0x4c
	v_lshrrev_b32_e32 v2, 5, v0
	s_waitcnt lgkmcnt(0)
	s_add_i32 s0, s9, s8
	s_abs_i32 s2, s0
	v_cvt_f32_u32_e32 v1, s2
	s_bfe_u32 s1, s1, 0xb0005
	s_mul_i32 s6, s6, s1
	s_sub_i32 s1, 0, s2
	v_rcp_iflag_f32_e32 v3, v1
	v_add_u32_e32 v1, s6, v2
	v_sub_u32_e32 v4, 0, v1
	v_max_i32_e32 v4, v1, v4
	v_mul_f32_e32 v3, 0x4f7ffffe, v3
	v_cvt_u32_f32_e32 v3, v3
	v_xor_b32_e32 v2, s0, v1
	v_ashrrev_i32_e32 v2, 31, v2
	v_mul_lo_u32 v5, s1, v3
	v_mul_hi_u32 v5, v3, v5
	v_add_u32_e32 v3, v3, v5
	v_mul_hi_u32 v3, v4, v3
	v_mul_lo_u32 v5, v3, s2
	v_sub_u32_e32 v4, v4, v5
	v_add_u32_e32 v5, 1, v3
	v_cmp_le_u32_e32 vcc, s2, v4
	v_cndmask_b32_e32 v3, v3, v5, vcc
	v_subrev_u32_e32 v5, s2, v4
	v_cndmask_b32_e32 v4, v4, v5, vcc
	v_add_u32_e32 v5, 1, v3
	v_cmp_le_u32_e32 vcc, s2, v4
	v_cndmask_b32_e32 v3, v3, v5, vcc
	v_xor_b32_e32 v3, v3, v2
	v_sub_u32_e32 v2, v3, v2
	v_cmp_gt_i32_e32 vcc, s12, v2
	s_and_saveexec_b64 s[2:3], vcc
	s_cbranch_execz .LBB1_4
; %bb.1:
	v_and_b32_e32 v4, 31, v0
	v_mul_lo_u32 v0, v2, s0
	v_sub_u32_e32 v0, v1, v0
	v_mov_b32_e32 v1, s8
	v_cmp_gt_i32_e32 vcc, s8, v0
	v_cndmask_b32_e64 v1, v1, 0, vcc
	s_add_i32 s0, s0, s10
	s_load_dwordx2 s[2:3], s[4:5], 0x0
	v_sub_u32_e32 v0, v0, v1
	v_mul_lo_u32 v3, v2, s0
	v_add3_u32 v0, v3, v1, v0
	v_lshlrev_b32_e32 v1, 1, v4
	v_lshl_or_b32 v0, v0, 6, v1
	v_ashrrev_i32_e32 v1, 31, v0
	v_lshlrev_b64 v[0:1], 1, v[0:1]
	s_waitcnt lgkmcnt(0)
	v_mov_b32_e32 v3, s3
	v_add_co_u32_e64 v0, s[0:1], s2, v0
	v_addc_co_u32_e64 v1, s[0:1], v3, v1, s[0:1]
	global_load_dword v3, v[0:1], off
	s_load_dwordx8 s[0:7], s[4:5], 0x18
	v_lshlrev_b32_e32 v8, 2, v4
	s_waitcnt lgkmcnt(0)
	v_mov_b32_e32 v5, s3
	v_mov_b32_e32 v6, s1
	;; [unrolled: 1-line block ×4, first 2 shown]
	v_cndmask_b32_e32 v5, v5, v6, vcc
	v_cndmask_b32_e32 v6, v7, v9, vcc
	v_add_co_u32_e32 v6, vcc, v6, v8
	v_addc_co_u32_e32 v7, vcc, 0, v5, vcc
	global_load_dword v9, v[6:7], off
	v_mbcnt_lo_u32_b32 v5, -1, 0
	v_mbcnt_hi_u32_b32 v5, -1, v5
	v_and_b32_e32 v6, 0x60, v5
	v_xor_b32_e32 v7, 16, v5
	v_add_u32_e32 v12, 32, v6
	v_cmp_lt_i32_e32 vcc, v7, v12
	s_mov_b32 s0, 0x800000
	s_lshr_b32 s2, s13, 31
	s_add_i32 s2, s13, s2
	s_mov_b32 s1, 0
	s_waitcnt vmcnt(1)
	v_cvt_f32_f16_e32 v11, v3
	v_cvt_f32_f16_sdwa v10, v3 dst_sel:DWORD dst_unused:UNUSED_PAD src0_sel:WORD_1
	v_cndmask_b32_e32 v3, v5, v7, vcc
	v_lshlrev_b32_e32 v3, 2, v3
	v_pk_mul_f32 v[6:7], v[10:11], v[10:11]
	v_add_f32_e32 v6, v6, v7
	ds_bpermute_b32 v3, v3, v6
	v_xor_b32_e32 v7, 8, v5
	v_cmp_lt_i32_e32 vcc, v7, v12
	v_cndmask_b32_e32 v7, v5, v7, vcc
	v_lshlrev_b32_e32 v7, 2, v7
	s_waitcnt lgkmcnt(0)
	v_add_f32_e32 v3, v6, v3
	ds_bpermute_b32 v6, v7, v3
	v_xor_b32_e32 v7, 4, v5
	v_cmp_lt_i32_e32 vcc, v7, v12
	v_cndmask_b32_e32 v7, v5, v7, vcc
	v_lshlrev_b32_e32 v7, 2, v7
	s_waitcnt lgkmcnt(0)
	;; [unrolled: 7-line block ×4, first 2 shown]
	v_add_f32_e32 v3, v3, v6
	ds_bpermute_b32 v6, v7, v3
	v_mov_b32_e32 v7, s11
	s_waitcnt lgkmcnt(0)
	v_add_f32_e32 v3, v3, v6
	v_fmac_f32_e32 v7, 0x3c800000, v3
	v_mul_f32_e32 v3, 0x4b800000, v7
	v_cmp_gt_f32_e32 vcc, s0, v7
	v_cndmask_b32_e32 v3, v7, v3, vcc
	v_rsq_f32_e32 v3, v3
	s_waitcnt vmcnt(0)
	v_cvt_f32_f16_e32 v6, v9
	v_cvt_f32_f16_sdwa v7, v9 dst_sel:DWORD dst_unused:UNUSED_PAD src0_sel:WORD_1
	s_ashr_i32 s0, s2, 1
	v_mul_f32_e32 v9, 0x45800000, v3
	v_cndmask_b32_e32 v3, v3, v9, vcc
	v_mul_f32_e32 v6, v3, v6
	v_mul_f32_e32 v3, v3, v7
	;; [unrolled: 1-line block ×4, first 2 shown]
	v_cmp_gt_i32_e32 vcc, s0, v4
	s_and_saveexec_b64 s[2:3], vcc
	s_cbranch_execz .LBB1_3
; %bb.2:
	v_ashrrev_i32_e32 v3, 31, v2
	v_lshlrev_b64 v[2:3], 3, v[2:3]
	v_mov_b32_e32 v9, s7
	v_add_co_u32_e32 v2, vcc, s6, v2
	v_addc_co_u32_e32 v3, vcc, v9, v3, vcc
	global_load_dwordx2 v[2:3], v[2:3], off
	s_abs_i32 s8, s13
	v_cvt_f32_u32_e32 v9, s8
	s_lshl_b64 s[6:7], s[0:1], 2
	s_sub_i32 s1, 0, s8
	v_or_b32_e32 v11, 2, v8
	v_rcp_iflag_f32_e32 v10, v9
	s_ashr_i32 s9, s13, 31
	v_mov_b32_e32 v9, 0
	v_mov_b32_e32 v12, s5
	v_mul_f32_e32 v10, 0x4f7ffffe, v10
	v_cvt_u32_f32_e32 v10, v10
	v_mov_b32_e32 v13, s7
	; wave barrier
	v_mul_lo_u32 v14, s1, v10
	v_mul_hi_u32 v14, v10, v14
	v_add_u32_e32 v10, v10, v14
	v_mul_hi_u32 v14, v8, v10
	v_mul_hi_u32 v10, v11, v10
	v_mul_lo_u32 v14, v14, s8
	v_mul_lo_u32 v10, v10, s8
	v_sub_u32_e32 v8, v8, v14
	v_sub_u32_e32 v10, v11, v10
	v_subrev_u32_e32 v11, s8, v8
	v_cmp_le_u32_e32 vcc, s8, v8
	v_subrev_u32_e32 v14, s8, v10
	v_cndmask_b32_e32 v8, v8, v11, vcc
	v_cmp_le_u32_e32 vcc, s8, v10
	v_cndmask_b32_e32 v10, v10, v14, vcc
	v_subrev_u32_e32 v11, s8, v8
	v_cmp_le_u32_e32 vcc, s8, v8
	v_subrev_u32_e32 v14, s8, v10
	v_cndmask_b32_e32 v8, v8, v11, vcc
	v_cmp_le_u32_e32 vcc, s8, v10
	v_cndmask_b32_e32 v14, v10, v14, vcc
	v_lshrrev_b32_e32 v8, 1, v8
	v_lshlrev_b64 v[10:11], 2, v[8:9]
	v_lshrrev_b32_e32 v8, 1, v14
	v_lshlrev_b64 v[8:9], 2, v[8:9]
	s_lshr_b32 s0, s0, 1
	s_waitcnt vmcnt(0)
	v_mul_lo_u32 v14, v3, s13
	v_mul_lo_u32 v15, v2, s9
	v_mad_u64_u32 v[2:3], s[8:9], v2, s13, 0
	v_add3_u32 v3, v3, v15, v14
	v_lshlrev_b64 v[2:3], 2, v[2:3]
	v_add_co_u32_e32 v14, vcc, s4, v2
	v_addc_co_u32_e32 v15, vcc, v12, v3, vcc
	v_add_co_u32_e32 v12, vcc, s6, v14
	v_addc_co_u32_e32 v13, vcc, v15, v13, vcc
	;; [unrolled: 2-line block ×5, first 2 shown]
	global_load_dword v16, v[2:3], off
	global_load_dword v17, v[10:11], off
	;; [unrolled: 1-line block ×3, first 2 shown]
	v_add_co_u32_e32 v2, vcc, v14, v8
	v_addc_co_u32_e32 v3, vcc, v15, v9, vcc
	global_load_dword v2, v[2:3], off
	v_and_b32_e32 v3, 64, v5
	v_xor_b32_e32 v8, s0, v5
	v_add_u32_e32 v3, 64, v3
	v_cmp_lt_i32_e32 vcc, v8, v3
	v_cndmask_b32_e32 v3, v5, v8, vcc
	v_lshlrev_b32_e32 v3, 2, v3
	ds_bpermute_b32 v5, v3, v6
	ds_bpermute_b32 v3, v3, v7
	v_cmp_gt_u32_e32 vcc, s0, v4
	; wave barrier
	s_waitcnt lgkmcnt(1)
	v_cndmask_b32_e64 v4, v5, -v5, vcc
	s_waitcnt lgkmcnt(0)
	v_cndmask_b32_e64 v3, v3, -v3, vcc
	s_waitcnt vmcnt(2)
	v_mul_f32_e32 v4, v4, v17
	s_waitcnt vmcnt(1)
	v_mul_f32_e32 v3, v3, v18
	v_fmac_f32_e32 v4, v6, v16
	v_mov_b32_e32 v6, v4
	s_waitcnt vmcnt(0)
	v_fmac_f32_e32 v3, v7, v2
	v_mov_b32_e32 v7, v3
.LBB1_3:
	s_or_b64 exec, exec, s[2:3]
	v_cvt_f16_f32_e32 v2, v6
	v_cvt_f16_f32_e32 v3, v7
	v_pack_b32_f16 v2, v2, v3
	global_store_dword v[0:1], v2, off
.LBB1_4:
	s_endpgm
	.section	.rodata,"a",@progbits
	.p2align	6, 0x0
	.amdhsa_kernel _ZN12tensorrt_llm7kernels21fusedQKNormRopeKernelIN3c104HalfEfLi64ELb0EEEvPviiifPKvS6_S6_PKlii
		.amdhsa_group_segment_fixed_size 0
		.amdhsa_private_segment_fixed_size 0
		.amdhsa_kernarg_size 320
		.amdhsa_user_sgpr_count 6
		.amdhsa_user_sgpr_private_segment_buffer 1
		.amdhsa_user_sgpr_dispatch_ptr 0
		.amdhsa_user_sgpr_queue_ptr 0
		.amdhsa_user_sgpr_kernarg_segment_ptr 1
		.amdhsa_user_sgpr_dispatch_id 0
		.amdhsa_user_sgpr_flat_scratch_init 0
		.amdhsa_user_sgpr_kernarg_preload_length 0
		.amdhsa_user_sgpr_kernarg_preload_offset 0
		.amdhsa_user_sgpr_private_segment_size 0
		.amdhsa_uses_dynamic_stack 0
		.amdhsa_system_sgpr_private_segment_wavefront_offset 0
		.amdhsa_system_sgpr_workgroup_id_x 1
		.amdhsa_system_sgpr_workgroup_id_y 0
		.amdhsa_system_sgpr_workgroup_id_z 0
		.amdhsa_system_sgpr_workgroup_info 0
		.amdhsa_system_vgpr_workitem_id 0
		.amdhsa_next_free_vgpr 19
		.amdhsa_next_free_sgpr 14
		.amdhsa_accum_offset 20
		.amdhsa_reserve_vcc 1
		.amdhsa_reserve_flat_scratch 0
		.amdhsa_float_round_mode_32 0
		.amdhsa_float_round_mode_16_64 0
		.amdhsa_float_denorm_mode_32 3
		.amdhsa_float_denorm_mode_16_64 3
		.amdhsa_dx10_clamp 1
		.amdhsa_ieee_mode 1
		.amdhsa_fp16_overflow 0
		.amdhsa_tg_split 0
		.amdhsa_exception_fp_ieee_invalid_op 0
		.amdhsa_exception_fp_denorm_src 0
		.amdhsa_exception_fp_ieee_div_zero 0
		.amdhsa_exception_fp_ieee_overflow 0
		.amdhsa_exception_fp_ieee_underflow 0
		.amdhsa_exception_fp_ieee_inexact 0
		.amdhsa_exception_int_div_zero 0
	.end_amdhsa_kernel
	.section	.text._ZN12tensorrt_llm7kernels21fusedQKNormRopeKernelIN3c104HalfEfLi64ELb0EEEvPviiifPKvS6_S6_PKlii,"axG",@progbits,_ZN12tensorrt_llm7kernels21fusedQKNormRopeKernelIN3c104HalfEfLi64ELb0EEEvPviiifPKvS6_S6_PKlii,comdat
.Lfunc_end1:
	.size	_ZN12tensorrt_llm7kernels21fusedQKNormRopeKernelIN3c104HalfEfLi64ELb0EEEvPviiifPKvS6_S6_PKlii, .Lfunc_end1-_ZN12tensorrt_llm7kernels21fusedQKNormRopeKernelIN3c104HalfEfLi64ELb0EEEvPviiifPKvS6_S6_PKlii
                                        ; -- End function
	.section	.AMDGPU.csdata,"",@progbits
; Kernel info:
; codeLenInByte = 1172
; NumSgprs: 18
; NumVgprs: 19
; NumAgprs: 0
; TotalNumVgprs: 19
; ScratchSize: 0
; MemoryBound: 0
; FloatMode: 240
; IeeeMode: 1
; LDSByteSize: 0 bytes/workgroup (compile time only)
; SGPRBlocks: 2
; VGPRBlocks: 2
; NumSGPRsForWavesPerEU: 18
; NumVGPRsForWavesPerEU: 19
; AccumOffset: 20
; Occupancy: 8
; WaveLimiterHint : 1
; COMPUTE_PGM_RSRC2:SCRATCH_EN: 0
; COMPUTE_PGM_RSRC2:USER_SGPR: 6
; COMPUTE_PGM_RSRC2:TRAP_HANDLER: 0
; COMPUTE_PGM_RSRC2:TGID_X_EN: 1
; COMPUTE_PGM_RSRC2:TGID_Y_EN: 0
; COMPUTE_PGM_RSRC2:TGID_Z_EN: 0
; COMPUTE_PGM_RSRC2:TIDIG_COMP_CNT: 0
; COMPUTE_PGM_RSRC3_GFX90A:ACCUM_OFFSET: 4
; COMPUTE_PGM_RSRC3_GFX90A:TG_SPLIT: 0
	.section	.text._ZN12tensorrt_llm7kernels21fusedQKNormRopeKernelIN3c104HalfEfLi128ELb1EEEvPviiifPKvS6_S6_PKlii,"axG",@progbits,_ZN12tensorrt_llm7kernels21fusedQKNormRopeKernelIN3c104HalfEfLi128ELb1EEEvPviiifPKvS6_S6_PKlii,comdat
	.protected	_ZN12tensorrt_llm7kernels21fusedQKNormRopeKernelIN3c104HalfEfLi128ELb1EEEvPviiifPKvS6_S6_PKlii ; -- Begin function _ZN12tensorrt_llm7kernels21fusedQKNormRopeKernelIN3c104HalfEfLi128ELb1EEEvPviiifPKvS6_S6_PKlii
	.globl	_ZN12tensorrt_llm7kernels21fusedQKNormRopeKernelIN3c104HalfEfLi128ELb1EEEvPviiifPKvS6_S6_PKlii
	.p2align	8
	.type	_ZN12tensorrt_llm7kernels21fusedQKNormRopeKernelIN3c104HalfEfLi128ELb1EEEvPviiifPKvS6_S6_PKlii,@function
_ZN12tensorrt_llm7kernels21fusedQKNormRopeKernelIN3c104HalfEfLi128ELb1EEEvPviiifPKvS6_S6_PKlii: ; @_ZN12tensorrt_llm7kernels21fusedQKNormRopeKernelIN3c104HalfEfLi128ELb1EEEvPviiifPKvS6_S6_PKlii
; %bb.0:
	s_load_dwordx4 s[8:11], s[4:5], 0x8
	s_load_dwordx2 s[12:13], s[4:5], 0x38
	s_load_dword s1, s[4:5], 0x4c
	v_lshrrev_b32_e32 v2, 5, v0
	s_waitcnt lgkmcnt(0)
	s_add_i32 s0, s9, s8
	s_abs_i32 s2, s0
	v_cvt_f32_u32_e32 v1, s2
	s_bfe_u32 s1, s1, 0xb0005
	s_mul_i32 s6, s6, s1
	s_sub_i32 s1, 0, s2
	v_rcp_iflag_f32_e32 v3, v1
	v_add_u32_e32 v1, s6, v2
	v_sub_u32_e32 v4, 0, v1
	v_max_i32_e32 v4, v1, v4
	v_mul_f32_e32 v3, 0x4f7ffffe, v3
	v_cvt_u32_f32_e32 v3, v3
	v_xor_b32_e32 v2, s0, v1
	v_ashrrev_i32_e32 v2, 31, v2
	v_mul_lo_u32 v5, s1, v3
	v_mul_hi_u32 v5, v3, v5
	v_add_u32_e32 v3, v3, v5
	v_mul_hi_u32 v3, v4, v3
	v_mul_lo_u32 v5, v3, s2
	v_sub_u32_e32 v4, v4, v5
	v_add_u32_e32 v5, 1, v3
	v_cmp_le_u32_e32 vcc, s2, v4
	v_cndmask_b32_e32 v3, v3, v5, vcc
	v_subrev_u32_e32 v5, s2, v4
	v_cndmask_b32_e32 v4, v4, v5, vcc
	v_add_u32_e32 v5, 1, v3
	v_cmp_le_u32_e32 vcc, s2, v4
	v_cndmask_b32_e32 v3, v3, v5, vcc
	v_xor_b32_e32 v3, v3, v2
	v_sub_u32_e32 v2, v3, v2
	v_cmp_gt_i32_e32 vcc, s12, v2
	s_and_saveexec_b64 s[2:3], vcc
	s_cbranch_execz .LBB2_4
; %bb.1:
	v_and_b32_e32 v3, 31, v0
	v_mul_lo_u32 v0, v2, s0
	v_sub_u32_e32 v0, v1, v0
	v_mov_b32_e32 v1, s8
	v_cmp_gt_i32_e32 vcc, s8, v0
	v_cndmask_b32_e64 v1, v1, 0, vcc
	s_add_i32 s0, s0, s10
	s_load_dwordx2 s[2:3], s[4:5], 0x0
	v_sub_u32_e32 v0, v0, v1
	v_mul_lo_u32 v4, v2, s0
	v_add3_u32 v0, v4, v1, v0
	v_lshlrev_b32_e32 v1, 2, v3
	v_lshl_or_b32 v0, v0, 7, v1
	v_ashrrev_i32_e32 v1, 31, v0
	v_lshlrev_b64 v[0:1], 1, v[0:1]
	s_waitcnt lgkmcnt(0)
	v_mov_b32_e32 v4, s3
	v_add_co_u32_e64 v0, s[0:1], s2, v0
	v_addc_co_u32_e64 v1, s[0:1], v4, v1, s[0:1]
	global_load_dwordx2 v[4:5], v[0:1], off
	s_load_dwordx8 s[0:7], s[4:5], 0x18
	v_lshlrev_b32_e32 v8, 3, v3
	v_mov_b32_e32 v16, s11
	s_waitcnt lgkmcnt(0)
	v_mov_b32_e32 v6, s3
	v_mov_b32_e32 v7, s1
	;; [unrolled: 1-line block ×4, first 2 shown]
	v_cndmask_b32_e32 v7, v6, v7, vcc
	v_cndmask_b32_e32 v6, v9, v10, vcc
	v_add_co_u32_e32 v6, vcc, v6, v8
	v_addc_co_u32_e32 v7, vcc, 0, v7, vcc
	global_load_dwordx2 v[6:7], v[6:7], off
	v_mbcnt_lo_u32_b32 v9, -1, 0
	v_mbcnt_hi_u32_b32 v9, -1, v9
	v_and_b32_e32 v10, 0x60, v9
	v_add_u32_e32 v17, 32, v10
	v_xor_b32_e32 v14, 16, v9
	v_cmp_lt_i32_e32 vcc, v14, v17
	s_mov_b32 s0, 0x800000
	s_ashr_i32 s2, s13, 31
	s_lshr_b32 s1, s2, 30
	s_add_i32 s1, s13, s1
	s_ashr_i32 s1, s1, 2
	s_waitcnt vmcnt(1)
	v_cvt_f32_f16_e32 v12, v4
	v_cvt_f32_f16_sdwa v13, v4 dst_sel:DWORD dst_unused:UNUSED_PAD src0_sel:WORD_1
	v_cvt_f32_f16_e32 v10, v5
	v_cvt_f32_f16_sdwa v11, v5 dst_sel:DWORD dst_unused:UNUSED_PAD src0_sel:WORD_1
	v_cndmask_b32_e32 v4, v9, v14, vcc
	v_pk_mul_f32 v[14:15], v[12:13], v[12:13]
	v_lshlrev_b32_e32 v18, 2, v4
	v_pk_mul_f32 v[4:5], v[10:11], v[10:11]
	v_add_f32_e32 v14, v14, v15
	v_add_f32_e32 v4, v14, v4
	;; [unrolled: 1-line block ×3, first 2 shown]
	ds_bpermute_b32 v5, v18, v4
	v_xor_b32_e32 v14, 8, v9
	v_cmp_lt_i32_e32 vcc, v14, v17
	v_cndmask_b32_e32 v14, v9, v14, vcc
	v_lshlrev_b32_e32 v14, 2, v14
	s_waitcnt lgkmcnt(0)
	v_add_f32_e32 v4, v4, v5
	ds_bpermute_b32 v5, v14, v4
	v_xor_b32_e32 v14, 4, v9
	v_cmp_lt_i32_e32 vcc, v14, v17
	v_cndmask_b32_e32 v14, v9, v14, vcc
	v_lshlrev_b32_e32 v14, 2, v14
	s_waitcnt lgkmcnt(0)
	v_add_f32_e32 v4, v4, v5
	ds_bpermute_b32 v5, v14, v4
	v_xor_b32_e32 v14, 2, v9
	v_cmp_lt_i32_e32 vcc, v14, v17
	v_cndmask_b32_e32 v14, v9, v14, vcc
	v_lshlrev_b32_e32 v14, 2, v14
	s_waitcnt lgkmcnt(0)
	v_add_f32_e32 v4, v4, v5
	ds_bpermute_b32 v5, v14, v4
	v_xor_b32_e32 v14, 1, v9
	v_cmp_lt_i32_e32 vcc, v14, v17
	v_cndmask_b32_e32 v9, v9, v14, vcc
	v_lshlrev_b32_e32 v9, 2, v9
	s_waitcnt lgkmcnt(0)
	v_add_f32_e32 v5, v4, v5
	ds_bpermute_b32 v9, v9, v5
	s_waitcnt vmcnt(0)
	v_cvt_f32_f16_e32 v4, v6
	s_waitcnt lgkmcnt(0)
	v_add_f32_e32 v5, v5, v9
	v_fmac_f32_e32 v16, 0x3c000000, v5
	v_mul_f32_e32 v5, 0x4b800000, v16
	v_cmp_gt_f32_e32 vcc, s0, v16
	v_cndmask_b32_e32 v5, v16, v5, vcc
	v_rsq_f32_e32 v9, v5
	v_cvt_f32_f16_sdwa v5, v6 dst_sel:DWORD dst_unused:UNUSED_PAD src0_sel:WORD_1
	v_cvt_f32_f16_e32 v6, v7
	v_cvt_f32_f16_sdwa v7, v7 dst_sel:DWORD dst_unused:UNUSED_PAD src0_sel:WORD_1
	v_mul_f32_e32 v14, 0x45800000, v9
	v_cndmask_b32_e32 v14, v9, v14, vcc
	v_pk_mul_f32 v[4:5], v[14:15], v[4:5] op_sel_hi:[0,1]
	v_pk_mul_f32 v[6:7], v[14:15], v[6:7] op_sel_hi:[0,1]
	v_pk_mul_f32 v[4:5], v[4:5], v[12:13]
	v_pk_mul_f32 v[6:7], v[6:7], v[10:11]
	v_cmp_gt_i32_e32 vcc, s1, v3
	s_and_saveexec_b64 s[0:1], vcc
	s_cbranch_execz .LBB2_3
; %bb.2:
	v_ashrrev_i32_e32 v3, 31, v2
	v_lshlrev_b64 v[2:3], 3, v[2:3]
	v_mov_b32_e32 v9, s7
	v_add_co_u32_e32 v2, vcc, s6, v2
	v_addc_co_u32_e32 v3, vcc, v9, v3, vcc
	global_load_dwordx2 v[2:3], v[2:3], off
	s_lshr_b32 s3, s13, 31
	s_add_i32 s3, s13, s3
	s_ashr_i32 s6, s3, 1
	v_mov_b32_e32 v9, s5
	s_ashr_i32 s7, s6, 31
	s_lshl_b64 s[6:7], s[6:7], 2
	v_mov_b32_e32 v10, s7
	s_waitcnt vmcnt(0)
	v_mul_lo_u32 v11, v3, s13
	v_mul_lo_u32 v12, v2, s2
	v_mad_u64_u32 v[2:3], s[2:3], v2, s13, 0
	v_add3_u32 v3, v3, v12, v11
	v_lshlrev_b64 v[2:3], 2, v[2:3]
	v_add_co_u32_e32 v2, vcc, s4, v2
	v_addc_co_u32_e32 v3, vcc, v9, v3, vcc
	v_add_co_u32_e32 v2, vcc, v2, v8
	v_addc_co_u32_e32 v3, vcc, 0, v3, vcc
	;; [unrolled: 2-line block ×3, first 2 shown]
	global_load_dwordx2 v[10:11], v[2:3], off
	global_load_dwordx2 v[12:13], v[8:9], off
	s_waitcnt vmcnt(1)
	v_pk_mul_f32 v[2:3], v[4:5], v[10:11] op_sel_hi:[1,0]
	s_waitcnt vmcnt(0)
	v_pk_mul_f32 v[8:9], v[4:5], v[12:13] op_sel_hi:[1,0]
	v_pk_fma_f32 v[4:5], v[4:5], v[10:11], v[8:9] op_sel:[0,0,1] op_sel_hi:[1,0,0]
	v_mov_b32_e32 v10, v13
	v_mul_f32_e32 v3, v7, v13
	v_pk_mul_f32 v[12:13], v[6:7], v[10:11]
	v_sub_f32_e32 v4, v2, v9
	v_mov_b32_e32 v2, v13
	v_fma_f32 v8, v6, v11, -v3
	v_pk_fma_f32 v[2:3], v[6:7], v[10:11], v[2:3]
	v_mov_b32_e32 v6, v8
	v_mov_b32_e32 v7, v2
.LBB2_3:
	s_or_b64 exec, exec, s[0:1]
	v_cvt_f16_f32_e32 v2, v4
	v_cvt_f16_f32_e32 v3, v6
	;; [unrolled: 1-line block ×4, first 2 shown]
	v_pack_b32_f16 v3, v3, v4
	v_pack_b32_f16 v2, v2, v5
	global_store_dwordx2 v[0:1], v[2:3], off
.LBB2_4:
	s_endpgm
	.section	.rodata,"a",@progbits
	.p2align	6, 0x0
	.amdhsa_kernel _ZN12tensorrt_llm7kernels21fusedQKNormRopeKernelIN3c104HalfEfLi128ELb1EEEvPviiifPKvS6_S6_PKlii
		.amdhsa_group_segment_fixed_size 0
		.amdhsa_private_segment_fixed_size 0
		.amdhsa_kernarg_size 320
		.amdhsa_user_sgpr_count 6
		.amdhsa_user_sgpr_private_segment_buffer 1
		.amdhsa_user_sgpr_dispatch_ptr 0
		.amdhsa_user_sgpr_queue_ptr 0
		.amdhsa_user_sgpr_kernarg_segment_ptr 1
		.amdhsa_user_sgpr_dispatch_id 0
		.amdhsa_user_sgpr_flat_scratch_init 0
		.amdhsa_user_sgpr_kernarg_preload_length 0
		.amdhsa_user_sgpr_kernarg_preload_offset 0
		.amdhsa_user_sgpr_private_segment_size 0
		.amdhsa_uses_dynamic_stack 0
		.amdhsa_system_sgpr_private_segment_wavefront_offset 0
		.amdhsa_system_sgpr_workgroup_id_x 1
		.amdhsa_system_sgpr_workgroup_id_y 0
		.amdhsa_system_sgpr_workgroup_id_z 0
		.amdhsa_system_sgpr_workgroup_info 0
		.amdhsa_system_vgpr_workitem_id 0
		.amdhsa_next_free_vgpr 19
		.amdhsa_next_free_sgpr 14
		.amdhsa_accum_offset 20
		.amdhsa_reserve_vcc 1
		.amdhsa_reserve_flat_scratch 0
		.amdhsa_float_round_mode_32 0
		.amdhsa_float_round_mode_16_64 0
		.amdhsa_float_denorm_mode_32 3
		.amdhsa_float_denorm_mode_16_64 3
		.amdhsa_dx10_clamp 1
		.amdhsa_ieee_mode 1
		.amdhsa_fp16_overflow 0
		.amdhsa_tg_split 0
		.amdhsa_exception_fp_ieee_invalid_op 0
		.amdhsa_exception_fp_denorm_src 0
		.amdhsa_exception_fp_ieee_div_zero 0
		.amdhsa_exception_fp_ieee_overflow 0
		.amdhsa_exception_fp_ieee_underflow 0
		.amdhsa_exception_fp_ieee_inexact 0
		.amdhsa_exception_int_div_zero 0
	.end_amdhsa_kernel
	.section	.text._ZN12tensorrt_llm7kernels21fusedQKNormRopeKernelIN3c104HalfEfLi128ELb1EEEvPviiifPKvS6_S6_PKlii,"axG",@progbits,_ZN12tensorrt_llm7kernels21fusedQKNormRopeKernelIN3c104HalfEfLi128ELb1EEEvPviiifPKvS6_S6_PKlii,comdat
.Lfunc_end2:
	.size	_ZN12tensorrt_llm7kernels21fusedQKNormRopeKernelIN3c104HalfEfLi128ELb1EEEvPviiifPKvS6_S6_PKlii, .Lfunc_end2-_ZN12tensorrt_llm7kernels21fusedQKNormRopeKernelIN3c104HalfEfLi128ELb1EEEvPviiifPKvS6_S6_PKlii
                                        ; -- End function
	.section	.AMDGPU.csdata,"",@progbits
; Kernel info:
; codeLenInByte = 1020
; NumSgprs: 18
; NumVgprs: 19
; NumAgprs: 0
; TotalNumVgprs: 19
; ScratchSize: 0
; MemoryBound: 0
; FloatMode: 240
; IeeeMode: 1
; LDSByteSize: 0 bytes/workgroup (compile time only)
; SGPRBlocks: 2
; VGPRBlocks: 2
; NumSGPRsForWavesPerEU: 18
; NumVGPRsForWavesPerEU: 19
; AccumOffset: 20
; Occupancy: 8
; WaveLimiterHint : 1
; COMPUTE_PGM_RSRC2:SCRATCH_EN: 0
; COMPUTE_PGM_RSRC2:USER_SGPR: 6
; COMPUTE_PGM_RSRC2:TRAP_HANDLER: 0
; COMPUTE_PGM_RSRC2:TGID_X_EN: 1
; COMPUTE_PGM_RSRC2:TGID_Y_EN: 0
; COMPUTE_PGM_RSRC2:TGID_Z_EN: 0
; COMPUTE_PGM_RSRC2:TIDIG_COMP_CNT: 0
; COMPUTE_PGM_RSRC3_GFX90A:ACCUM_OFFSET: 4
; COMPUTE_PGM_RSRC3_GFX90A:TG_SPLIT: 0
	.section	.text._ZN12tensorrt_llm7kernels21fusedQKNormRopeKernelIN3c104HalfEfLi128ELb0EEEvPviiifPKvS6_S6_PKlii,"axG",@progbits,_ZN12tensorrt_llm7kernels21fusedQKNormRopeKernelIN3c104HalfEfLi128ELb0EEEvPviiifPKvS6_S6_PKlii,comdat
	.protected	_ZN12tensorrt_llm7kernels21fusedQKNormRopeKernelIN3c104HalfEfLi128ELb0EEEvPviiifPKvS6_S6_PKlii ; -- Begin function _ZN12tensorrt_llm7kernels21fusedQKNormRopeKernelIN3c104HalfEfLi128ELb0EEEvPviiifPKvS6_S6_PKlii
	.globl	_ZN12tensorrt_llm7kernels21fusedQKNormRopeKernelIN3c104HalfEfLi128ELb0EEEvPviiifPKvS6_S6_PKlii
	.p2align	8
	.type	_ZN12tensorrt_llm7kernels21fusedQKNormRopeKernelIN3c104HalfEfLi128ELb0EEEvPviiifPKvS6_S6_PKlii,@function
_ZN12tensorrt_llm7kernels21fusedQKNormRopeKernelIN3c104HalfEfLi128ELb0EEEvPviiifPKvS6_S6_PKlii: ; @_ZN12tensorrt_llm7kernels21fusedQKNormRopeKernelIN3c104HalfEfLi128ELb0EEEvPviiifPKvS6_S6_PKlii
; %bb.0:
	s_load_dwordx4 s[8:11], s[4:5], 0x8
	s_load_dwordx2 s[12:13], s[4:5], 0x38
	s_load_dword s1, s[4:5], 0x4c
	v_lshrrev_b32_e32 v2, 5, v0
	s_waitcnt lgkmcnt(0)
	s_add_i32 s0, s9, s8
	s_abs_i32 s2, s0
	v_cvt_f32_u32_e32 v1, s2
	s_bfe_u32 s1, s1, 0xb0005
	s_mul_i32 s6, s6, s1
	s_sub_i32 s1, 0, s2
	v_rcp_iflag_f32_e32 v3, v1
	v_add_u32_e32 v1, s6, v2
	v_sub_u32_e32 v4, 0, v1
	v_max_i32_e32 v4, v1, v4
	v_mul_f32_e32 v3, 0x4f7ffffe, v3
	v_cvt_u32_f32_e32 v3, v3
	v_xor_b32_e32 v2, s0, v1
	v_ashrrev_i32_e32 v2, 31, v2
	v_mul_lo_u32 v5, s1, v3
	v_mul_hi_u32 v5, v3, v5
	v_add_u32_e32 v3, v3, v5
	v_mul_hi_u32 v3, v4, v3
	v_mul_lo_u32 v5, v3, s2
	v_sub_u32_e32 v4, v4, v5
	v_add_u32_e32 v5, 1, v3
	v_cmp_le_u32_e32 vcc, s2, v4
	v_cndmask_b32_e32 v3, v3, v5, vcc
	v_subrev_u32_e32 v5, s2, v4
	v_cndmask_b32_e32 v4, v4, v5, vcc
	v_add_u32_e32 v5, 1, v3
	v_cmp_le_u32_e32 vcc, s2, v4
	v_cndmask_b32_e32 v3, v3, v5, vcc
	v_xor_b32_e32 v3, v3, v2
	v_sub_u32_e32 v2, v3, v2
	v_cmp_gt_i32_e32 vcc, s12, v2
	s_and_saveexec_b64 s[2:3], vcc
	s_cbranch_execz .LBB3_4
; %bb.1:
	v_and_b32_e32 v6, 31, v0
	v_mul_lo_u32 v0, v2, s0
	v_sub_u32_e32 v0, v1, v0
	v_mov_b32_e32 v1, s8
	v_cmp_gt_i32_e32 vcc, s8, v0
	v_cndmask_b32_e64 v1, v1, 0, vcc
	s_add_i32 s0, s0, s10
	s_load_dwordx2 s[2:3], s[4:5], 0x0
	v_sub_u32_e32 v0, v0, v1
	v_mul_lo_u32 v3, v2, s0
	v_add3_u32 v0, v3, v1, v0
	v_lshlrev_b32_e32 v1, 2, v6
	v_lshl_or_b32 v0, v0, 7, v1
	v_ashrrev_i32_e32 v1, 31, v0
	v_lshlrev_b64 v[0:1], 1, v[0:1]
	s_waitcnt lgkmcnt(0)
	v_mov_b32_e32 v3, s3
	v_add_co_u32_e64 v0, s[0:1], s2, v0
	v_addc_co_u32_e64 v1, s[0:1], v3, v1, s[0:1]
	global_load_dwordx2 v[4:5], v[0:1], off
	s_load_dwordx8 s[0:7], s[4:5], 0x18
	v_lshlrev_b32_e32 v8, 3, v6
	s_waitcnt lgkmcnt(0)
	v_mov_b32_e32 v3, s3
	v_mov_b32_e32 v7, s1
	;; [unrolled: 1-line block ×4, first 2 shown]
	v_cndmask_b32_e32 v3, v3, v7, vcc
	v_cndmask_b32_e32 v7, v9, v10, vcc
	v_add_co_u32_e32 v10, vcc, v7, v8
	v_addc_co_u32_e32 v11, vcc, 0, v3, vcc
	global_load_dwordx2 v[10:11], v[10:11], off
	v_mbcnt_lo_u32_b32 v3, -1, 0
	v_mbcnt_hi_u32_b32 v7, -1, v3
	v_and_b32_e32 v3, 0x60, v7
	v_xor_b32_e32 v12, 16, v7
	v_add_u32_e32 v3, 32, v3
	v_cmp_lt_i32_e32 vcc, v12, v3
	v_cndmask_b32_e32 v12, v7, v12, vcc
	v_lshlrev_b32_e32 v12, 2, v12
	v_xor_b32_e32 v13, 8, v7
	v_cmp_lt_i32_e32 vcc, v13, v3
	v_cndmask_b32_e32 v13, v7, v13, vcc
	v_lshlrev_b32_e32 v13, 2, v13
	v_xor_b32_e32 v14, 4, v7
	;; [unrolled: 4-line block ×3, first 2 shown]
	v_cmp_lt_i32_e32 vcc, v17, v3
	v_mov_b32_e32 v9, s11
	s_mov_b32 s0, 0x800000
	s_ashr_i32 s2, s13, 31
	s_lshr_b32 s1, s2, 30
	s_add_i32 s1, s13, s1
	s_ashr_i32 s1, s1, 2
	s_waitcnt vmcnt(1)
	v_cvt_f32_f16_sdwa v15, v4 dst_sel:DWORD dst_unused:UNUSED_PAD src0_sel:WORD_1
	v_mul_f32_e32 v16, v15, v15
	v_fma_mix_f32 v16, v4, v4, v16 op_sel_hi:[1,1,0]
	v_fma_mix_f32 v16, v5, v5, v16 op_sel_hi:[1,1,0]
	v_fma_mix_f32 v16, v5, v5, v16 op_sel:[1,1,0] op_sel_hi:[1,1,0]
	ds_bpermute_b32 v12, v12, v16
	v_cvt_f32_f16_e32 v4, v4
	s_waitcnt lgkmcnt(0)
	v_add_f32_e32 v12, v16, v12
	ds_bpermute_b32 v13, v13, v12
	v_xor_b32_e32 v16, 1, v7
	s_waitcnt lgkmcnt(0)
	v_add_f32_e32 v12, v12, v13
	ds_bpermute_b32 v13, v14, v12
	v_cndmask_b32_e32 v14, v7, v17, vcc
	v_lshlrev_b32_e32 v14, 2, v14
	v_cmp_lt_i32_e32 vcc, v16, v3
	v_cndmask_b32_e32 v3, v7, v16, vcc
	s_waitcnt lgkmcnt(0)
	v_add_f32_e32 v12, v12, v13
	ds_bpermute_b32 v13, v14, v12
	v_lshlrev_b32_e32 v3, 2, v3
	s_waitcnt vmcnt(0)
	v_cvt_f32_f16_e32 v14, v11
	v_cvt_f32_f16_sdwa v11, v11 dst_sel:DWORD dst_unused:UNUSED_PAD src0_sel:WORD_1
	s_waitcnt lgkmcnt(0)
	v_add_f32_e32 v12, v12, v13
	ds_bpermute_b32 v3, v3, v12
	v_cvt_f32_f16_e32 v13, v10
	v_cvt_f32_f16_sdwa v10, v10 dst_sel:DWORD dst_unused:UNUSED_PAD src0_sel:WORD_1
	s_waitcnt lgkmcnt(0)
	v_add_f32_e32 v3, v12, v3
	v_fmac_f32_e32 v9, 0x3c000000, v3
	v_mul_f32_e32 v3, 0x4b800000, v9
	v_cmp_gt_f32_e32 vcc, s0, v9
	v_cndmask_b32_e32 v3, v9, v3, vcc
	v_rsq_f32_e32 v3, v3
	v_cvt_f32_f16_e32 v12, v5
	v_cvt_f32_f16_sdwa v5, v5 dst_sel:DWORD dst_unused:UNUSED_PAD src0_sel:WORD_1
	v_mul_f32_e32 v9, 0x45800000, v3
	v_cndmask_b32_e32 v3, v3, v9, vcc
	v_mul_f32_e32 v9, v3, v13
	v_mul_f32_e32 v13, v3, v10
	v_mul_f32_e32 v14, v3, v14
	v_mul_f32_e32 v3, v3, v11
	v_mul_f32_e32 v10, v9, v4
	v_mul_f32_e32 v9, v13, v15
	v_mul_f32_e32 v11, v14, v12
	v_mul_f32_e32 v12, v3, v5
	v_cmp_gt_i32_e32 vcc, s1, v6
	s_and_saveexec_b64 s[0:1], vcc
	s_cbranch_execz .LBB3_3
; %bb.2:
	v_ashrrev_i32_e32 v3, 31, v2
	v_lshlrev_b64 v[2:3], 3, v[2:3]
	v_mov_b32_e32 v4, s7
	v_add_co_u32_e32 v2, vcc, s6, v2
	v_addc_co_u32_e32 v3, vcc, v4, v3, vcc
	global_load_dwordx2 v[4:5], v[2:3], off
	v_mov_b32_e32 v13, s5
	s_abs_i32 s5, s13
	v_cvt_f32_u32_e32 v14, s5
	s_sub_i32 s8, 0, s5
	v_or_b32_e32 v2, 2, v8
	v_or_b32_e32 v15, 4, v8
	v_rcp_iflag_f32_e32 v14, v14
	v_mov_b32_e32 v3, 0
	s_lshr_b32 s3, s13, 31
	s_add_i32 s3, s13, s3
	v_mul_f32_e32 v14, 0x4f7ffffe, v14
	v_cvt_u32_f32_e32 v14, v14
	s_ashr_i32 s6, s3, 1
	s_ashr_i32 s7, s6, 31
	s_lshl_b64 s[6:7], s[6:7], 2
	v_mul_lo_u32 v16, s8, v14
	v_mul_hi_u32 v16, v14, v16
	v_add_u32_e32 v24, v14, v16
	v_mul_hi_u32 v14, v8, v24
	v_mul_hi_u32 v16, v2, v24
	v_mul_lo_u32 v14, v14, s5
	v_mul_hi_u32 v17, v15, v24
	v_mul_lo_u32 v16, v16, s5
	v_sub_u32_e32 v14, v8, v14
	v_mul_lo_u32 v17, v17, s5
	v_sub_u32_e32 v2, v2, v16
	v_subrev_u32_e32 v16, s5, v14
	v_cmp_le_u32_e32 vcc, s5, v14
	v_sub_u32_e32 v15, v15, v17
	v_subrev_u32_e32 v17, s5, v2
	v_cndmask_b32_e32 v14, v14, v16, vcc
	v_cmp_le_u32_e32 vcc, s5, v2
	v_subrev_u32_e32 v19, s5, v15
	v_cndmask_b32_e32 v2, v2, v17, vcc
	v_cmp_le_u32_e32 vcc, s5, v15
	v_cndmask_b32_e32 v20, v15, v19, vcc
	v_subrev_u32_e32 v15, s5, v14
	v_cmp_le_u32_e32 vcc, s5, v14
	v_subrev_u32_e32 v16, s5, v2
	v_cndmask_b32_e32 v14, v14, v15, vcc
	v_cmp_le_u32_e32 vcc, s5, v2
	v_cndmask_b32_e32 v16, v2, v16, vcc
	v_lshrrev_b32_e32 v2, 1, v14
	v_lshlrev_b64 v[14:15], 2, v[2:3]
	v_lshrrev_b32_e32 v2, 1, v16
	v_lshlrev_b64 v[16:17], 2, v[2:3]
	v_mov_b32_e32 v18, s7
	v_subrev_u32_e32 v21, s5, v20
	; wave barrier
	s_waitcnt vmcnt(0)
	v_mul_lo_u32 v2, v5, s13
	v_mul_lo_u32 v19, v4, s2
	v_mad_u64_u32 v[4:5], s[8:9], v4, s13, 0
	v_add3_u32 v5, v5, v19, v2
	v_lshlrev_b64 v[4:5], 2, v[4:5]
	v_add_co_u32_e32 v25, vcc, s4, v4
	v_addc_co_u32_e32 v13, vcc, v13, v5, vcc
	v_add_co_u32_e32 v26, vcc, s6, v25
	v_addc_co_u32_e32 v27, vcc, v13, v18, vcc
	;; [unrolled: 2-line block ×6, first 2 shown]
	v_cmp_le_u32_e32 vcc, s5, v20
	v_cndmask_b32_e32 v2, v20, v21, vcc
	v_lshrrev_b32_e32 v2, 1, v2
	v_lshlrev_b64 v[20:21], 2, v[2:3]
	v_add_co_u32_e32 v22, vcc, v25, v20
	v_addc_co_u32_e32 v23, vcc, v13, v21, vcc
	v_add_co_u32_e32 v20, vcc, v26, v20
	v_or_b32_e32 v2, 6, v8
	v_addc_co_u32_e32 v21, vcc, v27, v21, vcc
	global_load_dword v28, v[4:5], off
	global_load_dword v29, v[14:15], off
	;; [unrolled: 1-line block ×6, first 2 shown]
	v_mul_hi_u32 v4, v2, v24
	v_mul_lo_u32 v4, v4, s5
	v_sub_u32_e32 v2, v2, v4
	v_subrev_u32_e32 v4, s5, v2
	v_cmp_le_u32_e32 vcc, s5, v2
	v_cndmask_b32_e32 v2, v2, v4, vcc
	v_subrev_u32_e32 v4, s5, v2
	v_cmp_le_u32_e32 vcc, s5, v2
	v_cndmask_b32_e32 v2, v2, v4, vcc
	v_lshrrev_b32_e32 v2, 1, v2
	v_lshlrev_b64 v[2:3], 2, v[2:3]
	v_add_co_u32_e32 v4, vcc, v26, v2
	v_addc_co_u32_e32 v5, vcc, v27, v3, vcc
	v_add_co_u32_e32 v2, vcc, v25, v2
	global_load_dword v4, v[4:5], off
	v_addc_co_u32_e32 v3, vcc, v13, v3, vcc
	global_load_dword v2, v[2:3], off
	s_lshr_b32 s2, s2, 29
	s_add_i32 s2, s13, s2
	v_and_b32_e32 v3, 64, v7
	s_ashr_i32 s2, s2, 3
	v_add_u32_e32 v3, 64, v3
	v_xor_b32_e32 v5, s2, v7
	v_cmp_lt_i32_e32 vcc, v5, v3
	v_cndmask_b32_e32 v3, v7, v5, vcc
	v_lshlrev_b32_e32 v3, 2, v3
	ds_bpermute_b32 v5, v3, v10
	ds_bpermute_b32 v7, v3, v9
	ds_bpermute_b32 v8, v3, v11
	ds_bpermute_b32 v3, v3, v12
	v_cmp_gt_i32_e32 vcc, s2, v6
	s_waitcnt lgkmcnt(3)
	v_cndmask_b32_e64 v5, v5, -v5, vcc
	s_waitcnt lgkmcnt(2)
	v_cndmask_b32_e64 v6, v7, -v7, vcc
	;; [unrolled: 2-line block ×4, first 2 shown]
	; wave barrier
	s_waitcnt vmcnt(6)
	v_mul_f32_e32 v5, v5, v29
	v_fmac_f32_e32 v5, v10, v28
	s_waitcnt vmcnt(4)
	v_mul_f32_e32 v6, v6, v31
	v_fmac_f32_e32 v6, v9, v30
	;; [unrolled: 3-line block ×3, first 2 shown]
	v_mov_b32_e32 v10, v5
	v_mov_b32_e32 v9, v6
	;; [unrolled: 1-line block ×3, first 2 shown]
	s_waitcnt vmcnt(1)
	v_mul_f32_e32 v3, v3, v4
	s_waitcnt vmcnt(0)
	v_fmac_f32_e32 v3, v12, v2
	v_mov_b32_e32 v12, v3
.LBB3_3:
	s_or_b64 exec, exec, s[0:1]
	v_cvt_f16_f32_e32 v2, v10
	v_cvt_f16_f32_e32 v3, v11
	;; [unrolled: 1-line block ×4, first 2 shown]
	v_pack_b32_f16 v3, v3, v4
	v_pack_b32_f16 v2, v2, v5
	global_store_dwordx2 v[0:1], v[2:3], off
.LBB3_4:
	s_endpgm
	.section	.rodata,"a",@progbits
	.p2align	6, 0x0
	.amdhsa_kernel _ZN12tensorrt_llm7kernels21fusedQKNormRopeKernelIN3c104HalfEfLi128ELb0EEEvPviiifPKvS6_S6_PKlii
		.amdhsa_group_segment_fixed_size 0
		.amdhsa_private_segment_fixed_size 0
		.amdhsa_kernarg_size 320
		.amdhsa_user_sgpr_count 6
		.amdhsa_user_sgpr_private_segment_buffer 1
		.amdhsa_user_sgpr_dispatch_ptr 0
		.amdhsa_user_sgpr_queue_ptr 0
		.amdhsa_user_sgpr_kernarg_segment_ptr 1
		.amdhsa_user_sgpr_dispatch_id 0
		.amdhsa_user_sgpr_flat_scratch_init 0
		.amdhsa_user_sgpr_kernarg_preload_length 0
		.amdhsa_user_sgpr_kernarg_preload_offset 0
		.amdhsa_user_sgpr_private_segment_size 0
		.amdhsa_uses_dynamic_stack 0
		.amdhsa_system_sgpr_private_segment_wavefront_offset 0
		.amdhsa_system_sgpr_workgroup_id_x 1
		.amdhsa_system_sgpr_workgroup_id_y 0
		.amdhsa_system_sgpr_workgroup_id_z 0
		.amdhsa_system_sgpr_workgroup_info 0
		.amdhsa_system_vgpr_workitem_id 0
		.amdhsa_next_free_vgpr 34
		.amdhsa_next_free_sgpr 14
		.amdhsa_accum_offset 36
		.amdhsa_reserve_vcc 1
		.amdhsa_reserve_flat_scratch 0
		.amdhsa_float_round_mode_32 0
		.amdhsa_float_round_mode_16_64 0
		.amdhsa_float_denorm_mode_32 3
		.amdhsa_float_denorm_mode_16_64 3
		.amdhsa_dx10_clamp 1
		.amdhsa_ieee_mode 1
		.amdhsa_fp16_overflow 0
		.amdhsa_tg_split 0
		.amdhsa_exception_fp_ieee_invalid_op 0
		.amdhsa_exception_fp_denorm_src 0
		.amdhsa_exception_fp_ieee_div_zero 0
		.amdhsa_exception_fp_ieee_overflow 0
		.amdhsa_exception_fp_ieee_underflow 0
		.amdhsa_exception_fp_ieee_inexact 0
		.amdhsa_exception_int_div_zero 0
	.end_amdhsa_kernel
	.section	.text._ZN12tensorrt_llm7kernels21fusedQKNormRopeKernelIN3c104HalfEfLi128ELb0EEEvPviiifPKvS6_S6_PKlii,"axG",@progbits,_ZN12tensorrt_llm7kernels21fusedQKNormRopeKernelIN3c104HalfEfLi128ELb0EEEvPviiifPKvS6_S6_PKlii,comdat
.Lfunc_end3:
	.size	_ZN12tensorrt_llm7kernels21fusedQKNormRopeKernelIN3c104HalfEfLi128ELb0EEEvPviiifPKvS6_S6_PKlii, .Lfunc_end3-_ZN12tensorrt_llm7kernels21fusedQKNormRopeKernelIN3c104HalfEfLi128ELb0EEEvPviiifPKvS6_S6_PKlii
                                        ; -- End function
	.section	.AMDGPU.csdata,"",@progbits
; Kernel info:
; codeLenInByte = 1520
; NumSgprs: 18
; NumVgprs: 34
; NumAgprs: 0
; TotalNumVgprs: 34
; ScratchSize: 0
; MemoryBound: 0
; FloatMode: 240
; IeeeMode: 1
; LDSByteSize: 0 bytes/workgroup (compile time only)
; SGPRBlocks: 2
; VGPRBlocks: 4
; NumSGPRsForWavesPerEU: 18
; NumVGPRsForWavesPerEU: 34
; AccumOffset: 36
; Occupancy: 8
; WaveLimiterHint : 1
; COMPUTE_PGM_RSRC2:SCRATCH_EN: 0
; COMPUTE_PGM_RSRC2:USER_SGPR: 6
; COMPUTE_PGM_RSRC2:TRAP_HANDLER: 0
; COMPUTE_PGM_RSRC2:TGID_X_EN: 1
; COMPUTE_PGM_RSRC2:TGID_Y_EN: 0
; COMPUTE_PGM_RSRC2:TGID_Z_EN: 0
; COMPUTE_PGM_RSRC2:TIDIG_COMP_CNT: 0
; COMPUTE_PGM_RSRC3_GFX90A:ACCUM_OFFSET: 8
; COMPUTE_PGM_RSRC3_GFX90A:TG_SPLIT: 0
	.section	.text._ZN12tensorrt_llm7kernels21fusedQKNormRopeKernelIN3c104HalfEfLi256ELb1EEEvPviiifPKvS6_S6_PKlii,"axG",@progbits,_ZN12tensorrt_llm7kernels21fusedQKNormRopeKernelIN3c104HalfEfLi256ELb1EEEvPviiifPKvS6_S6_PKlii,comdat
	.protected	_ZN12tensorrt_llm7kernels21fusedQKNormRopeKernelIN3c104HalfEfLi256ELb1EEEvPviiifPKvS6_S6_PKlii ; -- Begin function _ZN12tensorrt_llm7kernels21fusedQKNormRopeKernelIN3c104HalfEfLi256ELb1EEEvPviiifPKvS6_S6_PKlii
	.globl	_ZN12tensorrt_llm7kernels21fusedQKNormRopeKernelIN3c104HalfEfLi256ELb1EEEvPviiifPKvS6_S6_PKlii
	.p2align	8
	.type	_ZN12tensorrt_llm7kernels21fusedQKNormRopeKernelIN3c104HalfEfLi256ELb1EEEvPviiifPKvS6_S6_PKlii,@function
_ZN12tensorrt_llm7kernels21fusedQKNormRopeKernelIN3c104HalfEfLi256ELb1EEEvPviiifPKvS6_S6_PKlii: ; @_ZN12tensorrt_llm7kernels21fusedQKNormRopeKernelIN3c104HalfEfLi256ELb1EEEvPviiifPKvS6_S6_PKlii
; %bb.0:
	s_load_dwordx4 s[8:11], s[4:5], 0x8
	s_load_dwordx2 s[12:13], s[4:5], 0x38
	s_load_dword s1, s[4:5], 0x4c
	v_lshrrev_b32_e32 v2, 5, v0
	s_waitcnt lgkmcnt(0)
	s_add_i32 s0, s9, s8
	s_abs_i32 s2, s0
	v_cvt_f32_u32_e32 v1, s2
	s_bfe_u32 s1, s1, 0xb0005
	s_mul_i32 s6, s6, s1
	s_sub_i32 s1, 0, s2
	v_rcp_iflag_f32_e32 v3, v1
	v_add_u32_e32 v1, s6, v2
	v_sub_u32_e32 v4, 0, v1
	v_max_i32_e32 v4, v1, v4
	v_mul_f32_e32 v3, 0x4f7ffffe, v3
	v_cvt_u32_f32_e32 v3, v3
	v_xor_b32_e32 v2, s0, v1
	v_ashrrev_i32_e32 v2, 31, v2
	v_mul_lo_u32 v5, s1, v3
	v_mul_hi_u32 v5, v3, v5
	v_add_u32_e32 v3, v3, v5
	v_mul_hi_u32 v3, v4, v3
	v_mul_lo_u32 v5, v3, s2
	v_sub_u32_e32 v4, v4, v5
	v_add_u32_e32 v5, 1, v3
	v_cmp_le_u32_e32 vcc, s2, v4
	v_cndmask_b32_e32 v3, v3, v5, vcc
	v_subrev_u32_e32 v5, s2, v4
	v_cndmask_b32_e32 v4, v4, v5, vcc
	v_add_u32_e32 v5, 1, v3
	v_cmp_le_u32_e32 vcc, s2, v4
	v_cndmask_b32_e32 v3, v3, v5, vcc
	v_xor_b32_e32 v3, v3, v2
	v_sub_u32_e32 v10, v3, v2
	v_cmp_gt_i32_e32 vcc, s12, v10
	s_and_saveexec_b64 s[2:3], vcc
	s_cbranch_execz .LBB4_4
; %bb.1:
	v_and_b32_e32 v11, 31, v0
	v_mul_lo_u32 v0, v10, s0
	v_sub_u32_e32 v0, v1, v0
	v_mov_b32_e32 v1, s8
	v_cmp_gt_i32_e32 vcc, s8, v0
	v_cndmask_b32_e64 v1, v1, 0, vcc
	s_add_i32 s0, s0, s10
	s_load_dwordx2 s[2:3], s[4:5], 0x0
	v_sub_u32_e32 v0, v0, v1
	v_mul_lo_u32 v2, v10, s0
	v_add3_u32 v0, v2, v1, v0
	v_lshlrev_b32_e32 v1, 3, v11
	v_lshl_or_b32 v0, v0, 8, v1
	v_ashrrev_i32_e32 v1, 31, v0
	v_lshlrev_b64 v[0:1], 1, v[0:1]
	s_waitcnt lgkmcnt(0)
	v_mov_b32_e32 v2, s3
	v_add_co_u32_e64 v8, s[0:1], s2, v0
	v_addc_co_u32_e64 v9, s[0:1], v2, v1, s[0:1]
	global_load_dwordx4 v[4:7], v[8:9], off
	s_load_dwordx8 s[0:7], s[4:5], 0x18
	v_lshlrev_b32_e32 v12, 4, v11
	v_mbcnt_lo_u32_b32 v13, -1, 0
	v_mbcnt_hi_u32_b32 v13, -1, v13
	v_and_b32_e32 v14, 0x60, v13
	s_waitcnt lgkmcnt(0)
	v_mov_b32_e32 v0, s3
	v_mov_b32_e32 v1, s1
	;; [unrolled: 1-line block ×4, first 2 shown]
	v_cndmask_b32_e32 v1, v0, v1, vcc
	v_cndmask_b32_e32 v0, v2, v3, vcc
	v_add_co_u32_e32 v0, vcc, v0, v12
	v_addc_co_u32_e32 v1, vcc, 0, v1, vcc
	global_load_dwordx4 v[0:3], v[0:1], off
	v_xor_b32_e32 v15, 16, v13
	v_add_u32_e32 v30, 32, v14
	v_cmp_lt_i32_e32 vcc, v15, v30
	v_cndmask_b32_e32 v14, v13, v15, vcc
	v_lshlrev_b32_e32 v31, 2, v14
	v_xor_b32_e32 v27, 8, v13
	v_cmp_lt_i32_e32 vcc, v27, v30
	v_xor_b32_e32 v28, 4, v13
	v_xor_b32_e32 v29, 2, v13
	v_mov_b32_e32 v26, s11
	s_mov_b32 s0, 0x800000
	s_ashr_i32 s2, s13, 31
	s_lshr_b32 s1, s2, 29
	s_add_i32 s1, s13, s1
	s_ashr_i32 s1, s1, 3
	s_waitcnt vmcnt(1)
	v_cvt_f32_f16_e32 v16, v4
	v_cvt_f32_f16_sdwa v17, v4 dst_sel:DWORD dst_unused:UNUSED_PAD src0_sel:WORD_1
	v_cvt_f32_f16_e32 v4, v5
	v_cvt_f32_f16_sdwa v5, v5 dst_sel:DWORD dst_unused:UNUSED_PAD src0_sel:WORD_1
	;; [unrolled: 2-line block ×3, first 2 shown]
	v_pk_mul_f32 v[20:21], v[16:17], v[16:17]
	v_cvt_f32_f16_e32 v14, v7
	v_cvt_f32_f16_sdwa v15, v7 dst_sel:DWORD dst_unused:UNUSED_PAD src0_sel:WORD_1
	v_pk_mul_f32 v[22:23], v[4:5], v[4:5]
	v_add_f32_e32 v20, v20, v21
	v_add_f32_e32 v20, v20, v22
	v_pk_mul_f32 v[24:25], v[18:19], v[18:19]
	v_add_f32_e32 v20, v20, v23
	v_add_f32_e32 v20, v20, v24
	;; [unrolled: 3-line block ×3, first 2 shown]
	v_add_f32_e32 v6, v6, v7
	ds_bpermute_b32 v7, v31, v6
	v_cndmask_b32_e32 v21, v13, v27, vcc
	v_lshlrev_b32_e32 v21, 2, v21
	v_cmp_lt_i32_e32 vcc, v28, v30
	v_xor_b32_e32 v20, 1, v13
	s_waitcnt lgkmcnt(0)
	v_add_f32_e32 v6, v6, v7
	ds_bpermute_b32 v7, v21, v6
	v_cndmask_b32_e32 v21, v13, v28, vcc
	v_lshlrev_b32_e32 v21, 2, v21
	v_cmp_lt_i32_e32 vcc, v29, v30
	s_waitcnt lgkmcnt(0)
	v_add_f32_e32 v6, v6, v7
	ds_bpermute_b32 v7, v21, v6
	v_cndmask_b32_e32 v21, v13, v29, vcc
	v_lshlrev_b32_e32 v21, 2, v21
	v_cmp_lt_i32_e32 vcc, v20, v30
	s_waitcnt lgkmcnt(0)
	v_add_f32_e32 v7, v6, v7
	ds_bpermute_b32 v21, v21, v7
	v_cndmask_b32_e32 v6, v13, v20, vcc
	v_lshlrev_b32_e32 v13, 2, v6
	s_waitcnt vmcnt(0)
	v_cvt_f32_f16_e32 v6, v0
	v_cvt_f32_f16_e32 v20, v2
	s_waitcnt lgkmcnt(0)
	v_add_f32_e32 v21, v7, v21
	ds_bpermute_b32 v13, v13, v21
	v_cvt_f32_f16_sdwa v7, v0 dst_sel:DWORD dst_unused:UNUSED_PAD src0_sel:WORD_1
	v_cvt_f32_f16_e32 v0, v1
	v_cvt_f32_f16_sdwa v1, v1 dst_sel:DWORD dst_unused:UNUSED_PAD src0_sel:WORD_1
	s_waitcnt lgkmcnt(0)
	v_add_f32_e32 v13, v21, v13
	v_fmac_f32_e32 v26, 0x3b800000, v13
	v_mul_f32_e32 v13, 0x4b800000, v26
	v_cmp_gt_f32_e32 vcc, s0, v26
	v_cndmask_b32_e32 v13, v26, v13, vcc
	v_rsq_f32_e32 v13, v13
	v_cvt_f32_f16_sdwa v21, v2 dst_sel:DWORD dst_unused:UNUSED_PAD src0_sel:WORD_1
	v_cvt_f32_f16_e32 v2, v3
	v_cvt_f32_f16_sdwa v3, v3 dst_sel:DWORD dst_unused:UNUSED_PAD src0_sel:WORD_1
	v_mul_f32_e32 v22, 0x45800000, v13
	v_cndmask_b32_e32 v22, v13, v22, vcc
	v_pk_mul_f32 v[6:7], v[22:23], v[6:7] op_sel_hi:[0,1]
	v_pk_mul_f32 v[24:25], v[22:23], v[0:1] op_sel_hi:[0,1]
	;; [unrolled: 1-line block ×4, first 2 shown]
	v_pk_mul_f32 v[0:1], v[6:7], v[16:17]
	v_pk_mul_f32 v[2:3], v[24:25], v[4:5]
	;; [unrolled: 1-line block ×4, first 2 shown]
	v_cmp_gt_i32_e32 vcc, s1, v11
	s_and_saveexec_b64 s[0:1], vcc
	s_cbranch_execz .LBB4_3
; %bb.2:
	v_ashrrev_i32_e32 v11, 31, v10
	v_lshlrev_b64 v[10:11], 3, v[10:11]
	v_mov_b32_e32 v13, s7
	v_add_co_u32_e32 v10, vcc, s6, v10
	v_addc_co_u32_e32 v11, vcc, v13, v11, vcc
	global_load_dwordx2 v[10:11], v[10:11], off
	s_lshr_b32 s3, s13, 31
	s_add_i32 s3, s13, s3
	s_ashr_i32 s6, s3, 1
	v_mov_b32_e32 v13, s5
	s_ashr_i32 s7, s6, 31
	s_lshl_b64 s[6:7], s[6:7], 2
	v_mov_b32_e32 v14, s7
	s_waitcnt vmcnt(0)
	v_mul_lo_u32 v15, v11, s13
	v_mul_lo_u32 v16, v10, s2
	v_mad_u64_u32 v[10:11], s[2:3], v10, s13, 0
	v_add3_u32 v11, v11, v16, v15
	v_lshlrev_b64 v[10:11], 2, v[10:11]
	v_add_co_u32_e32 v10, vcc, s4, v10
	v_addc_co_u32_e32 v11, vcc, v13, v11, vcc
	v_add_co_u32_e32 v18, vcc, v10, v12
	v_addc_co_u32_e32 v19, vcc, 0, v11, vcc
	;; [unrolled: 2-line block ×3, first 2 shown]
	global_load_dwordx4 v[10:13], v[18:19], off
	global_load_dwordx4 v[14:17], v[20:21], off
	s_waitcnt vmcnt(1)
	v_pk_mul_f32 v[18:19], v[0:1], v[10:11] op_sel_hi:[1,0]
	s_waitcnt vmcnt(0)
	v_pk_mul_f32 v[20:21], v[0:1], v[14:15] op_sel_hi:[1,0]
	v_pk_mul_f32 v[14:15], v[2:3], v[14:15] op_sel:[0,1]
	v_pk_mul_f32 v[22:23], v[4:5], v[16:17] op_sel_hi:[1,0]
	v_pk_fma_f32 v[0:1], v[0:1], v[10:11], v[20:21] op_sel:[0,0,1] op_sel_hi:[1,0,0]
	v_pk_fma_f32 v[24:25], v[2:3], v[10:11], v[14:15] op_sel:[0,1,1] op_sel_hi:[1,1,0] neg_lo:[0,0,1] neg_hi:[0,0,1]
	v_pk_fma_f32 v[2:3], v[2:3], v[10:11], v[14:15] op_sel:[0,1,1] op_sel_hi:[1,1,0]
	v_pk_fma_f32 v[10:11], v[4:5], v[12:13], v[22:23] op_sel:[0,0,1] op_sel_hi:[1,0,0] neg_lo:[0,0,1] neg_hi:[0,0,1]
	v_pk_fma_f32 v[4:5], v[4:5], v[12:13], v[22:23] op_sel:[0,0,1] op_sel_hi:[1,0,0]
	v_mov_b32_e32 v12, v17
	v_pk_mul_f32 v[14:15], v[6:7], v[12:13]
	v_mul_f32_e32 v16, v7, v17
	v_mov_b32_e32 v4, v10
	v_mov_b32_e32 v10, v15
	v_fma_f32 v16, v6, v13, -v16
	v_pk_fma_f32 v[10:11], v[6:7], v[12:13], v[10:11]
	v_sub_f32_e32 v0, v18, v21
	v_mov_b32_e32 v2, v24
	v_mov_b32_e32 v6, v16
	;; [unrolled: 1-line block ×3, first 2 shown]
.LBB4_3:
	s_or_b64 exec, exec, s[0:1]
	v_cvt_f16_f32_e32 v0, v0
	v_cvt_f16_f32_e32 v10, v2
	;; [unrolled: 1-line block ×8, first 2 shown]
	v_pack_b32_f16 v3, v4, v6
	v_pack_b32_f16 v2, v2, v5
	;; [unrolled: 1-line block ×4, first 2 shown]
	global_store_dwordx4 v[8:9], v[0:3], off
.LBB4_4:
	s_endpgm
	.section	.rodata,"a",@progbits
	.p2align	6, 0x0
	.amdhsa_kernel _ZN12tensorrt_llm7kernels21fusedQKNormRopeKernelIN3c104HalfEfLi256ELb1EEEvPviiifPKvS6_S6_PKlii
		.amdhsa_group_segment_fixed_size 0
		.amdhsa_private_segment_fixed_size 0
		.amdhsa_kernarg_size 320
		.amdhsa_user_sgpr_count 6
		.amdhsa_user_sgpr_private_segment_buffer 1
		.amdhsa_user_sgpr_dispatch_ptr 0
		.amdhsa_user_sgpr_queue_ptr 0
		.amdhsa_user_sgpr_kernarg_segment_ptr 1
		.amdhsa_user_sgpr_dispatch_id 0
		.amdhsa_user_sgpr_flat_scratch_init 0
		.amdhsa_user_sgpr_kernarg_preload_length 0
		.amdhsa_user_sgpr_kernarg_preload_offset 0
		.amdhsa_user_sgpr_private_segment_size 0
		.amdhsa_uses_dynamic_stack 0
		.amdhsa_system_sgpr_private_segment_wavefront_offset 0
		.amdhsa_system_sgpr_workgroup_id_x 1
		.amdhsa_system_sgpr_workgroup_id_y 0
		.amdhsa_system_sgpr_workgroup_id_z 0
		.amdhsa_system_sgpr_workgroup_info 0
		.amdhsa_system_vgpr_workitem_id 0
		.amdhsa_next_free_vgpr 32
		.amdhsa_next_free_sgpr 14
		.amdhsa_accum_offset 32
		.amdhsa_reserve_vcc 1
		.amdhsa_reserve_flat_scratch 0
		.amdhsa_float_round_mode_32 0
		.amdhsa_float_round_mode_16_64 0
		.amdhsa_float_denorm_mode_32 3
		.amdhsa_float_denorm_mode_16_64 3
		.amdhsa_dx10_clamp 1
		.amdhsa_ieee_mode 1
		.amdhsa_fp16_overflow 0
		.amdhsa_tg_split 0
		.amdhsa_exception_fp_ieee_invalid_op 0
		.amdhsa_exception_fp_denorm_src 0
		.amdhsa_exception_fp_ieee_div_zero 0
		.amdhsa_exception_fp_ieee_overflow 0
		.amdhsa_exception_fp_ieee_underflow 0
		.amdhsa_exception_fp_ieee_inexact 0
		.amdhsa_exception_int_div_zero 0
	.end_amdhsa_kernel
	.section	.text._ZN12tensorrt_llm7kernels21fusedQKNormRopeKernelIN3c104HalfEfLi256ELb1EEEvPviiifPKvS6_S6_PKlii,"axG",@progbits,_ZN12tensorrt_llm7kernels21fusedQKNormRopeKernelIN3c104HalfEfLi256ELb1EEEvPviiifPKvS6_S6_PKlii,comdat
.Lfunc_end4:
	.size	_ZN12tensorrt_llm7kernels21fusedQKNormRopeKernelIN3c104HalfEfLi256ELb1EEEvPviiifPKvS6_S6_PKlii, .Lfunc_end4-_ZN12tensorrt_llm7kernels21fusedQKNormRopeKernelIN3c104HalfEfLi256ELb1EEEvPviiifPKvS6_S6_PKlii
                                        ; -- End function
	.section	.AMDGPU.csdata,"",@progbits
; Kernel info:
; codeLenInByte = 1220
; NumSgprs: 18
; NumVgprs: 32
; NumAgprs: 0
; TotalNumVgprs: 32
; ScratchSize: 0
; MemoryBound: 0
; FloatMode: 240
; IeeeMode: 1
; LDSByteSize: 0 bytes/workgroup (compile time only)
; SGPRBlocks: 2
; VGPRBlocks: 3
; NumSGPRsForWavesPerEU: 18
; NumVGPRsForWavesPerEU: 32
; AccumOffset: 32
; Occupancy: 8
; WaveLimiterHint : 1
; COMPUTE_PGM_RSRC2:SCRATCH_EN: 0
; COMPUTE_PGM_RSRC2:USER_SGPR: 6
; COMPUTE_PGM_RSRC2:TRAP_HANDLER: 0
; COMPUTE_PGM_RSRC2:TGID_X_EN: 1
; COMPUTE_PGM_RSRC2:TGID_Y_EN: 0
; COMPUTE_PGM_RSRC2:TGID_Z_EN: 0
; COMPUTE_PGM_RSRC2:TIDIG_COMP_CNT: 0
; COMPUTE_PGM_RSRC3_GFX90A:ACCUM_OFFSET: 7
; COMPUTE_PGM_RSRC3_GFX90A:TG_SPLIT: 0
	.section	.text._ZN12tensorrt_llm7kernels21fusedQKNormRopeKernelIN3c104HalfEfLi256ELb0EEEvPviiifPKvS6_S6_PKlii,"axG",@progbits,_ZN12tensorrt_llm7kernels21fusedQKNormRopeKernelIN3c104HalfEfLi256ELb0EEEvPviiifPKvS6_S6_PKlii,comdat
	.protected	_ZN12tensorrt_llm7kernels21fusedQKNormRopeKernelIN3c104HalfEfLi256ELb0EEEvPviiifPKvS6_S6_PKlii ; -- Begin function _ZN12tensorrt_llm7kernels21fusedQKNormRopeKernelIN3c104HalfEfLi256ELb0EEEvPviiifPKvS6_S6_PKlii
	.globl	_ZN12tensorrt_llm7kernels21fusedQKNormRopeKernelIN3c104HalfEfLi256ELb0EEEvPviiifPKvS6_S6_PKlii
	.p2align	8
	.type	_ZN12tensorrt_llm7kernels21fusedQKNormRopeKernelIN3c104HalfEfLi256ELb0EEEvPviiifPKvS6_S6_PKlii,@function
_ZN12tensorrt_llm7kernels21fusedQKNormRopeKernelIN3c104HalfEfLi256ELb0EEEvPviiifPKvS6_S6_PKlii: ; @_ZN12tensorrt_llm7kernels21fusedQKNormRopeKernelIN3c104HalfEfLi256ELb0EEEvPviiifPKvS6_S6_PKlii
; %bb.0:
	s_load_dwordx4 s[8:11], s[4:5], 0x8
	s_load_dwordx2 s[12:13], s[4:5], 0x38
	s_load_dword s1, s[4:5], 0x4c
	v_lshrrev_b32_e32 v2, 5, v0
	s_waitcnt lgkmcnt(0)
	s_add_i32 s0, s9, s8
	s_abs_i32 s2, s0
	v_cvt_f32_u32_e32 v1, s2
	s_bfe_u32 s1, s1, 0xb0005
	s_mul_i32 s6, s6, s1
	s_sub_i32 s1, 0, s2
	v_rcp_iflag_f32_e32 v3, v1
	v_add_u32_e32 v1, s6, v2
	v_sub_u32_e32 v4, 0, v1
	v_max_i32_e32 v4, v1, v4
	v_mul_f32_e32 v3, 0x4f7ffffe, v3
	v_cvt_u32_f32_e32 v3, v3
	v_xor_b32_e32 v2, s0, v1
	v_ashrrev_i32_e32 v2, 31, v2
	v_mul_lo_u32 v5, s1, v3
	v_mul_hi_u32 v5, v3, v5
	v_add_u32_e32 v3, v3, v5
	v_mul_hi_u32 v3, v4, v3
	v_mul_lo_u32 v5, v3, s2
	v_sub_u32_e32 v4, v4, v5
	v_add_u32_e32 v5, 1, v3
	v_cmp_le_u32_e32 vcc, s2, v4
	v_cndmask_b32_e32 v3, v3, v5, vcc
	v_subrev_u32_e32 v5, s2, v4
	v_cndmask_b32_e32 v4, v4, v5, vcc
	v_add_u32_e32 v5, 1, v3
	v_cmp_le_u32_e32 vcc, s2, v4
	v_cndmask_b32_e32 v3, v3, v5, vcc
	v_xor_b32_e32 v3, v3, v2
	v_sub_u32_e32 v6, v3, v2
	v_cmp_gt_i32_e32 vcc, s12, v6
	s_and_saveexec_b64 s[2:3], vcc
	s_cbranch_execz .LBB5_4
; %bb.1:
	v_and_b32_e32 v8, 31, v0
	v_mul_lo_u32 v0, v6, s0
	v_sub_u32_e32 v0, v1, v0
	v_mov_b32_e32 v1, s8
	v_cmp_gt_i32_e32 vcc, s8, v0
	v_cndmask_b32_e64 v1, v1, 0, vcc
	s_add_i32 s0, s0, s10
	s_load_dwordx2 s[2:3], s[4:5], 0x0
	v_sub_u32_e32 v0, v0, v1
	v_mul_lo_u32 v2, v6, s0
	v_add3_u32 v0, v2, v1, v0
	v_lshlrev_b32_e32 v1, 3, v8
	v_lshl_or_b32 v0, v0, 8, v1
	v_ashrrev_i32_e32 v1, 31, v0
	v_lshlrev_b64 v[0:1], 1, v[0:1]
	s_waitcnt lgkmcnt(0)
	v_mov_b32_e32 v2, s3
	v_add_co_u32_e64 v4, s[0:1], s2, v0
	v_addc_co_u32_e64 v5, s[0:1], v2, v1, s[0:1]
	global_load_dwordx4 v[0:3], v[4:5], off
	s_load_dwordx8 s[0:7], s[4:5], 0x18
	v_lshlrev_b32_e32 v9, 4, v8
	s_waitcnt lgkmcnt(0)
	v_mov_b32_e32 v7, s3
	v_mov_b32_e32 v10, s1
	;; [unrolled: 1-line block ×4, first 2 shown]
	v_cndmask_b32_e32 v7, v7, v10, vcc
	v_cndmask_b32_e32 v10, v11, v12, vcc
	v_add_co_u32_e32 v10, vcc, v10, v9
	v_addc_co_u32_e32 v11, vcc, 0, v7, vcc
	global_load_dwordx4 v[12:15], v[10:11], off
	v_mbcnt_lo_u32_b32 v7, -1, 0
	v_mbcnt_hi_u32_b32 v10, -1, v7
	v_and_b32_e32 v7, 0x60, v10
	v_xor_b32_e32 v16, 16, v10
	v_add_u32_e32 v7, 32, v7
	v_cmp_lt_i32_e32 vcc, v16, v7
	v_cndmask_b32_e32 v16, v10, v16, vcc
	v_lshlrev_b32_e32 v29, 2, v16
	v_xor_b32_e32 v26, 8, v10
	v_cmp_lt_i32_e32 vcc, v26, v7
	v_xor_b32_e32 v27, 4, v10
	v_xor_b32_e32 v28, 2, v10
	v_mov_b32_e32 v11, s11
	s_mov_b32 s0, 0x800000
	s_ashr_i32 s2, s13, 31
	s_lshr_b32 s1, s2, 29
	s_add_i32 s1, s13, s1
	s_ashr_i32 s1, s1, 3
	s_waitcnt vmcnt(1)
	v_cvt_f32_f16_sdwa v30, v0 dst_sel:DWORD dst_unused:UNUSED_PAD src0_sel:WORD_1
	v_cvt_f32_f16_e32 v20, v1
	v_cvt_f32_f16_sdwa v21, v1 dst_sel:DWORD dst_unused:UNUSED_PAD src0_sel:WORD_1
	v_cvt_f32_f16_e32 v22, v2
	v_cvt_f32_f16_sdwa v23, v2 dst_sel:DWORD dst_unused:UNUSED_PAD src0_sel:WORD_1
	v_mul_f32_e32 v1, v30, v30
	v_cvt_f32_f16_e32 v2, v3
	v_cvt_f32_f16_sdwa v3, v3 dst_sel:DWORD dst_unused:UNUSED_PAD src0_sel:WORD_1
	v_pk_mul_f32 v[16:17], v[20:21], v[20:21]
	v_fma_mix_f32 v1, v0, v0, v1 op_sel_hi:[1,1,0]
	v_add_f32_e32 v1, v1, v16
	v_pk_mul_f32 v[18:19], v[22:23], v[22:23]
	v_add_f32_e32 v1, v1, v17
	v_add_f32_e32 v1, v1, v18
	v_pk_mul_f32 v[24:25], v[2:3], v[2:3]
	v_add_f32_e32 v1, v1, v19
	v_add_f32_e32 v1, v1, v24
	;; [unrolled: 1-line block ×3, first 2 shown]
	ds_bpermute_b32 v16, v29, v1
	v_cndmask_b32_e32 v18, v10, v26, vcc
	v_lshlrev_b32_e32 v18, 2, v18
	v_cmp_lt_i32_e32 vcc, v27, v7
	v_xor_b32_e32 v17, 1, v10
	s_waitcnt lgkmcnt(0)
	v_add_f32_e32 v1, v1, v16
	ds_bpermute_b32 v16, v18, v1
	v_cndmask_b32_e32 v18, v10, v27, vcc
	v_lshlrev_b32_e32 v18, 2, v18
	v_cmp_lt_i32_e32 vcc, v28, v7
	v_cvt_f32_f16_e32 v0, v0
	s_waitcnt lgkmcnt(0)
	v_add_f32_e32 v1, v1, v16
	ds_bpermute_b32 v16, v18, v1
	v_cndmask_b32_e32 v18, v10, v28, vcc
	v_lshlrev_b32_e32 v18, 2, v18
	v_cmp_lt_i32_e32 vcc, v17, v7
	v_cndmask_b32_e32 v7, v10, v17, vcc
	s_waitcnt lgkmcnt(0)
	v_add_f32_e32 v1, v1, v16
	ds_bpermute_b32 v16, v18, v1
	v_lshlrev_b32_e32 v7, 2, v7
	s_waitcnt vmcnt(0)
	v_cvt_f32_f16_e32 v17, v12
	v_cvt_f32_f16_sdwa v12, v12 dst_sel:DWORD dst_unused:UNUSED_PAD src0_sel:WORD_1
	v_cvt_f32_f16_e32 v18, v14
	s_waitcnt lgkmcnt(0)
	v_add_f32_e32 v1, v1, v16
	ds_bpermute_b32 v7, v7, v1
	v_cvt_f32_f16_e32 v16, v13
	v_cvt_f32_f16_sdwa v13, v13 dst_sel:DWORD dst_unused:UNUSED_PAD src0_sel:WORD_1
	v_cvt_f32_f16_sdwa v14, v14 dst_sel:DWORD dst_unused:UNUSED_PAD src0_sel:WORD_1
	s_waitcnt lgkmcnt(0)
	v_add_f32_e32 v1, v1, v7
	v_fmac_f32_e32 v11, 0x3b800000, v1
	v_mul_f32_e32 v1, 0x4b800000, v11
	v_cmp_gt_f32_e32 vcc, s0, v11
	v_cndmask_b32_e32 v1, v11, v1, vcc
	v_rsq_f32_e32 v1, v1
	v_cvt_f32_f16_e32 v7, v15
	v_cvt_f32_f16_sdwa v11, v15 dst_sel:DWORD dst_unused:UNUSED_PAD src0_sel:WORD_1
	v_mul_f32_e32 v15, 0x45800000, v1
	v_cndmask_b32_e32 v1, v1, v15, vcc
	v_mul_f32_e32 v15, v1, v17
	v_mul_f32_e32 v12, v1, v12
	;; [unrolled: 1-line block ×16, first 2 shown]
	v_cmp_gt_i32_e32 vcc, s1, v8
	s_and_saveexec_b64 s[0:1], vcc
	s_cbranch_execz .LBB5_3
; %bb.2:
	v_ashrrev_i32_e32 v7, 31, v6
	v_lshlrev_b64 v[0:1], 3, v[6:7]
	v_mov_b32_e32 v2, s7
	v_add_co_u32_e32 v0, vcc, s6, v0
	v_addc_co_u32_e32 v1, vcc, v2, v1, vcc
	global_load_dwordx2 v[2:3], v[0:1], off
	s_abs_i32 s3, s13
	v_cvt_f32_u32_e32 v6, s3
	s_sub_i32 s8, 0, s3
	v_or_b32_e32 v0, 2, v9
	v_or_b32_e32 v7, 4, v9
	v_rcp_iflag_f32_e32 v6, v6
	v_mov_b32_e32 v1, 0
	v_mov_b32_e32 v19, s5
	s_lshr_b32 s5, s13, 31
	v_mul_f32_e32 v6, 0x4f7ffffe, v6
	v_cvt_u32_f32_e32 v6, v6
	s_add_i32 s5, s13, s5
	s_ashr_i32 s6, s5, 1
	s_ashr_i32 s7, s6, 31
	v_mul_lo_u32 v20, s8, v6
	v_mul_hi_u32 v20, v6, v20
	v_add_u32_e32 v32, v6, v20
	v_mul_hi_u32 v6, v9, v32
	v_mul_hi_u32 v20, v0, v32
	v_mul_lo_u32 v6, v6, s3
	v_mul_hi_u32 v21, v7, v32
	v_mul_lo_u32 v20, v20, s3
	v_sub_u32_e32 v6, v9, v6
	v_mul_lo_u32 v21, v21, s3
	v_sub_u32_e32 v0, v0, v20
	v_subrev_u32_e32 v20, s3, v6
	v_cmp_le_u32_e32 vcc, s3, v6
	v_sub_u32_e32 v7, v7, v21
	v_subrev_u32_e32 v21, s3, v0
	v_cndmask_b32_e32 v6, v6, v20, vcc
	v_cmp_le_u32_e32 vcc, s3, v0
	v_subrev_u32_e32 v23, s3, v7
	v_cndmask_b32_e32 v0, v0, v21, vcc
	v_cmp_le_u32_e32 vcc, s3, v7
	v_cndmask_b32_e32 v24, v7, v23, vcc
	v_subrev_u32_e32 v7, s3, v6
	v_cmp_le_u32_e32 vcc, s3, v6
	v_subrev_u32_e32 v20, s3, v0
	v_cndmask_b32_e32 v6, v6, v7, vcc
	v_cmp_le_u32_e32 vcc, s3, v0
	v_cndmask_b32_e32 v20, v0, v20, vcc
	v_lshrrev_b32_e32 v0, 1, v6
	v_lshlrev_b64 v[6:7], 2, v[0:1]
	v_lshrrev_b32_e32 v0, 1, v20
	v_lshlrev_b64 v[20:21], 2, v[0:1]
	s_lshl_b64 s[6:7], s[6:7], 2
	v_mov_b32_e32 v22, s7
	v_subrev_u32_e32 v25, s3, v24
	; wave barrier
	s_waitcnt vmcnt(0)
	v_mul_lo_u32 v0, v3, s13
	v_mul_lo_u32 v23, v2, s2
	v_mad_u64_u32 v[2:3], s[8:9], v2, s13, 0
	v_add3_u32 v3, v3, v23, v0
	v_lshlrev_b64 v[2:3], 2, v[2:3]
	v_add_co_u32_e32 v33, vcc, s4, v2
	v_addc_co_u32_e32 v19, vcc, v19, v3, vcc
	v_add_co_u32_e32 v34, vcc, s6, v33
	v_addc_co_u32_e32 v35, vcc, v19, v22, vcc
	;; [unrolled: 2-line block ×6, first 2 shown]
	v_cmp_le_u32_e32 vcc, s3, v24
	v_cndmask_b32_e32 v0, v24, v25, vcc
	v_lshrrev_b32_e32 v0, 1, v0
	v_lshlrev_b64 v[24:25], 2, v[0:1]
	v_add_co_u32_e32 v26, vcc, v33, v24
	v_or_b32_e32 v0, 6, v9
	v_addc_co_u32_e32 v27, vcc, v19, v25, vcc
	v_mul_hi_u32 v28, v0, v32
	v_add_co_u32_e32 v24, vcc, v34, v24
	v_mul_lo_u32 v28, v28, s3
	v_addc_co_u32_e32 v25, vcc, v35, v25, vcc
	v_sub_u32_e32 v0, v0, v28
	v_subrev_u32_e32 v28, s3, v0
	v_cmp_le_u32_e32 vcc, s3, v0
	v_cndmask_b32_e32 v0, v0, v28, vcc
	v_subrev_u32_e32 v28, s3, v0
	v_cmp_le_u32_e32 vcc, s3, v0
	v_cndmask_b32_e32 v0, v0, v28, vcc
	v_lshrrev_b32_e32 v0, 1, v0
	v_lshlrev_b64 v[28:29], 2, v[0:1]
	v_add_co_u32_e32 v30, vcc, v33, v28
	v_addc_co_u32_e32 v31, vcc, v19, v29, vcc
	v_add_co_u32_e32 v28, vcc, v34, v28
	v_or_b32_e32 v0, 8, v9
	v_addc_co_u32_e32 v29, vcc, v35, v29, vcc
	global_load_dword v36, v[2:3], off
	global_load_dword v37, v[6:7], off
	;; [unrolled: 1-line block ×8, first 2 shown]
	v_mul_hi_u32 v2, v0, v32
	v_mul_lo_u32 v2, v2, s3
	v_sub_u32_e32 v0, v0, v2
	v_subrev_u32_e32 v2, s3, v0
	v_cmp_le_u32_e32 vcc, s3, v0
	v_cndmask_b32_e32 v0, v0, v2, vcc
	v_subrev_u32_e32 v2, s3, v0
	v_cmp_le_u32_e32 vcc, s3, v0
	v_cndmask_b32_e32 v0, v0, v2, vcc
	v_lshrrev_b32_e32 v0, 1, v0
	v_lshlrev_b64 v[2:3], 2, v[0:1]
	v_add_co_u32_e32 v6, vcc, v33, v2
	v_or_b32_e32 v0, 10, v9
	v_addc_co_u32_e32 v7, vcc, v19, v3, vcc
	v_mul_hi_u32 v20, v0, v32
	v_add_co_u32_e32 v2, vcc, v34, v2
	v_mul_lo_u32 v20, v20, s3
	v_addc_co_u32_e32 v3, vcc, v35, v3, vcc
	v_sub_u32_e32 v0, v0, v20
	v_subrev_u32_e32 v20, s3, v0
	v_cmp_le_u32_e32 vcc, s3, v0
	v_cndmask_b32_e32 v0, v0, v20, vcc
	v_subrev_u32_e32 v20, s3, v0
	v_cmp_le_u32_e32 vcc, s3, v0
	v_cndmask_b32_e32 v0, v0, v20, vcc
	v_lshrrev_b32_e32 v0, 1, v0
	v_lshlrev_b64 v[20:21], 2, v[0:1]
	v_add_co_u32_e32 v22, vcc, v33, v20
	v_or_b32_e32 v0, 12, v9
	v_addc_co_u32_e32 v23, vcc, v19, v21, vcc
	v_mul_hi_u32 v24, v0, v32
	v_add_co_u32_e32 v20, vcc, v34, v20
	v_mul_lo_u32 v24, v24, s3
	v_addc_co_u32_e32 v21, vcc, v35, v21, vcc
	v_sub_u32_e32 v0, v0, v24
	v_subrev_u32_e32 v24, s3, v0
	v_cmp_le_u32_e32 vcc, s3, v0
	v_cndmask_b32_e32 v0, v0, v24, vcc
	v_subrev_u32_e32 v24, s3, v0
	v_cmp_le_u32_e32 vcc, s3, v0
	v_cndmask_b32_e32 v0, v0, v24, vcc
	v_lshrrev_b32_e32 v0, 1, v0
	v_lshlrev_b64 v[24:25], 2, v[0:1]
	v_add_co_u32_e32 v26, vcc, v33, v24
	v_addc_co_u32_e32 v27, vcc, v19, v25, vcc
	v_add_co_u32_e32 v24, vcc, v34, v24
	v_or_b32_e32 v0, 14, v9
	v_addc_co_u32_e32 v25, vcc, v35, v25, vcc
	global_load_dword v28, v[6:7], off
	global_load_dword v29, v[2:3], off
	;; [unrolled: 1-line block ×6, first 2 shown]
	v_mul_hi_u32 v2, v0, v32
	v_mul_lo_u32 v2, v2, s3
	v_sub_u32_e32 v0, v0, v2
	v_subrev_u32_e32 v2, s3, v0
	v_cmp_le_u32_e32 vcc, s3, v0
	v_cndmask_b32_e32 v0, v0, v2, vcc
	v_subrev_u32_e32 v2, s3, v0
	v_cmp_le_u32_e32 vcc, s3, v0
	v_cndmask_b32_e32 v0, v0, v2, vcc
	v_lshrrev_b32_e32 v0, 1, v0
	v_lshlrev_b64 v[0:1], 2, v[0:1]
	v_add_co_u32_e32 v2, vcc, v33, v0
	v_addc_co_u32_e32 v3, vcc, v19, v1, vcc
	v_add_co_u32_e32 v0, vcc, v34, v0
	v_addc_co_u32_e32 v1, vcc, v35, v1, vcc
	global_load_dword v6, v[0:1], off
	global_load_dword v7, v[2:3], off
	s_lshr_b32 s2, s2, 28
	s_add_i32 s2, s13, s2
	s_ashr_i32 s2, s2, 4
	v_and_b32_e32 v1, 64, v10
	v_xor_b32_e32 v0, s2, v10
	v_add_u32_e32 v1, 64, v1
	v_cmp_lt_i32_e32 vcc, v0, v1
	v_cndmask_b32_e32 v0, v10, v0, vcc
	v_lshlrev_b32_e32 v0, 2, v0
	v_cmp_gt_i32_e32 vcc, s2, v8
	ds_bpermute_b32 v8, v0, v14
	ds_bpermute_b32 v10, v0, v12
	;; [unrolled: 1-line block ×5, first 2 shown]
	s_waitcnt lgkmcnt(4)
	v_cndmask_b32_e64 v8, v8, -v8, vcc
	s_waitcnt vmcnt(8)
	v_mul_f32_e32 v8, v8, v43
	ds_bpermute_b32 v9, v0, v16
	v_fmac_f32_e32 v8, v14, v42
	ds_bpermute_b32 v14, v0, v13
	ds_bpermute_b32 v0, v0, v11
	s_waitcnt lgkmcnt(6)
	v_cndmask_b32_e64 v10, v10, -v10, vcc
	s_waitcnt lgkmcnt(5)
	v_cndmask_b32_e64 v1, v1, -v1, vcc
	s_waitcnt lgkmcnt(4)
	v_cndmask_b32_e64 v2, v2, -v2, vcc
	s_waitcnt lgkmcnt(3)
	v_cndmask_b32_e64 v3, v3, -v3, vcc
	s_waitcnt lgkmcnt(2)
	v_cndmask_b32_e64 v9, v9, -v9, vcc
	s_waitcnt lgkmcnt(0)
	v_cndmask_b32_e64 v0, v0, -v0, vcc
	v_mul_f32_e32 v1, v1, v37
	v_mul_f32_e32 v2, v2, v39
	;; [unrolled: 1-line block ×3, first 2 shown]
	v_fmac_f32_e32 v1, v18, v36
	v_fmac_f32_e32 v2, v15, v38
	;; [unrolled: 1-line block ×3, first 2 shown]
	v_mov_b32_e32 v18, v1
	v_mov_b32_e32 v15, v2
	;; [unrolled: 1-line block ×3, first 2 shown]
	; wave barrier
	s_waitcnt vmcnt(6)
	v_mul_f32_e32 v9, v9, v29
	v_fmac_f32_e32 v9, v16, v28
	s_waitcnt vmcnt(4)
	v_mul_f32_e32 v10, v10, v31
	v_fmac_f32_e32 v10, v12, v30
	v_cndmask_b32_e64 v12, v14, -v14, vcc
	s_waitcnt vmcnt(2)
	v_mul_f32_e32 v19, v12, v45
	v_fmac_f32_e32 v19, v13, v44
	v_mov_b32_e32 v14, v8
	v_mov_b32_e32 v16, v9
	;; [unrolled: 1-line block ×4, first 2 shown]
	s_waitcnt vmcnt(1)
	v_mul_f32_e32 v0, v0, v6
	s_waitcnt vmcnt(0)
	v_fmac_f32_e32 v0, v11, v7
	v_mov_b32_e32 v11, v0
.LBB5_3:
	s_or_b64 exec, exec, s[0:1]
	v_cvt_f16_f32_e32 v0, v18
	v_cvt_f16_f32_e32 v1, v17
	;; [unrolled: 1-line block ×8, first 2 shown]
	v_pack_b32_f16 v3, v3, v6
	v_pack_b32_f16 v2, v2, v7
	;; [unrolled: 1-line block ×4, first 2 shown]
	global_store_dwordx4 v[4:5], v[0:3], off
.LBB5_4:
	s_endpgm
	.section	.rodata,"a",@progbits
	.p2align	6, 0x0
	.amdhsa_kernel _ZN12tensorrt_llm7kernels21fusedQKNormRopeKernelIN3c104HalfEfLi256ELb0EEEvPviiifPKvS6_S6_PKlii
		.amdhsa_group_segment_fixed_size 0
		.amdhsa_private_segment_fixed_size 0
		.amdhsa_kernarg_size 320
		.amdhsa_user_sgpr_count 6
		.amdhsa_user_sgpr_private_segment_buffer 1
		.amdhsa_user_sgpr_dispatch_ptr 0
		.amdhsa_user_sgpr_queue_ptr 0
		.amdhsa_user_sgpr_kernarg_segment_ptr 1
		.amdhsa_user_sgpr_dispatch_id 0
		.amdhsa_user_sgpr_flat_scratch_init 0
		.amdhsa_user_sgpr_kernarg_preload_length 0
		.amdhsa_user_sgpr_kernarg_preload_offset 0
		.amdhsa_user_sgpr_private_segment_size 0
		.amdhsa_uses_dynamic_stack 0
		.amdhsa_system_sgpr_private_segment_wavefront_offset 0
		.amdhsa_system_sgpr_workgroup_id_x 1
		.amdhsa_system_sgpr_workgroup_id_y 0
		.amdhsa_system_sgpr_workgroup_id_z 0
		.amdhsa_system_sgpr_workgroup_info 0
		.amdhsa_system_vgpr_workitem_id 0
		.amdhsa_next_free_vgpr 46
		.amdhsa_next_free_sgpr 14
		.amdhsa_accum_offset 48
		.amdhsa_reserve_vcc 1
		.amdhsa_reserve_flat_scratch 0
		.amdhsa_float_round_mode_32 0
		.amdhsa_float_round_mode_16_64 0
		.amdhsa_float_denorm_mode_32 3
		.amdhsa_float_denorm_mode_16_64 3
		.amdhsa_dx10_clamp 1
		.amdhsa_ieee_mode 1
		.amdhsa_fp16_overflow 0
		.amdhsa_tg_split 0
		.amdhsa_exception_fp_ieee_invalid_op 0
		.amdhsa_exception_fp_denorm_src 0
		.amdhsa_exception_fp_ieee_div_zero 0
		.amdhsa_exception_fp_ieee_overflow 0
		.amdhsa_exception_fp_ieee_underflow 0
		.amdhsa_exception_fp_ieee_inexact 0
		.amdhsa_exception_int_div_zero 0
	.end_amdhsa_kernel
	.section	.text._ZN12tensorrt_llm7kernels21fusedQKNormRopeKernelIN3c104HalfEfLi256ELb0EEEvPviiifPKvS6_S6_PKlii,"axG",@progbits,_ZN12tensorrt_llm7kernels21fusedQKNormRopeKernelIN3c104HalfEfLi256ELb0EEEvPviiifPKvS6_S6_PKlii,comdat
.Lfunc_end5:
	.size	_ZN12tensorrt_llm7kernels21fusedQKNormRopeKernelIN3c104HalfEfLi256ELb0EEEvPviiifPKvS6_S6_PKlii, .Lfunc_end5-_ZN12tensorrt_llm7kernels21fusedQKNormRopeKernelIN3c104HalfEfLi256ELb0EEEvPviiifPKvS6_S6_PKlii
                                        ; -- End function
	.section	.AMDGPU.csdata,"",@progbits
; Kernel info:
; codeLenInByte = 2160
; NumSgprs: 18
; NumVgprs: 46
; NumAgprs: 0
; TotalNumVgprs: 46
; ScratchSize: 0
; MemoryBound: 0
; FloatMode: 240
; IeeeMode: 1
; LDSByteSize: 0 bytes/workgroup (compile time only)
; SGPRBlocks: 2
; VGPRBlocks: 5
; NumSGPRsForWavesPerEU: 18
; NumVGPRsForWavesPerEU: 46
; AccumOffset: 48
; Occupancy: 8
; WaveLimiterHint : 1
; COMPUTE_PGM_RSRC2:SCRATCH_EN: 0
; COMPUTE_PGM_RSRC2:USER_SGPR: 6
; COMPUTE_PGM_RSRC2:TRAP_HANDLER: 0
; COMPUTE_PGM_RSRC2:TGID_X_EN: 1
; COMPUTE_PGM_RSRC2:TGID_Y_EN: 0
; COMPUTE_PGM_RSRC2:TGID_Z_EN: 0
; COMPUTE_PGM_RSRC2:TIDIG_COMP_CNT: 0
; COMPUTE_PGM_RSRC3_GFX90A:ACCUM_OFFSET: 11
; COMPUTE_PGM_RSRC3_GFX90A:TG_SPLIT: 0
	.section	.text._ZN12tensorrt_llm7kernels32fusedQKNormRopeKernelNTokenHeadsIN3c104HalfEfLi64ELb1ELi2EEEvPviiifPKvS6_S6_PKlii,"axG",@progbits,_ZN12tensorrt_llm7kernels32fusedQKNormRopeKernelNTokenHeadsIN3c104HalfEfLi64ELb1ELi2EEEvPviiifPKvS6_S6_PKlii,comdat
	.protected	_ZN12tensorrt_llm7kernels32fusedQKNormRopeKernelNTokenHeadsIN3c104HalfEfLi64ELb1ELi2EEEvPviiifPKvS6_S6_PKlii ; -- Begin function _ZN12tensorrt_llm7kernels32fusedQKNormRopeKernelNTokenHeadsIN3c104HalfEfLi64ELb1ELi2EEEvPviiifPKvS6_S6_PKlii
	.globl	_ZN12tensorrt_llm7kernels32fusedQKNormRopeKernelNTokenHeadsIN3c104HalfEfLi64ELb1ELi2EEEvPviiifPKvS6_S6_PKlii
	.p2align	8
	.type	_ZN12tensorrt_llm7kernels32fusedQKNormRopeKernelNTokenHeadsIN3c104HalfEfLi64ELb1ELi2EEEvPviiifPKvS6_S6_PKlii,@function
_ZN12tensorrt_llm7kernels32fusedQKNormRopeKernelNTokenHeadsIN3c104HalfEfLi64ELb1ELi2EEEvPviiifPKvS6_S6_PKlii: ; @_ZN12tensorrt_llm7kernels32fusedQKNormRopeKernelNTokenHeadsIN3c104HalfEfLi64ELb1ELi2EEEvPviiifPKvS6_S6_PKlii
; %bb.0:
	s_load_dwordx4 s[12:15], s[4:5], 0x8
	s_load_dwordx2 s[2:3], s[4:5], 0x38
	s_load_dword s0, s[4:5], 0x4c
	v_lshrrev_b32_e32 v12, 5, v0
	s_waitcnt lgkmcnt(0)
	s_add_i32 s21, s13, s12
	s_add_i32 s1, s21, 1
	s_lshr_b32 s7, s1, 31
	s_add_i32 s1, s1, s7
	s_ashr_i32 s20, s1, 1
	s_abs_i32 s1, s20
	v_cvt_f32_u32_e32 v1, s1
	s_bfe_u32 s0, s0, 0xb0005
	s_mul_i32 s6, s6, s0
	v_add_u32_e32 v9, s6, v12
	v_rcp_iflag_f32_e32 v1, v1
	s_sub_i32 s6, 0, s1
	v_sub_u32_e32 v2, 0, v9
	v_max_i32_e32 v2, v9, v2
	v_mul_f32_e32 v1, 0x4f7ffffe, v1
	v_cvt_u32_f32_e32 v1, v1
	v_xor_b32_e32 v3, s20, v9
	v_ashrrev_i32_e32 v3, 31, v3
	v_mul_lo_u32 v4, s6, v1
	v_mul_hi_u32 v4, v1, v4
	v_add_u32_e32 v1, v1, v4
	v_mul_hi_u32 v1, v2, v1
	v_mul_lo_u32 v4, v1, s1
	v_sub_u32_e32 v2, v2, v4
	v_add_u32_e32 v4, 1, v1
	v_cmp_le_u32_e32 vcc, s1, v2
	v_cndmask_b32_e32 v1, v1, v4, vcc
	v_subrev_u32_e32 v4, s1, v2
	v_cndmask_b32_e32 v2, v2, v4, vcc
	v_add_u32_e32 v4, 1, v1
	v_cmp_le_u32_e32 vcc, s1, v2
	v_cndmask_b32_e32 v1, v1, v4, vcc
	v_xor_b32_e32 v1, v1, v3
	v_sub_u32_e32 v2, v1, v3
	v_cmp_gt_i32_e32 vcc, s2, v2
	s_and_saveexec_b64 s[6:7], vcc
	s_cbranch_execz .LBB6_17
; %bb.1:
	v_and_b32_e32 v8, 31, v0
	v_mul_lo_u32 v0, v2, s20
	v_sub_u32_e32 v0, v9, v0
	s_load_dwordx2 s[16:17], s[4:5], 0x0
	v_lshlrev_b32_e32 v0, 1, v0
	v_add_u32_e32 v1, 2, v0
	v_sub_u32_e32 v3, s21, v0
	v_cmp_lt_i32_e32 vcc, s21, v1
	v_cndmask_b32_e32 v7, 2, v3, vcc
	s_lshl_b32 s18, s3, 2
	s_mul_i32 s2, s18, s0
	v_lshlrev_b32_e32 v11, 8, v12
	v_cmp_lt_i32_e64 s[0:1], 0, v7
	v_lshlrev_b32_e32 v10, 2, v8
	s_and_saveexec_b64 s[6:7], s[0:1]
	s_cbranch_execz .LBB6_9
; %bb.2:
	s_mov_b32 s19, 1
	v_lshlrev_b32_e32 v4, 1, v8
	v_cmp_ne_u32_e32 vcc, 1, v7
	s_mov_b64 s[10:11], -1
	v_mov_b32_e32 v1, 0
	s_and_saveexec_b64 s[8:9], vcc
	s_cbranch_execz .LBB6_6
; %bb.3:
	s_add_i32 s21, s21, s14
	s_add_i32 s10, s2, 0
	v_mul_lo_u32 v6, v2, s21
	s_mov_b32 s22, 0
	v_add3_u32 v13, s10, v11, v10
	v_mov_b32_e32 v1, v0
	s_mov_b32 s21, s12
	s_mov_b32 s23, s12
	v_mov_b32_e32 v3, v6
	v_mov_b32_e32 v5, v4
	v_and_b32_e32 v14, 0x7ffffffe, v7
	s_mov_b64 s[10:11], 0
	v_mov_b32_e32 v15, s12
	v_mov_b32_e32 v16, s12
	s_waitcnt lgkmcnt(0)
	v_mov_b32_e32 v17, s17
.LBB6_4:                                ; =>This Inner Loop Header: Depth=1
	v_add_u32_e32 v19, s19, v1
	v_add_u32_e32 v18, s22, v0
	v_cmp_le_i32_e32 vcc, s23, v19
	v_cndmask_b32_e32 v20, 0, v15, vcc
	v_cmp_le_i32_e32 vcc, s21, v18
	v_cndmask_b32_e32 v21, 0, v16, vcc
	v_sub_u32_e32 v18, v18, v21
	v_sub_u32_e32 v19, v19, v20
	v_add3_u32 v18, v6, v21, v18
	v_add3_u32 v19, v3, v20, v19
	v_lshl_or_b32 v18, v18, 6, v4
	v_lshl_or_b32 v20, v19, 6, v5
	v_ashrrev_i32_e32 v19, 31, v18
	v_lshlrev_b64 v[18:19], 1, v[18:19]
	v_ashrrev_i32_e32 v21, 31, v20
	v_add_co_u32_e32 v18, vcc, s16, v18
	v_lshlrev_b64 v[20:21], 1, v[20:21]
	v_addc_co_u32_e32 v19, vcc, v17, v19, vcc
	v_add_co_u32_e32 v20, vcc, s16, v20
	v_addc_co_u32_e32 v21, vcc, v17, v21, vcc
	global_load_dword v22, v[18:19], off
	global_load_dword v23, v[20:21], off
	v_add_u32_e32 v14, -2, v14
	v_lshl_add_u32 v18, s22, 7, v13
	v_lshl_add_u32 v19, s19, 7, v13
	s_add_i32 s22, s22, 2
	s_add_i32 s19, s19, 2
	v_cmp_eq_u32_e32 vcc, 0, v14
	s_or_b64 s[10:11], vcc, s[10:11]
	s_waitcnt vmcnt(1)
	ds_write_b32 v18, v22
	s_waitcnt vmcnt(0)
	ds_write_b32 v19, v23
	s_andn2_b64 exec, exec, s[10:11]
	s_cbranch_execnz .LBB6_4
; %bb.5:
	s_or_b64 exec, exec, s[10:11]
	v_and_b32_e32 v1, 0x7ffffffe, v7
	v_cmp_ne_u32_e32 vcc, v7, v1
	s_orn2_b64 s[10:11], vcc, exec
.LBB6_6:
	s_or_b64 exec, exec, s[8:9]
	s_and_b64 exec, exec, s[10:11]
	s_cbranch_execz .LBB6_9
; %bb.7:
	s_add_i32 s8, s14, s13
	s_add_i32 s8, s8, s12
	s_lshl_b32 s9, s20, 1
	s_sub_i32 s8, s8, s9
	v_mul_lo_u32 v3, s8, v2
	v_lshlrev_b32_e32 v5, 1, v9
	v_add3_u32 v3, v1, v3, v5
	v_lshl_or_b32 v4, v3, 6, v4
	v_lshlrev_b32_e32 v3, 7, v1
	v_add3_u32 v3, s2, v11, v3
	v_add3_u32 v3, v3, v10, 0
	s_mov_b64 s[8:9], 0
	s_waitcnt lgkmcnt(0)
	v_mov_b32_e32 v6, s17
.LBB6_8:                                ; =>This Inner Loop Header: Depth=1
	v_ashrrev_i32_e32 v5, 31, v4
	v_lshlrev_b64 v[14:15], 1, v[4:5]
	v_add_co_u32_e32 v14, vcc, s16, v14
	v_addc_co_u32_e32 v15, vcc, v6, v15, vcc
	global_load_dword v5, v[14:15], off
	v_add_u32_e32 v1, 1, v1
	v_cmp_ge_i32_e32 vcc, v1, v7
	v_add_u32_e32 v4, 64, v4
	s_or_b64 s[8:9], vcc, s[8:9]
	s_waitcnt vmcnt(0)
	ds_write_b32 v3, v5
	v_add_u32_e32 v3, 0x80, v3
	s_andn2_b64 exec, exec, s[8:9]
	s_cbranch_execnz .LBB6_8
.LBB6_9:
	s_or_b64 exec, exec, s[6:7]
	s_add_i32 s18, s18, 15
	s_load_dwordx8 s[4:11], s[4:5], 0x18
	s_ashr_i32 s19, s18, 31
	s_lshr_b32 s19, s19, 28
	s_add_i32 s18, s18, s19
	s_ashr_i32 s21, s18, 4
	v_mul_lo_u32 v1, v12, s3
	v_cmp_gt_i32_e32 vcc, s21, v8
	v_lshlrev_b32_e32 v12, 2, v1
	s_and_saveexec_b64 s[18:19], vcc
	s_cbranch_execz .LBB6_12
; %bb.10:
	v_ashrrev_i32_e32 v3, 31, v2
	v_lshlrev_b64 v[4:5], 3, v[2:3]
	s_waitcnt lgkmcnt(0)
	v_mov_b32_e32 v1, s11
	v_add_co_u32_e32 v4, vcc, s10, v4
	v_addc_co_u32_e32 v5, vcc, v1, v5, vcc
	global_load_dwordx2 v[4:5], v[4:5], off
	s_ashr_i32 s22, s3, 31
	v_lshlrev_b32_e32 v3, 4, v8
	v_add3_u32 v1, v12, v3, 0
	v_mov_b32_e32 v6, s9
	s_mov_b64 s[10:11], 0
	s_waitcnt vmcnt(0)
	v_mul_lo_u32 v13, v5, s3
	v_mul_lo_u32 v14, v4, s22
	v_mad_u64_u32 v[4:5], s[22:23], v4, s3, 0
	v_add3_u32 v5, v5, v14, v13
	v_lshlrev_b64 v[4:5], 2, v[4:5]
	v_add_co_u32_e32 v3, vcc, v4, v3
	v_addc_co_u32_e32 v5, vcc, 0, v5, vcc
	v_add_co_u32_e32 v4, vcc, s8, v3
	v_addc_co_u32_e32 v5, vcc, v6, v5, vcc
	v_mov_b32_e32 v3, v8
.LBB6_11:                               ; =>This Inner Loop Header: Depth=1
	global_load_dwordx4 v[14:17], v[4:5], off
	v_add_co_u32_e32 v4, vcc, 0x200, v4
	v_add_u32_e32 v3, 32, v3
	v_addc_co_u32_e32 v5, vcc, 0, v5, vcc
	v_cmp_le_i32_e32 vcc, s21, v3
	s_or_b64 s[10:11], vcc, s[10:11]
	s_waitcnt vmcnt(0)
	ds_write_b128 v1, v[14:17]
	v_add_u32_e32 v1, 0x200, v1
	s_andn2_b64 exec, exec, s[10:11]
	s_cbranch_execnz .LBB6_11
.LBB6_12:
	s_or_b64 exec, exec, s[18:19]
	s_and_b64 exec, exec, s[0:1]
	s_cbranch_execz .LBB6_17
; %bb.13:
	s_waitcnt lgkmcnt(0)
	global_load_dword v1, v10, s[4:5]
	global_load_dword v6, v10, s[6:7]
	v_mbcnt_lo_u32_b32 v3, -1, 0
	s_lshr_b32 s0, s3, 31
	s_add_i32 s1, s14, s13
	v_add_u32_e32 v5, s2, v11
	v_mbcnt_hi_u32_b32 v3, -1, v3
	v_add3_u32 v12, 0, v12, v10
	s_lshl_b32 s8, s20, 1
	s_add_i32 s0, s3, s0
	s_add_i32 s1, s1, s12
	v_add3_u32 v10, v5, v10, 0
	v_and_b32_e32 v5, 0x60, v3
	s_ashr_i32 s0, s0, 1
	v_xor_b32_e32 v13, 16, v3
	s_sub_i32 s1, s1, s8
	v_add_u32_e32 v5, 32, v5
	v_xor_b32_e32 v14, 8, v3
	v_cmp_gt_i32_e32 vcc, s0, v8
	v_lshl_add_u32 v11, s0, 2, v12
	v_mul_lo_u32 v2, s1, v2
	v_cmp_lt_i32_e64 s[0:1], v13, v5
	v_xor_b32_e32 v15, 4, v3
	v_cndmask_b32_e64 v13, v3, v13, s[0:1]
	v_cmp_lt_i32_e64 s[0:1], v14, v5
	v_xor_b32_e32 v16, 2, v3
	v_cndmask_b32_e64 v14, v3, v14, s[0:1]
	;; [unrolled: 3-line block ×3, first 2 shown]
	v_cmp_lt_i32_e64 s[0:1], v16, v5
	v_lshlrev_b32_e32 v4, 7, v9
	v_cndmask_b32_e64 v16, v3, v16, s[0:1]
	v_cmp_lt_i32_e64 s[0:1], v17, v5
	v_cndmask_b32_e64 v3, v3, v17, s[0:1]
	v_lshl_add_u32 v2, v2, 6, v4
	s_mov_b32 s6, 0
	s_mov_b64 s[4:5], 0
	v_mov_b32_e32 v9, s15
	s_mov_b32 s7, 0x800000
	v_lshlrev_b32_e32 v13, 2, v13
	v_lshlrev_b32_e32 v14, 2, v14
	v_lshlrev_b32_e32 v15, 2, v15
	v_lshlrev_b32_e32 v16, 2, v16
	v_lshlrev_b32_e32 v17, 2, v3
	v_lshl_or_b32 v2, v8, 1, v2
	v_mov_b32_e32 v19, s17
	s_waitcnt vmcnt(1)
	v_lshrrev_b32_e32 v8, 16, v1
	s_waitcnt vmcnt(0)
	v_lshrrev_b32_e32 v18, 16, v6
	s_branch .LBB6_15
.LBB6_14:                               ;   in Loop: Header=BB6_15 Depth=1
	s_or_b64 exec, exec, s[0:1]
	v_ashrrev_i32_e32 v3, 31, v2
	v_cvt_f16_f32_e32 v20, v4
	v_cvt_f16_f32_e32 v21, v5
	v_lshlrev_b64 v[4:5], 1, v[2:3]
	v_add_co_u32_e64 v4, s[0:1], s16, v4
	v_addc_co_u32_e64 v5, s[0:1], v19, v5, s[0:1]
	s_add_i32 s6, s6, 1
	v_cmp_ge_i32_e64 s[0:1], s6, v7
	v_pack_b32_f16 v3, v20, v21
	v_add_u32_e32 v2, 64, v2
	s_or_b64 s[4:5], s[0:1], s[4:5]
	v_add_u32_e32 v10, 0x80, v10
	global_store_dword v[4:5], v3, off
	s_andn2_b64 exec, exec, s[4:5]
	s_cbranch_execz .LBB6_17
.LBB6_15:                               ; =>This Inner Loop Header: Depth=1
	ds_read_b32 v3, v10
	v_mov_b32_e32 v22, v9
	s_waitcnt lgkmcnt(0)
	v_cvt_f32_f16_sdwa v5, v3 dst_sel:DWORD dst_unused:UNUSED_PAD src0_sel:WORD_1
	v_cvt_f32_f16_e32 v4, v3
	v_pk_mul_f32 v[20:21], v[4:5], v[4:5]
	v_add_f32_e32 v3, v21, v20
	ds_bpermute_b32 v20, v13, v3
	v_add_u32_e32 v21, s6, v0
	v_cmp_gt_i32_e64 s[0:1], s12, v21
	v_cndmask_b32_e64 v21, v18, v8, s[0:1]
	v_cvt_f32_f16_e32 v21, v21
	s_waitcnt lgkmcnt(0)
	v_add_f32_e32 v3, v3, v20
	ds_bpermute_b32 v20, v14, v3
	s_waitcnt lgkmcnt(0)
	v_add_f32_e32 v3, v3, v20
	ds_bpermute_b32 v20, v15, v3
	;; [unrolled: 3-line block ×4, first 2 shown]
	s_waitcnt lgkmcnt(0)
	v_add_f32_e32 v3, v3, v20
	v_fmac_f32_e32 v22, 0x3c800000, v3
	v_mul_f32_e32 v3, 0x4b800000, v22
	v_cmp_gt_f32_e64 s[2:3], s7, v22
	v_cndmask_b32_e64 v3, v22, v3, s[2:3]
	v_rsq_f32_e32 v3, v3
	v_cndmask_b32_e64 v20, v6, v1, s[0:1]
	v_cvt_f32_f16_e32 v20, v20
	v_mul_f32_e32 v22, 0x45800000, v3
	v_cndmask_b32_e64 v22, v3, v22, s[2:3]
	v_pk_mul_f32 v[20:21], v[22:23], v[20:21] op_sel_hi:[0,1]
	v_pk_mul_f32 v[4:5], v[20:21], v[4:5]
	s_and_saveexec_b64 s[0:1], vcc
	s_cbranch_execz .LBB6_14
; %bb.16:                               ;   in Loop: Header=BB6_15 Depth=1
	ds_read_b32 v20, v11
	ds_read_b32 v21, v12
	s_waitcnt lgkmcnt(1)
	v_mul_f32_e32 v3, v5, v20
	s_waitcnt lgkmcnt(0)
	v_pk_mul_f32 v[22:23], v[4:5], v[20:21]
	v_fma_f32 v24, v4, v21, -v3
	v_mov_b32_e32 v3, v22
	v_pk_fma_f32 v[4:5], v[4:5], v[20:21], v[2:3]
	v_mov_b32_e32 v25, v5
	v_pk_mov_b32 v[4:5], v[24:25], v[24:25] op_sel:[0,1]
	s_branch .LBB6_14
.LBB6_17:
	s_endpgm
	.section	.rodata,"a",@progbits
	.p2align	6, 0x0
	.amdhsa_kernel _ZN12tensorrt_llm7kernels32fusedQKNormRopeKernelNTokenHeadsIN3c104HalfEfLi64ELb1ELi2EEEvPviiifPKvS6_S6_PKlii
		.amdhsa_group_segment_fixed_size 0
		.amdhsa_private_segment_fixed_size 0
		.amdhsa_kernarg_size 320
		.amdhsa_user_sgpr_count 6
		.amdhsa_user_sgpr_private_segment_buffer 1
		.amdhsa_user_sgpr_dispatch_ptr 0
		.amdhsa_user_sgpr_queue_ptr 0
		.amdhsa_user_sgpr_kernarg_segment_ptr 1
		.amdhsa_user_sgpr_dispatch_id 0
		.amdhsa_user_sgpr_flat_scratch_init 0
		.amdhsa_user_sgpr_kernarg_preload_length 0
		.amdhsa_user_sgpr_kernarg_preload_offset 0
		.amdhsa_user_sgpr_private_segment_size 0
		.amdhsa_uses_dynamic_stack 0
		.amdhsa_system_sgpr_private_segment_wavefront_offset 0
		.amdhsa_system_sgpr_workgroup_id_x 1
		.amdhsa_system_sgpr_workgroup_id_y 0
		.amdhsa_system_sgpr_workgroup_id_z 0
		.amdhsa_system_sgpr_workgroup_info 0
		.amdhsa_system_vgpr_workitem_id 0
		.amdhsa_next_free_vgpr 26
		.amdhsa_next_free_sgpr 24
		.amdhsa_accum_offset 28
		.amdhsa_reserve_vcc 1
		.amdhsa_reserve_flat_scratch 0
		.amdhsa_float_round_mode_32 0
		.amdhsa_float_round_mode_16_64 0
		.amdhsa_float_denorm_mode_32 3
		.amdhsa_float_denorm_mode_16_64 3
		.amdhsa_dx10_clamp 1
		.amdhsa_ieee_mode 1
		.amdhsa_fp16_overflow 0
		.amdhsa_tg_split 0
		.amdhsa_exception_fp_ieee_invalid_op 0
		.amdhsa_exception_fp_denorm_src 0
		.amdhsa_exception_fp_ieee_div_zero 0
		.amdhsa_exception_fp_ieee_overflow 0
		.amdhsa_exception_fp_ieee_underflow 0
		.amdhsa_exception_fp_ieee_inexact 0
		.amdhsa_exception_int_div_zero 0
	.end_amdhsa_kernel
	.section	.text._ZN12tensorrt_llm7kernels32fusedQKNormRopeKernelNTokenHeadsIN3c104HalfEfLi64ELb1ELi2EEEvPviiifPKvS6_S6_PKlii,"axG",@progbits,_ZN12tensorrt_llm7kernels32fusedQKNormRopeKernelNTokenHeadsIN3c104HalfEfLi64ELb1ELi2EEEvPviiifPKvS6_S6_PKlii,comdat
.Lfunc_end6:
	.size	_ZN12tensorrt_llm7kernels32fusedQKNormRopeKernelNTokenHeadsIN3c104HalfEfLi64ELb1ELi2EEEvPviiifPKvS6_S6_PKlii, .Lfunc_end6-_ZN12tensorrt_llm7kernels32fusedQKNormRopeKernelNTokenHeadsIN3c104HalfEfLi64ELb1ELi2EEEvPviiifPKvS6_S6_PKlii
                                        ; -- End function
	.section	.AMDGPU.csdata,"",@progbits
; Kernel info:
; codeLenInByte = 1704
; NumSgprs: 28
; NumVgprs: 26
; NumAgprs: 0
; TotalNumVgprs: 26
; ScratchSize: 0
; MemoryBound: 0
; FloatMode: 240
; IeeeMode: 1
; LDSByteSize: 0 bytes/workgroup (compile time only)
; SGPRBlocks: 3
; VGPRBlocks: 3
; NumSGPRsForWavesPerEU: 28
; NumVGPRsForWavesPerEU: 26
; AccumOffset: 28
; Occupancy: 8
; WaveLimiterHint : 0
; COMPUTE_PGM_RSRC2:SCRATCH_EN: 0
; COMPUTE_PGM_RSRC2:USER_SGPR: 6
; COMPUTE_PGM_RSRC2:TRAP_HANDLER: 0
; COMPUTE_PGM_RSRC2:TGID_X_EN: 1
; COMPUTE_PGM_RSRC2:TGID_Y_EN: 0
; COMPUTE_PGM_RSRC2:TGID_Z_EN: 0
; COMPUTE_PGM_RSRC2:TIDIG_COMP_CNT: 0
; COMPUTE_PGM_RSRC3_GFX90A:ACCUM_OFFSET: 6
; COMPUTE_PGM_RSRC3_GFX90A:TG_SPLIT: 0
	.section	.text._ZN12tensorrt_llm7kernels32fusedQKNormRopeKernelNTokenHeadsIN3c104HalfEfLi64ELb0ELi2EEEvPviiifPKvS6_S6_PKlii,"axG",@progbits,_ZN12tensorrt_llm7kernels32fusedQKNormRopeKernelNTokenHeadsIN3c104HalfEfLi64ELb0ELi2EEEvPviiifPKvS6_S6_PKlii,comdat
	.protected	_ZN12tensorrt_llm7kernels32fusedQKNormRopeKernelNTokenHeadsIN3c104HalfEfLi64ELb0ELi2EEEvPviiifPKvS6_S6_PKlii ; -- Begin function _ZN12tensorrt_llm7kernels32fusedQKNormRopeKernelNTokenHeadsIN3c104HalfEfLi64ELb0ELi2EEEvPviiifPKvS6_S6_PKlii
	.globl	_ZN12tensorrt_llm7kernels32fusedQKNormRopeKernelNTokenHeadsIN3c104HalfEfLi64ELb0ELi2EEEvPviiifPKvS6_S6_PKlii
	.p2align	8
	.type	_ZN12tensorrt_llm7kernels32fusedQKNormRopeKernelNTokenHeadsIN3c104HalfEfLi64ELb0ELi2EEEvPviiifPKvS6_S6_PKlii,@function
_ZN12tensorrt_llm7kernels32fusedQKNormRopeKernelNTokenHeadsIN3c104HalfEfLi64ELb0ELi2EEEvPviiifPKvS6_S6_PKlii: ; @_ZN12tensorrt_llm7kernels32fusedQKNormRopeKernelNTokenHeadsIN3c104HalfEfLi64ELb0ELi2EEEvPviiifPKvS6_S6_PKlii
; %bb.0:
	s_load_dwordx4 s[12:15], s[4:5], 0x8
	s_load_dwordx2 s[2:3], s[4:5], 0x38
	s_load_dword s0, s[4:5], 0x4c
	v_lshrrev_b32_e32 v12, 5, v0
	s_waitcnt lgkmcnt(0)
	s_add_i32 s19, s13, s12
	s_add_i32 s1, s19, 1
	s_lshr_b32 s7, s1, 31
	s_add_i32 s1, s1, s7
	s_ashr_i32 s20, s1, 1
	s_abs_i32 s1, s20
	v_cvt_f32_u32_e32 v1, s1
	s_bfe_u32 s0, s0, 0xb0005
	s_mul_i32 s6, s6, s0
	v_add_u32_e32 v8, s6, v12
	v_rcp_iflag_f32_e32 v1, v1
	s_sub_i32 s6, 0, s1
	v_sub_u32_e32 v2, 0, v8
	v_max_i32_e32 v2, v8, v2
	v_mul_f32_e32 v1, 0x4f7ffffe, v1
	v_cvt_u32_f32_e32 v1, v1
	v_xor_b32_e32 v3, s20, v8
	v_ashrrev_i32_e32 v3, 31, v3
	v_mul_lo_u32 v4, s6, v1
	v_mul_hi_u32 v4, v1, v4
	v_add_u32_e32 v1, v1, v4
	v_mul_hi_u32 v1, v2, v1
	v_mul_lo_u32 v4, v1, s1
	v_sub_u32_e32 v2, v2, v4
	v_add_u32_e32 v4, 1, v1
	v_cmp_le_u32_e32 vcc, s1, v2
	v_cndmask_b32_e32 v1, v1, v4, vcc
	v_subrev_u32_e32 v4, s1, v2
	v_cndmask_b32_e32 v2, v2, v4, vcc
	v_add_u32_e32 v4, 1, v1
	v_cmp_le_u32_e32 vcc, s1, v2
	v_cndmask_b32_e32 v1, v1, v4, vcc
	v_xor_b32_e32 v1, v1, v3
	v_sub_u32_e32 v2, v1, v3
	v_cmp_gt_i32_e32 vcc, s2, v2
	s_and_saveexec_b64 s[6:7], vcc
	s_cbranch_execz .LBB7_17
; %bb.1:
	v_and_b32_e32 v9, 31, v0
	v_mul_lo_u32 v0, v2, s20
	v_sub_u32_e32 v0, v8, v0
	s_load_dwordx2 s[16:17], s[4:5], 0x0
	v_lshlrev_b32_e32 v0, 1, v0
	v_add_u32_e32 v1, 2, v0
	v_sub_u32_e32 v3, s19, v0
	v_cmp_lt_i32_e32 vcc, s19, v1
	v_cndmask_b32_e32 v7, 2, v3, vcc
	s_lshl_b32 s2, s3, 2
	s_mul_i32 s21, s2, s0
	v_lshlrev_b32_e32 v10, 8, v12
	v_cmp_lt_i32_e64 s[0:1], 0, v7
	v_lshlrev_b32_e32 v11, 2, v9
	s_and_saveexec_b64 s[6:7], s[0:1]
	s_cbranch_execz .LBB7_9
; %bb.2:
	s_mov_b32 s18, 1
	v_lshlrev_b32_e32 v4, 1, v9
	v_cmp_ne_u32_e32 vcc, 1, v7
	s_mov_b64 s[10:11], -1
	v_mov_b32_e32 v1, 0
	s_and_saveexec_b64 s[8:9], vcc
	s_cbranch_execz .LBB7_6
; %bb.3:
	s_add_i32 s19, s19, s14
	s_add_i32 s10, s21, 0
	v_mul_lo_u32 v6, v2, s19
	s_mov_b32 s22, 0
	v_add3_u32 v13, s10, v10, v11
	v_mov_b32_e32 v1, v0
	s_mov_b32 s19, s12
	s_mov_b32 s23, s12
	v_mov_b32_e32 v3, v6
	v_mov_b32_e32 v5, v4
	v_and_b32_e32 v14, 0x7ffffffe, v7
	s_mov_b64 s[10:11], 0
	v_mov_b32_e32 v15, s12
	v_mov_b32_e32 v16, s12
	s_waitcnt lgkmcnt(0)
	v_mov_b32_e32 v17, s17
.LBB7_4:                                ; =>This Inner Loop Header: Depth=1
	v_add_u32_e32 v19, s18, v1
	v_add_u32_e32 v18, s22, v0
	v_cmp_le_i32_e32 vcc, s23, v19
	v_cndmask_b32_e32 v20, 0, v15, vcc
	v_cmp_le_i32_e32 vcc, s19, v18
	v_cndmask_b32_e32 v21, 0, v16, vcc
	v_sub_u32_e32 v18, v18, v21
	v_sub_u32_e32 v19, v19, v20
	v_add3_u32 v18, v6, v21, v18
	v_add3_u32 v19, v3, v20, v19
	v_lshl_or_b32 v18, v18, 6, v4
	v_lshl_or_b32 v20, v19, 6, v5
	v_ashrrev_i32_e32 v19, 31, v18
	v_lshlrev_b64 v[18:19], 1, v[18:19]
	v_ashrrev_i32_e32 v21, 31, v20
	v_add_co_u32_e32 v18, vcc, s16, v18
	v_lshlrev_b64 v[20:21], 1, v[20:21]
	v_addc_co_u32_e32 v19, vcc, v17, v19, vcc
	v_add_co_u32_e32 v20, vcc, s16, v20
	v_addc_co_u32_e32 v21, vcc, v17, v21, vcc
	global_load_dword v22, v[18:19], off
	global_load_dword v23, v[20:21], off
	v_add_u32_e32 v14, -2, v14
	v_lshl_add_u32 v18, s22, 7, v13
	v_lshl_add_u32 v19, s18, 7, v13
	s_add_i32 s22, s22, 2
	s_add_i32 s18, s18, 2
	v_cmp_eq_u32_e32 vcc, 0, v14
	s_or_b64 s[10:11], vcc, s[10:11]
	s_waitcnt vmcnt(1)
	ds_write_b32 v18, v22
	s_waitcnt vmcnt(0)
	ds_write_b32 v19, v23
	s_andn2_b64 exec, exec, s[10:11]
	s_cbranch_execnz .LBB7_4
; %bb.5:
	s_or_b64 exec, exec, s[10:11]
	v_and_b32_e32 v1, 0x7ffffffe, v7
	v_cmp_ne_u32_e32 vcc, v7, v1
	s_orn2_b64 s[10:11], vcc, exec
.LBB7_6:
	s_or_b64 exec, exec, s[8:9]
	s_and_b64 exec, exec, s[10:11]
	s_cbranch_execz .LBB7_9
; %bb.7:
	s_add_i32 s8, s14, s13
	s_add_i32 s8, s8, s12
	s_lshl_b32 s9, s20, 1
	s_sub_i32 s8, s8, s9
	v_mul_lo_u32 v3, s8, v2
	v_lshlrev_b32_e32 v5, 1, v8
	v_add3_u32 v3, v1, v3, v5
	v_lshl_or_b32 v4, v3, 6, v4
	v_lshlrev_b32_e32 v3, 7, v1
	v_add3_u32 v3, s21, v10, v3
	v_add3_u32 v3, v3, v11, 0
	s_mov_b64 s[8:9], 0
	s_waitcnt lgkmcnt(0)
	v_mov_b32_e32 v6, s17
.LBB7_8:                                ; =>This Inner Loop Header: Depth=1
	v_ashrrev_i32_e32 v5, 31, v4
	v_lshlrev_b64 v[14:15], 1, v[4:5]
	v_add_co_u32_e32 v14, vcc, s16, v14
	v_addc_co_u32_e32 v15, vcc, v6, v15, vcc
	global_load_dword v5, v[14:15], off
	v_add_u32_e32 v1, 1, v1
	v_cmp_ge_i32_e32 vcc, v1, v7
	v_add_u32_e32 v4, 64, v4
	s_or_b64 s[8:9], vcc, s[8:9]
	s_waitcnt vmcnt(0)
	ds_write_b32 v3, v5
	v_add_u32_e32 v3, 0x80, v3
	s_andn2_b64 exec, exec, s[8:9]
	s_cbranch_execnz .LBB7_8
.LBB7_9:
	s_or_b64 exec, exec, s[6:7]
	s_add_i32 s2, s2, 15
	s_load_dwordx8 s[4:11], s[4:5], 0x18
	s_ashr_i32 s18, s2, 31
	s_lshr_b32 s18, s18, 28
	s_add_i32 s2, s2, s18
	s_ashr_i32 s2, s2, 4
	v_cmp_gt_i32_e32 vcc, s2, v9
	v_mul_lo_u32 v6, v12, s3
	s_and_saveexec_b64 s[18:19], vcc
	s_cbranch_execz .LBB7_12
; %bb.10:
	v_ashrrev_i32_e32 v3, 31, v2
	v_lshlrev_b64 v[4:5], 3, v[2:3]
	s_waitcnt lgkmcnt(0)
	v_mov_b32_e32 v1, s11
	v_add_co_u32_e32 v4, vcc, s10, v4
	v_addc_co_u32_e32 v5, vcc, v1, v5, vcc
	global_load_dwordx2 v[4:5], v[4:5], off
	s_ashr_i32 s22, s3, 31
	v_lshlrev_b32_e32 v1, 2, v6
	v_lshlrev_b32_e32 v3, 4, v9
	v_add3_u32 v1, v1, v3, 0
	v_mov_b32_e32 v12, s9
	s_mov_b64 s[10:11], 0
	s_waitcnt vmcnt(0)
	v_mul_lo_u32 v13, v5, s3
	v_mul_lo_u32 v14, v4, s22
	v_mad_u64_u32 v[4:5], s[22:23], v4, s3, 0
	v_add3_u32 v5, v5, v14, v13
	v_lshlrev_b64 v[4:5], 2, v[4:5]
	v_add_co_u32_e32 v3, vcc, v4, v3
	v_addc_co_u32_e32 v5, vcc, 0, v5, vcc
	v_add_co_u32_e32 v4, vcc, s8, v3
	v_addc_co_u32_e32 v5, vcc, v12, v5, vcc
	v_mov_b32_e32 v3, v9
.LBB7_11:                               ; =>This Inner Loop Header: Depth=1
	global_load_dwordx4 v[12:15], v[4:5], off
	v_add_co_u32_e32 v4, vcc, 0x200, v4
	v_add_u32_e32 v3, 32, v3
	v_addc_co_u32_e32 v5, vcc, 0, v5, vcc
	v_cmp_le_i32_e32 vcc, s2, v3
	s_or_b64 s[10:11], vcc, s[10:11]
	s_waitcnt vmcnt(0)
	ds_write_b128 v1, v[12:15]
	v_add_u32_e32 v1, 0x200, v1
	s_andn2_b64 exec, exec, s[10:11]
	s_cbranch_execnz .LBB7_11
.LBB7_12:
	s_or_b64 exec, exec, s[18:19]
	s_and_b64 exec, exec, s[0:1]
	s_cbranch_execz .LBB7_17
; %bb.13:
	s_waitcnt lgkmcnt(0)
	global_load_dword v1, v11, s[4:5]
	global_load_dword v4, v11, s[6:7]
	v_mbcnt_lo_u32_b32 v5, -1, 0
	s_abs_i32 s4, s3
	s_lshr_b32 s0, s3, 31
	v_mbcnt_hi_u32_b32 v15, -1, v5
	v_cvt_f32_u32_e32 v12, s4
	s_add_i32 s0, s3, s0
	v_and_b32_e32 v5, 0x60, v15
	v_lshl_add_u32 v3, v6, 2, 0
	s_add_i32 s1, s14, s13
	s_ashr_i32 s0, s0, 1
	v_xor_b32_e32 v6, 16, v15
	v_add_u32_e32 v5, 32, v5
	s_add_i32 s6, s1, s12
	v_xor_b32_e32 v13, 8, v15
	v_lshl_add_u32 v20, s0, 2, v3
	v_cmp_gt_i32_e32 vcc, s0, v9
	s_lshr_b32 s2, s0, 1
	v_cmp_lt_i32_e64 s[0:1], v6, v5
	v_xor_b32_e32 v14, 4, v15
	v_cndmask_b32_e64 v6, v15, v6, s[0:1]
	v_cmp_lt_i32_e64 s[0:1], v13, v5
	v_rcp_iflag_f32_e32 v22, v12
	v_xor_b32_e32 v17, 2, v15
	v_cndmask_b32_e64 v13, v15, v13, s[0:1]
	v_cmp_lt_i32_e64 s[0:1], v14, v5
	v_cndmask_b32_e64 v14, v15, v14, s[0:1]
	v_cmp_lt_i32_e64 s[0:1], v17, v5
	v_xor_b32_e32 v18, 1, v15
	v_cndmask_b32_e64 v17, v15, v17, s[0:1]
	v_cmp_lt_i32_e64 s[0:1], v18, v5
	v_lshlrev_b32_e32 v5, 2, v6
	v_lshlrev_b32_e32 v6, 2, v13
	;; [unrolled: 1-line block ×3, first 2 shown]
	v_mul_f32_e32 v17, 0x4f7ffffe, v22
	v_cvt_u32_f32_e32 v17, v17
	s_sub_i32 s5, 0, s4
	v_cndmask_b32_e64 v18, v15, v18, s[0:1]
	v_lshlrev_b32_e32 v12, 2, v14
	v_lshlrev_b32_e32 v14, 2, v18
	v_mul_lo_u32 v18, s5, v17
	v_mul_hi_u32 v18, v17, v18
	v_add_u32_e32 v17, v17, v18
	v_or_b32_e32 v16, 2, v11
	v_and_b32_e32 v19, 64, v15
	v_mul_hi_u32 v18, v11, v17
	v_add_u32_e32 v19, 64, v19
	v_xor_b32_e32 v21, s2, v15
	v_mul_hi_u32 v17, v16, v17
	v_mul_lo_u32 v18, v18, s4
	v_cmp_gt_u32_e64 s[0:1], s2, v9
	v_cmp_lt_i32_e64 s[2:3], v21, v19
	v_mul_lo_u32 v17, v17, s4
	v_sub_u32_e32 v18, v11, v18
	v_cndmask_b32_e64 v15, v15, v21, s[2:3]
	v_sub_u32_e32 v16, v16, v17
	v_subrev_u32_e32 v17, s4, v18
	v_cmp_le_u32_e64 s[2:3], s4, v18
	v_subrev_u32_e32 v19, s4, v16
	v_cndmask_b32_e64 v17, v18, v17, s[2:3]
	v_cmp_le_u32_e64 s[2:3], s4, v16
	v_cndmask_b32_e64 v16, v16, v19, s[2:3]
	v_subrev_u32_e32 v18, s4, v17
	v_cmp_le_u32_e64 s[2:3], s4, v17
	v_subrev_u32_e32 v19, s4, v16
	v_cndmask_b32_e64 v17, v17, v18, s[2:3]
	v_cmp_le_u32_e64 s[2:3], s4, v16
	v_cndmask_b32_e64 v16, v16, v19, s[2:3]
	v_lshlrev_b32_e32 v17, 1, v17
	v_lshlrev_b32_e32 v16, 1, v16
	s_lshl_b32 s2, s20, 1
	v_and_b32_e32 v17, -4, v17
	v_and_b32_e32 v19, -4, v16
	s_sub_i32 s2, s6, s2
	v_add_u32_e32 v16, v3, v17
	v_add_u32_e32 v18, v3, v19
	v_mul_lo_u32 v2, s2, v2
	v_lshlrev_b32_e32 v3, 7, v8
	v_lshl_add_u32 v2, v2, 6, v3
	v_add_u32_e32 v3, s21, v10
	s_mov_b32 s8, 0
	v_lshlrev_b32_e32 v15, 2, v15
	v_add_u32_e32 v17, v20, v17
	v_add_u32_e32 v19, v20, v19
	s_waitcnt vmcnt(1)
	v_lshrrev_b32_e32 v20, 16, v1
	s_waitcnt vmcnt(0)
	v_lshrrev_b32_e32 v21, 16, v4
	v_lshl_or_b32 v2, v9, 1, v2
	v_add3_u32 v8, v3, v11, 0
	s_mov_b64 s[6:7], 0
	v_mov_b32_e32 v9, s15
	s_mov_b32 s9, 0x800000
	v_mov_b32_e32 v10, s17
	s_branch .LBB7_15
.LBB7_14:                               ;   in Loop: Header=BB7_15 Depth=1
	s_or_b64 exec, exec, s[2:3]
	v_cvt_f16_f32_e32 v24, v3
	v_ashrrev_i32_e32 v3, 31, v2
	v_cvt_f16_f32_e32 v11, v11
	v_lshlrev_b64 v[22:23], 1, v[2:3]
	v_add_co_u32_e64 v22, s[2:3], s16, v22
	v_addc_co_u32_e64 v23, s[2:3], v10, v23, s[2:3]
	s_add_i32 s8, s8, 1
	v_cmp_ge_i32_e64 s[2:3], s8, v7
	v_pack_b32_f16 v3, v11, v24
	v_add_u32_e32 v2, 64, v2
	s_or_b64 s[6:7], s[2:3], s[6:7]
	v_add_u32_e32 v8, 0x80, v8
	global_store_dword v[22:23], v3, off
	s_andn2_b64 exec, exec, s[6:7]
	s_cbranch_execz .LBB7_17
.LBB7_15:                               ; =>This Inner Loop Header: Depth=1
	ds_read_b32 v3, v8
	s_waitcnt lgkmcnt(0)
	v_cvt_f32_f16_sdwa v22, v3 dst_sel:DWORD dst_unused:UNUSED_PAD src0_sel:WORD_1
	v_cvt_f32_f16_e32 v23, v3
	v_pk_mul_f32 v[24:25], v[22:23], v[22:23]
	v_add_f32_e32 v3, v24, v25
	ds_bpermute_b32 v11, v5, v3
	v_mov_b32_e32 v25, v9
	v_add_u32_e32 v24, s8, v0
	v_cmp_gt_i32_e64 s[2:3], s12, v24
	v_cndmask_b32_e64 v24, v4, v1, s[2:3]
	s_waitcnt lgkmcnt(0)
	v_add_f32_e32 v3, v3, v11
	ds_bpermute_b32 v11, v6, v3
	s_waitcnt lgkmcnt(0)
	v_add_f32_e32 v3, v3, v11
	ds_bpermute_b32 v11, v12, v3
	;; [unrolled: 3-line block ×4, first 2 shown]
	s_waitcnt lgkmcnt(0)
	v_add_f32_e32 v3, v3, v11
	v_fmac_f32_e32 v25, 0x3c800000, v3
	v_mul_f32_e32 v3, 0x4b800000, v25
	v_cmp_gt_f32_e64 s[4:5], s9, v25
	v_cndmask_b32_e64 v3, v25, v3, s[4:5]
	v_rsq_f32_e32 v3, v3
	v_cvt_f32_f16_e32 v11, v24
	v_cndmask_b32_e64 v24, v21, v20, s[2:3]
	v_cvt_f32_f16_e32 v24, v24
	v_mul_f32_e32 v25, 0x45800000, v3
	v_cndmask_b32_e64 v3, v3, v25, s[4:5]
	v_mul_f32_e32 v11, v3, v11
	v_mul_f32_e32 v3, v3, v24
	;; [unrolled: 1-line block ×4, first 2 shown]
	s_and_saveexec_b64 s[2:3], vcc
	s_cbranch_execz .LBB7_14
; %bb.16:                               ;   in Loop: Header=BB7_15 Depth=1
	ds_bpermute_b32 v22, v15, v11
	; wave barrier
	ds_read_b32 v23, v16
	ds_read_b32 v24, v17
	ds_bpermute_b32 v25, v15, v3
	ds_read_b32 v26, v18
	ds_read_b32 v27, v19
	s_waitcnt lgkmcnt(5)
	v_cndmask_b32_e64 v22, v22, -v22, s[0:1]
	s_waitcnt lgkmcnt(3)
	v_mul_f32_e32 v22, v22, v24
	v_fmac_f32_e32 v22, v11, v23
	s_waitcnt lgkmcnt(2)
	v_cndmask_b32_e64 v11, v25, -v25, s[0:1]
	s_waitcnt lgkmcnt(0)
	v_mul_f32_e32 v23, v11, v27
	v_fmac_f32_e32 v23, v3, v26
	v_mov_b32_e32 v11, v22
	v_mov_b32_e32 v3, v23
	; wave barrier
	s_branch .LBB7_14
.LBB7_17:
	s_endpgm
	.section	.rodata,"a",@progbits
	.p2align	6, 0x0
	.amdhsa_kernel _ZN12tensorrt_llm7kernels32fusedQKNormRopeKernelNTokenHeadsIN3c104HalfEfLi64ELb0ELi2EEEvPviiifPKvS6_S6_PKlii
		.amdhsa_group_segment_fixed_size 0
		.amdhsa_private_segment_fixed_size 0
		.amdhsa_kernarg_size 320
		.amdhsa_user_sgpr_count 6
		.amdhsa_user_sgpr_private_segment_buffer 1
		.amdhsa_user_sgpr_dispatch_ptr 0
		.amdhsa_user_sgpr_queue_ptr 0
		.amdhsa_user_sgpr_kernarg_segment_ptr 1
		.amdhsa_user_sgpr_dispatch_id 0
		.amdhsa_user_sgpr_flat_scratch_init 0
		.amdhsa_user_sgpr_kernarg_preload_length 0
		.amdhsa_user_sgpr_kernarg_preload_offset 0
		.amdhsa_user_sgpr_private_segment_size 0
		.amdhsa_uses_dynamic_stack 0
		.amdhsa_system_sgpr_private_segment_wavefront_offset 0
		.amdhsa_system_sgpr_workgroup_id_x 1
		.amdhsa_system_sgpr_workgroup_id_y 0
		.amdhsa_system_sgpr_workgroup_id_z 0
		.amdhsa_system_sgpr_workgroup_info 0
		.amdhsa_system_vgpr_workitem_id 0
		.amdhsa_next_free_vgpr 28
		.amdhsa_next_free_sgpr 24
		.amdhsa_accum_offset 28
		.amdhsa_reserve_vcc 1
		.amdhsa_reserve_flat_scratch 0
		.amdhsa_float_round_mode_32 0
		.amdhsa_float_round_mode_16_64 0
		.amdhsa_float_denorm_mode_32 3
		.amdhsa_float_denorm_mode_16_64 3
		.amdhsa_dx10_clamp 1
		.amdhsa_ieee_mode 1
		.amdhsa_fp16_overflow 0
		.amdhsa_tg_split 0
		.amdhsa_exception_fp_ieee_invalid_op 0
		.amdhsa_exception_fp_denorm_src 0
		.amdhsa_exception_fp_ieee_div_zero 0
		.amdhsa_exception_fp_ieee_overflow 0
		.amdhsa_exception_fp_ieee_underflow 0
		.amdhsa_exception_fp_ieee_inexact 0
		.amdhsa_exception_int_div_zero 0
	.end_amdhsa_kernel
	.section	.text._ZN12tensorrt_llm7kernels32fusedQKNormRopeKernelNTokenHeadsIN3c104HalfEfLi64ELb0ELi2EEEvPviiifPKvS6_S6_PKlii,"axG",@progbits,_ZN12tensorrt_llm7kernels32fusedQKNormRopeKernelNTokenHeadsIN3c104HalfEfLi64ELb0ELi2EEEvPviiifPKvS6_S6_PKlii,comdat
.Lfunc_end7:
	.size	_ZN12tensorrt_llm7kernels32fusedQKNormRopeKernelNTokenHeadsIN3c104HalfEfLi64ELb0ELi2EEEvPviiifPKvS6_S6_PKlii, .Lfunc_end7-_ZN12tensorrt_llm7kernels32fusedQKNormRopeKernelNTokenHeadsIN3c104HalfEfLi64ELb0ELi2EEEvPviiifPKvS6_S6_PKlii
                                        ; -- End function
	.section	.AMDGPU.csdata,"",@progbits
; Kernel info:
; codeLenInByte = 1988
; NumSgprs: 28
; NumVgprs: 28
; NumAgprs: 0
; TotalNumVgprs: 28
; ScratchSize: 0
; MemoryBound: 0
; FloatMode: 240
; IeeeMode: 1
; LDSByteSize: 0 bytes/workgroup (compile time only)
; SGPRBlocks: 3
; VGPRBlocks: 3
; NumSGPRsForWavesPerEU: 28
; NumVGPRsForWavesPerEU: 28
; AccumOffset: 28
; Occupancy: 8
; WaveLimiterHint : 0
; COMPUTE_PGM_RSRC2:SCRATCH_EN: 0
; COMPUTE_PGM_RSRC2:USER_SGPR: 6
; COMPUTE_PGM_RSRC2:TRAP_HANDLER: 0
; COMPUTE_PGM_RSRC2:TGID_X_EN: 1
; COMPUTE_PGM_RSRC2:TGID_Y_EN: 0
; COMPUTE_PGM_RSRC2:TGID_Z_EN: 0
; COMPUTE_PGM_RSRC2:TIDIG_COMP_CNT: 0
; COMPUTE_PGM_RSRC3_GFX90A:ACCUM_OFFSET: 6
; COMPUTE_PGM_RSRC3_GFX90A:TG_SPLIT: 0
	.section	.text._ZN12tensorrt_llm7kernels32fusedQKNormRopeKernelNTokenHeadsIN3c104HalfEfLi128ELb1ELi2EEEvPviiifPKvS6_S6_PKlii,"axG",@progbits,_ZN12tensorrt_llm7kernels32fusedQKNormRopeKernelNTokenHeadsIN3c104HalfEfLi128ELb1ELi2EEEvPviiifPKvS6_S6_PKlii,comdat
	.protected	_ZN12tensorrt_llm7kernels32fusedQKNormRopeKernelNTokenHeadsIN3c104HalfEfLi128ELb1ELi2EEEvPviiifPKvS6_S6_PKlii ; -- Begin function _ZN12tensorrt_llm7kernels32fusedQKNormRopeKernelNTokenHeadsIN3c104HalfEfLi128ELb1ELi2EEEvPviiifPKvS6_S6_PKlii
	.globl	_ZN12tensorrt_llm7kernels32fusedQKNormRopeKernelNTokenHeadsIN3c104HalfEfLi128ELb1ELi2EEEvPviiifPKvS6_S6_PKlii
	.p2align	8
	.type	_ZN12tensorrt_llm7kernels32fusedQKNormRopeKernelNTokenHeadsIN3c104HalfEfLi128ELb1ELi2EEEvPviiifPKvS6_S6_PKlii,@function
_ZN12tensorrt_llm7kernels32fusedQKNormRopeKernelNTokenHeadsIN3c104HalfEfLi128ELb1ELi2EEEvPviiifPKvS6_S6_PKlii: ; @_ZN12tensorrt_llm7kernels32fusedQKNormRopeKernelNTokenHeadsIN3c104HalfEfLi128ELb1ELi2EEEvPviiifPKvS6_S6_PKlii
; %bb.0:
	s_load_dwordx4 s[12:15], s[4:5], 0x8
	s_load_dwordx2 s[16:17], s[4:5], 0x38
	s_load_dword s1, s[4:5], 0x4c
	v_lshrrev_b32_e32 v3, 5, v0
	s_waitcnt lgkmcnt(0)
	s_add_i32 s0, s13, s12
	s_add_i32 s2, s0, 1
	s_lshr_b32 s3, s2, 31
	s_add_i32 s2, s2, s3
	s_ashr_i32 s20, s2, 1
	s_abs_i32 s2, s20
	v_cvt_f32_u32_e32 v1, s2
	s_bfe_u32 s1, s1, 0xb0005
	s_mul_i32 s6, s6, s1
	s_sub_i32 s3, 0, s2
	v_rcp_iflag_f32_e32 v2, v1
	v_add_u32_e32 v1, s6, v3
	v_sub_u32_e32 v4, 0, v1
	v_max_i32_e32 v4, v1, v4
	v_mul_f32_e32 v2, 0x4f7ffffe, v2
	v_cvt_u32_f32_e32 v2, v2
	v_xor_b32_e32 v5, s20, v1
	v_ashrrev_i32_e32 v5, 31, v5
	v_mul_lo_u32 v6, s3, v2
	v_mul_hi_u32 v6, v2, v6
	v_add_u32_e32 v2, v2, v6
	v_mul_hi_u32 v2, v4, v2
	v_mul_lo_u32 v6, v2, s2
	v_sub_u32_e32 v4, v4, v6
	v_add_u32_e32 v6, 1, v2
	v_cmp_le_u32_e32 vcc, s2, v4
	v_cndmask_b32_e32 v2, v2, v6, vcc
	v_subrev_u32_e32 v6, s2, v4
	v_cndmask_b32_e32 v4, v4, v6, vcc
	v_add_u32_e32 v6, 1, v2
	v_cmp_le_u32_e32 vcc, s2, v4
	v_cndmask_b32_e32 v2, v2, v6, vcc
	v_xor_b32_e32 v2, v2, v5
	v_sub_u32_e32 v2, v2, v5
	v_cmp_gt_i32_e32 vcc, s16, v2
	s_and_saveexec_b64 s[2:3], vcc
	s_cbranch_execz .LBB8_12
; %bb.1:
	v_and_b32_e32 v6, 31, v0
	v_mul_lo_u32 v0, v2, s20
	v_sub_u32_e32 v0, v1, v0
	s_load_dwordx2 s[2:3], s[4:5], 0x0
	v_lshlrev_b32_e32 v10, 1, v0
	v_add_u32_e32 v0, 2, v10
	v_sub_u32_e32 v4, s0, v10
	v_cmp_lt_i32_e32 vcc, s0, v0
	v_cndmask_b32_e32 v11, 2, v4, vcc
	s_lshl_b32 s18, s17, 2
	s_mul_i32 s16, s18, s1
	v_lshlrev_b32_e32 v9, 9, v3
	v_cmp_lt_i32_e64 s[0:1], 0, v11
	v_lshlrev_b32_e32 v8, 3, v6
	v_lshlrev_b32_e32 v7, 8, v1
	s_and_saveexec_b64 s[6:7], s[0:1]
	s_cbranch_execz .LBB8_4
; %bb.2:
	s_add_i32 s8, s16, 0
	v_add3_u32 v4, s8, v9, v8
	s_add_i32 s8, s14, s13
	s_add_i32 s8, s8, s12
	s_lshl_b32 s9, s20, 1
	s_sub_i32 s8, s8, s9
	v_mul_lo_u32 v0, s8, v2
	v_lshl_add_u32 v0, v0, 7, v7
	s_mov_b32 s10, 0
	v_lshl_or_b32 v0, v6, 2, v0
	s_mov_b64 s[8:9], 0
	s_waitcnt lgkmcnt(0)
	v_mov_b32_e32 v5, s3
.LBB8_3:                                ; =>This Inner Loop Header: Depth=1
	v_ashrrev_i32_e32 v1, 31, v0
	v_lshlrev_b64 v[12:13], 1, v[0:1]
	v_add_co_u32_e32 v12, vcc, s2, v12
	v_addc_co_u32_e32 v13, vcc, v5, v13, vcc
	global_load_dwordx2 v[12:13], v[12:13], off
	s_add_i32 s10, s10, 1
	v_cmp_ge_i32_e32 vcc, s10, v11
	v_add_u32_e32 v0, 0x80, v0
	s_or_b64 s[8:9], vcc, s[8:9]
	s_waitcnt vmcnt(0)
	ds_write_b64 v4, v[12:13]
	v_add_u32_e32 v4, 0x100, v4
	s_andn2_b64 exec, exec, s[8:9]
	s_cbranch_execnz .LBB8_3
.LBB8_4:
	s_or_b64 exec, exec, s[6:7]
	s_add_i32 s18, s18, 15
	s_load_dwordx8 s[4:11], s[4:5], 0x18
	s_ashr_i32 s19, s18, 31
	s_lshr_b32 s19, s19, 28
	s_add_i32 s18, s18, s19
	s_ashr_i32 s21, s18, 4
	v_mul_lo_u32 v0, v3, s17
	v_cmp_gt_i32_e32 vcc, s21, v6
	v_lshlrev_b32_e32 v12, 2, v0
	s_and_saveexec_b64 s[18:19], vcc
	s_cbranch_execz .LBB8_7
; %bb.5:
	v_ashrrev_i32_e32 v3, 31, v2
	v_lshlrev_b64 v[0:1], 3, v[2:3]
	s_waitcnt lgkmcnt(0)
	v_mov_b32_e32 v3, s11
	v_add_co_u32_e32 v0, vcc, s10, v0
	v_addc_co_u32_e32 v1, vcc, v3, v1, vcc
	global_load_dwordx2 v[0:1], v[0:1], off
	s_ashr_i32 s22, s17, 31
	v_lshlrev_b32_e32 v4, 4, v6
	v_mov_b32_e32 v5, s9
	s_mov_b64 s[10:11], 0
	v_add3_u32 v3, v12, v4, 0
	s_waitcnt vmcnt(0)
	v_mul_lo_u32 v13, v1, s17
	v_mul_lo_u32 v14, v0, s22
	v_mad_u64_u32 v[0:1], s[22:23], v0, s17, 0
	v_add3_u32 v1, v1, v14, v13
	v_lshlrev_b64 v[0:1], 2, v[0:1]
	v_add_co_u32_e32 v0, vcc, v0, v4
	v_addc_co_u32_e32 v1, vcc, 0, v1, vcc
	v_add_co_u32_e32 v0, vcc, s8, v0
	v_addc_co_u32_e32 v1, vcc, v5, v1, vcc
	v_mov_b32_e32 v4, v6
.LBB8_6:                                ; =>This Inner Loop Header: Depth=1
	global_load_dwordx4 v[14:17], v[0:1], off
	v_add_co_u32_e32 v0, vcc, 0x200, v0
	v_add_u32_e32 v4, 32, v4
	v_addc_co_u32_e32 v1, vcc, 0, v1, vcc
	v_cmp_le_i32_e32 vcc, s21, v4
	s_or_b64 s[10:11], vcc, s[10:11]
	s_waitcnt vmcnt(0)
	ds_write_b128 v3, v[14:17]
	v_add_u32_e32 v3, 0x200, v3
	s_andn2_b64 exec, exec, s[10:11]
	s_cbranch_execnz .LBB8_6
.LBB8_7:
	s_or_b64 exec, exec, s[18:19]
	s_and_b64 exec, exec, s[0:1]
	s_cbranch_execz .LBB8_12
; %bb.8:
	s_waitcnt lgkmcnt(0)
	global_load_dwordx2 v[0:1], v8, s[4:5]
	global_load_dwordx2 v[4:5], v8, s[6:7]
	v_mbcnt_lo_u32_b32 v3, -1, 0
	v_add_u32_e32 v9, s16, v9
	v_mbcnt_hi_u32_b32 v3, -1, v3
	v_add3_u32 v12, 0, v12, v8
	v_add3_u32 v14, v9, v8, 0
	v_and_b32_e32 v8, 0x60, v3
	v_xor_b32_e32 v9, 16, v3
	v_add_u32_e32 v8, 32, v8
	v_xor_b32_e32 v15, 8, v3
	v_cmp_lt_i32_e32 vcc, v9, v8
	s_add_i32 s8, s14, s13
	v_xor_b32_e32 v16, 4, v3
	v_cndmask_b32_e32 v9, v3, v9, vcc
	v_cmp_lt_i32_e32 vcc, v15, v8
	s_lshr_b32 s0, s17, 31
	s_ashr_i32 s1, s17, 31
	s_lshl_b32 s9, s20, 1
	s_add_i32 s8, s8, s12
	v_xor_b32_e32 v17, 2, v3
	v_cndmask_b32_e32 v19, v3, v15, vcc
	v_cmp_lt_i32_e32 vcc, v16, v8
	s_add_i32 s0, s17, s0
	s_lshr_b32 s1, s1, 30
	v_xor_b32_e32 v18, 1, v3
	s_sub_i32 s8, s8, s9
	v_cndmask_b32_e32 v20, v3, v16, vcc
	v_cmp_lt_i32_e32 vcc, v17, v8
	s_lshl_b32 s0, s0, 1
	s_add_i32 s1, s17, s1
	v_mul_lo_u32 v2, s8, v2
	v_cndmask_b32_e32 v21, v3, v17, vcc
	v_cmp_lt_i32_e32 vcc, v18, v8
	s_and_b32 s0, s0, -4
	s_ashr_i32 s1, s1, 2
	v_cndmask_b32_e32 v3, v3, v18, vcc
	v_lshl_add_u32 v2, v2, 7, v7
	s_mov_b32 s6, 0
	s_mov_b64 s[4:5], 0
	v_mov_b32_e32 v13, s15
	s_mov_b32 s7, 0x800000
	v_cmp_gt_i32_e32 vcc, s1, v6
	v_add_u32_e32 v15, s0, v12
	v_lshlrev_b32_e32 v16, 2, v9
	v_lshlrev_b32_e32 v17, 2, v19
	;; [unrolled: 1-line block ×5, first 2 shown]
	v_lshl_or_b32 v2, v6, 2, v2
	s_waitcnt vmcnt(1)
	v_lshrrev_b32_e32 v21, 16, v0
	s_waitcnt vmcnt(0)
	v_lshrrev_b32_e32 v22, 16, v4
	v_lshrrev_b32_e32 v23, 16, v1
	;; [unrolled: 1-line block ×3, first 2 shown]
	s_branch .LBB8_10
.LBB8_9:                                ;   in Loop: Header=BB8_10 Depth=1
	s_or_b64 exec, exec, s[0:1]
	v_ashrrev_i32_e32 v3, 31, v2
	v_cvt_f16_f32_e32 v25, v6
	v_cvt_f16_f32_e32 v26, v7
	v_cvt_f16_f32_e32 v8, v8
	v_cvt_f16_f32_e32 v9, v9
	v_lshlrev_b64 v[6:7], 1, v[2:3]
	v_mov_b32_e32 v3, s3
	v_add_co_u32_e64 v6, s[0:1], s2, v6
	v_addc_co_u32_e64 v7, s[0:1], v3, v7, s[0:1]
	s_add_i32 s6, s6, 1
	v_cmp_ge_i32_e64 s[0:1], s6, v11
	v_pack_b32_f16 v9, v8, v9
	v_pack_b32_f16 v8, v25, v26
	v_add_u32_e32 v2, 0x80, v2
	s_or_b64 s[4:5], s[0:1], s[4:5]
	v_add_u32_e32 v14, 0x100, v14
	global_store_dwordx2 v[6:7], v[8:9], off
	s_andn2_b64 exec, exec, s[4:5]
	s_cbranch_execz .LBB8_12
.LBB8_10:                               ; =>This Inner Loop Header: Depth=1
	ds_read_b64 v[6:7], v14
	s_waitcnt lgkmcnt(0)
	v_cvt_f32_f16_sdwa v9, v7 dst_sel:DWORD dst_unused:UNUSED_PAD src0_sel:WORD_1
	v_cvt_f32_f16_e32 v8, v7
	v_cvt_f32_f16_sdwa v7, v6 dst_sel:DWORD dst_unused:UNUSED_PAD src0_sel:WORD_1
	v_cvt_f32_f16_e32 v6, v6
	v_pk_mul_f32 v[26:27], v[8:9], v[8:9]
	v_pk_mul_f32 v[28:29], v[6:7], v[6:7]
	v_add_f32_e32 v3, v28, v29
	v_add_f32_e32 v3, v3, v26
	;; [unrolled: 1-line block ×3, first 2 shown]
	ds_bpermute_b32 v25, v16, v3
	v_add_u32_e32 v26, s6, v10
	v_mov_b32_e32 v28, v13
	v_cmp_gt_i32_e64 s[0:1], s12, v26
	v_cndmask_b32_e64 v26, v22, v21, s[0:1]
	s_waitcnt lgkmcnt(0)
	v_add_f32_e32 v3, v3, v25
	ds_bpermute_b32 v25, v17, v3
	v_cndmask_b32_e64 v29, v4, v0, s[0:1]
	v_cndmask_b32_e64 v30, v24, v23, s[0:1]
	v_cndmask_b32_e64 v31, v5, v1, s[0:1]
	v_cvt_f32_f16_e32 v27, v26
	s_waitcnt lgkmcnt(0)
	v_add_f32_e32 v3, v3, v25
	ds_bpermute_b32 v25, v18, v3
	v_cvt_f32_f16_e32 v26, v29
	v_cvt_f32_f16_e32 v29, v30
	s_waitcnt lgkmcnt(0)
	v_add_f32_e32 v3, v3, v25
	ds_bpermute_b32 v25, v19, v3
	s_waitcnt lgkmcnt(0)
	v_add_f32_e32 v3, v3, v25
	ds_bpermute_b32 v25, v20, v3
	s_waitcnt lgkmcnt(0)
	v_add_f32_e32 v3, v3, v25
	v_fmac_f32_e32 v28, 0x3c000000, v3
	v_mul_f32_e32 v3, 0x4b800000, v28
	v_cmp_gt_f32_e64 s[0:1], s7, v28
	v_cndmask_b32_e64 v3, v28, v3, s[0:1]
	v_rsq_f32_e32 v3, v3
	v_cvt_f32_f16_e32 v28, v31
	v_mul_f32_e32 v25, 0x45800000, v3
	v_cndmask_b32_e64 v30, v3, v25, s[0:1]
	v_pk_mul_f32 v[26:27], v[30:31], v[26:27] op_sel_hi:[0,1]
	v_pk_mul_f32 v[28:29], v[30:31], v[28:29] op_sel_hi:[0,1]
	v_pk_mul_f32 v[6:7], v[26:27], v[6:7]
	v_pk_mul_f32 v[8:9], v[28:29], v[8:9]
	s_and_saveexec_b64 s[0:1], vcc
	s_cbranch_execz .LBB8_9
; %bb.11:                               ;   in Loop: Header=BB8_10 Depth=1
	ds_read2_b32 v[26:27], v15 offset1:1
	ds_read2_b32 v[28:29], v12 offset1:1
	s_waitcnt lgkmcnt(1)
	v_pk_mul_f32 v[30:31], v[6:7], v[26:27] op_sel_hi:[1,0]
	s_waitcnt lgkmcnt(0)
	v_pk_mul_f32 v[32:33], v[6:7], v[28:29] op_sel_hi:[1,0]
	v_pk_fma_f32 v[6:7], v[6:7], v[28:29], v[30:31] op_sel:[0,0,1] op_sel_hi:[1,0,0]
	v_mov_b32_e32 v28, v27
	v_mul_f32_e32 v3, v9, v27
	v_pk_mul_f32 v[26:27], v[8:9], v[28:29]
	v_mov_b32_e32 v6, v27
	v_fma_f32 v3, v8, v29, -v3
	v_pk_fma_f32 v[26:27], v[8:9], v[28:29], v[6:7]
	v_sub_f32_e32 v6, v32, v31
	v_mov_b32_e32 v8, v3
	v_mov_b32_e32 v9, v26
	s_branch .LBB8_9
.LBB8_12:
	s_endpgm
	.section	.rodata,"a",@progbits
	.p2align	6, 0x0
	.amdhsa_kernel _ZN12tensorrt_llm7kernels32fusedQKNormRopeKernelNTokenHeadsIN3c104HalfEfLi128ELb1ELi2EEEvPviiifPKvS6_S6_PKlii
		.amdhsa_group_segment_fixed_size 0
		.amdhsa_private_segment_fixed_size 0
		.amdhsa_kernarg_size 320
		.amdhsa_user_sgpr_count 6
		.amdhsa_user_sgpr_private_segment_buffer 1
		.amdhsa_user_sgpr_dispatch_ptr 0
		.amdhsa_user_sgpr_queue_ptr 0
		.amdhsa_user_sgpr_kernarg_segment_ptr 1
		.amdhsa_user_sgpr_dispatch_id 0
		.amdhsa_user_sgpr_flat_scratch_init 0
		.amdhsa_user_sgpr_kernarg_preload_length 0
		.amdhsa_user_sgpr_kernarg_preload_offset 0
		.amdhsa_user_sgpr_private_segment_size 0
		.amdhsa_uses_dynamic_stack 0
		.amdhsa_system_sgpr_private_segment_wavefront_offset 0
		.amdhsa_system_sgpr_workgroup_id_x 1
		.amdhsa_system_sgpr_workgroup_id_y 0
		.amdhsa_system_sgpr_workgroup_id_z 0
		.amdhsa_system_sgpr_workgroup_info 0
		.amdhsa_system_vgpr_workitem_id 0
		.amdhsa_next_free_vgpr 34
		.amdhsa_next_free_sgpr 24
		.amdhsa_accum_offset 36
		.amdhsa_reserve_vcc 1
		.amdhsa_reserve_flat_scratch 0
		.amdhsa_float_round_mode_32 0
		.amdhsa_float_round_mode_16_64 0
		.amdhsa_float_denorm_mode_32 3
		.amdhsa_float_denorm_mode_16_64 3
		.amdhsa_dx10_clamp 1
		.amdhsa_ieee_mode 1
		.amdhsa_fp16_overflow 0
		.amdhsa_tg_split 0
		.amdhsa_exception_fp_ieee_invalid_op 0
		.amdhsa_exception_fp_denorm_src 0
		.amdhsa_exception_fp_ieee_div_zero 0
		.amdhsa_exception_fp_ieee_overflow 0
		.amdhsa_exception_fp_ieee_underflow 0
		.amdhsa_exception_fp_ieee_inexact 0
		.amdhsa_exception_int_div_zero 0
	.end_amdhsa_kernel
	.section	.text._ZN12tensorrt_llm7kernels32fusedQKNormRopeKernelNTokenHeadsIN3c104HalfEfLi128ELb1ELi2EEEvPviiifPKvS6_S6_PKlii,"axG",@progbits,_ZN12tensorrt_llm7kernels32fusedQKNormRopeKernelNTokenHeadsIN3c104HalfEfLi128ELb1ELi2EEEvPviiifPKvS6_S6_PKlii,comdat
.Lfunc_end8:
	.size	_ZN12tensorrt_llm7kernels32fusedQKNormRopeKernelNTokenHeadsIN3c104HalfEfLi128ELb1ELi2EEEvPviiifPKvS6_S6_PKlii, .Lfunc_end8-_ZN12tensorrt_llm7kernels32fusedQKNormRopeKernelNTokenHeadsIN3c104HalfEfLi128ELb1ELi2EEEvPviiifPKvS6_S6_PKlii
                                        ; -- End function
	.section	.AMDGPU.csdata,"",@progbits
; Kernel info:
; codeLenInByte = 1476
; NumSgprs: 28
; NumVgprs: 34
; NumAgprs: 0
; TotalNumVgprs: 34
; ScratchSize: 0
; MemoryBound: 0
; FloatMode: 240
; IeeeMode: 1
; LDSByteSize: 0 bytes/workgroup (compile time only)
; SGPRBlocks: 3
; VGPRBlocks: 4
; NumSGPRsForWavesPerEU: 28
; NumVGPRsForWavesPerEU: 34
; AccumOffset: 36
; Occupancy: 8
; WaveLimiterHint : 0
; COMPUTE_PGM_RSRC2:SCRATCH_EN: 0
; COMPUTE_PGM_RSRC2:USER_SGPR: 6
; COMPUTE_PGM_RSRC2:TRAP_HANDLER: 0
; COMPUTE_PGM_RSRC2:TGID_X_EN: 1
; COMPUTE_PGM_RSRC2:TGID_Y_EN: 0
; COMPUTE_PGM_RSRC2:TGID_Z_EN: 0
; COMPUTE_PGM_RSRC2:TIDIG_COMP_CNT: 0
; COMPUTE_PGM_RSRC3_GFX90A:ACCUM_OFFSET: 8
; COMPUTE_PGM_RSRC3_GFX90A:TG_SPLIT: 0
	.section	.text._ZN12tensorrt_llm7kernels32fusedQKNormRopeKernelNTokenHeadsIN3c104HalfEfLi128ELb0ELi2EEEvPviiifPKvS6_S6_PKlii,"axG",@progbits,_ZN12tensorrt_llm7kernels32fusedQKNormRopeKernelNTokenHeadsIN3c104HalfEfLi128ELb0ELi2EEEvPviiifPKvS6_S6_PKlii,comdat
	.protected	_ZN12tensorrt_llm7kernels32fusedQKNormRopeKernelNTokenHeadsIN3c104HalfEfLi128ELb0ELi2EEEvPviiifPKvS6_S6_PKlii ; -- Begin function _ZN12tensorrt_llm7kernels32fusedQKNormRopeKernelNTokenHeadsIN3c104HalfEfLi128ELb0ELi2EEEvPviiifPKvS6_S6_PKlii
	.globl	_ZN12tensorrt_llm7kernels32fusedQKNormRopeKernelNTokenHeadsIN3c104HalfEfLi128ELb0ELi2EEEvPviiifPKvS6_S6_PKlii
	.p2align	8
	.type	_ZN12tensorrt_llm7kernels32fusedQKNormRopeKernelNTokenHeadsIN3c104HalfEfLi128ELb0ELi2EEEvPviiifPKvS6_S6_PKlii,@function
_ZN12tensorrt_llm7kernels32fusedQKNormRopeKernelNTokenHeadsIN3c104HalfEfLi128ELb0ELi2EEEvPviiifPKvS6_S6_PKlii: ; @_ZN12tensorrt_llm7kernels32fusedQKNormRopeKernelNTokenHeadsIN3c104HalfEfLi128ELb0ELi2EEEvPviiifPKvS6_S6_PKlii
; %bb.0:
	s_load_dwordx4 s[12:15], s[4:5], 0x8
	s_load_dwordx2 s[2:3], s[4:5], 0x38
	s_load_dword s1, s[4:5], 0x4c
	v_lshrrev_b32_e32 v2, 5, v0
	s_waitcnt lgkmcnt(0)
	s_add_i32 s0, s13, s12
	s_add_i32 s7, s0, 1
	s_lshr_b32 s8, s7, 31
	s_add_i32 s7, s7, s8
	s_ashr_i32 s20, s7, 1
	s_abs_i32 s7, s20
	v_cvt_f32_u32_e32 v1, s7
	s_bfe_u32 s1, s1, 0xb0005
	s_mul_i32 s6, s6, s1
	v_rcp_iflag_f32_e32 v3, v1
	v_add_u32_e32 v1, s6, v2
	s_sub_i32 s6, 0, s7
	v_sub_u32_e32 v4, 0, v1
	v_mul_f32_e32 v3, 0x4f7ffffe, v3
	v_cvt_u32_f32_e32 v3, v3
	v_max_i32_e32 v4, v1, v4
	v_xor_b32_e32 v5, s20, v1
	v_ashrrev_i32_e32 v5, 31, v5
	v_mul_lo_u32 v6, s6, v3
	v_mul_hi_u32 v6, v3, v6
	v_add_u32_e32 v3, v3, v6
	v_mul_hi_u32 v3, v4, v3
	v_mul_lo_u32 v6, v3, s7
	v_sub_u32_e32 v4, v4, v6
	v_add_u32_e32 v6, 1, v3
	v_cmp_le_u32_e32 vcc, s7, v4
	v_cndmask_b32_e32 v3, v3, v6, vcc
	v_subrev_u32_e32 v6, s7, v4
	v_cndmask_b32_e32 v4, v4, v6, vcc
	v_add_u32_e32 v6, 1, v3
	v_cmp_le_u32_e32 vcc, s7, v4
	v_cndmask_b32_e32 v3, v3, v6, vcc
	v_xor_b32_e32 v3, v3, v5
	v_sub_u32_e32 v4, v3, v5
	v_cmp_gt_i32_e32 vcc, s2, v4
	s_and_saveexec_b64 s[6:7], vcc
	s_cbranch_execz .LBB9_12
; %bb.1:
	v_and_b32_e32 v8, 31, v0
	v_mul_lo_u32 v0, v4, s20
	v_sub_u32_e32 v0, v1, v0
	s_load_dwordx2 s[16:17], s[4:5], 0x0
	v_lshlrev_b32_e32 v6, 1, v0
	v_add_u32_e32 v0, 2, v6
	v_sub_u32_e32 v3, s0, v6
	v_cmp_lt_i32_e32 vcc, s0, v0
	v_cndmask_b32_e32 v7, 2, v3, vcc
	s_lshl_b32 s2, s3, 2
	s_mul_i32 s21, s2, s1
	v_lshlrev_b32_e32 v9, 9, v2
	v_cmp_lt_i32_e64 s[0:1], 0, v7
	v_lshlrev_b32_e32 v10, 3, v8
	v_lshlrev_b32_e32 v11, 8, v1
	s_and_saveexec_b64 s[6:7], s[0:1]
	s_cbranch_execz .LBB9_4
; %bb.2:
	s_add_i32 s8, s21, 0
	v_add3_u32 v3, s8, v9, v10
	s_add_i32 s8, s14, s13
	s_add_i32 s8, s8, s12
	s_lshl_b32 s9, s20, 1
	s_sub_i32 s8, s8, s9
	v_mul_lo_u32 v0, s8, v4
	v_lshl_add_u32 v0, v0, 7, v11
	s_mov_b32 s10, 0
	v_lshl_or_b32 v0, v8, 2, v0
	s_mov_b64 s[8:9], 0
	s_waitcnt lgkmcnt(0)
	v_mov_b32_e32 v5, s17
.LBB9_3:                                ; =>This Inner Loop Header: Depth=1
	v_ashrrev_i32_e32 v1, 31, v0
	v_lshlrev_b64 v[12:13], 1, v[0:1]
	v_add_co_u32_e32 v12, vcc, s16, v12
	v_addc_co_u32_e32 v13, vcc, v5, v13, vcc
	global_load_dwordx2 v[12:13], v[12:13], off
	s_add_i32 s10, s10, 1
	v_cmp_ge_i32_e32 vcc, s10, v7
	v_add_u32_e32 v0, 0x80, v0
	s_or_b64 s[8:9], vcc, s[8:9]
	s_waitcnt vmcnt(0)
	ds_write_b64 v3, v[12:13]
	v_add_u32_e32 v3, 0x100, v3
	s_andn2_b64 exec, exec, s[8:9]
	s_cbranch_execnz .LBB9_3
.LBB9_4:
	s_or_b64 exec, exec, s[6:7]
	s_add_i32 s2, s2, 15
	s_load_dwordx8 s[4:11], s[4:5], 0x18
	s_ashr_i32 s18, s2, 31
	s_lshr_b32 s18, s18, 28
	s_add_i32 s2, s2, s18
	s_ashr_i32 s2, s2, 4
	v_cmp_gt_i32_e32 vcc, s2, v8
	v_mul_lo_u32 v12, v2, s3
	s_and_saveexec_b64 s[18:19], vcc
	s_cbranch_execz .LBB9_7
; %bb.5:
	v_ashrrev_i32_e32 v5, 31, v4
	v_lshlrev_b64 v[0:1], 3, v[4:5]
	s_waitcnt lgkmcnt(0)
	v_mov_b32_e32 v2, s11
	v_add_co_u32_e32 v0, vcc, s10, v0
	v_addc_co_u32_e32 v1, vcc, v2, v1, vcc
	global_load_dwordx2 v[0:1], v[0:1], off
	s_ashr_i32 s22, s3, 31
	v_lshlrev_b32_e32 v3, 4, v8
	v_lshlrev_b32_e32 v2, 2, v12
	v_mov_b32_e32 v5, s9
	s_mov_b64 s[10:11], 0
	v_add3_u32 v2, v2, v3, 0
	s_waitcnt vmcnt(0)
	v_mul_lo_u32 v13, v1, s3
	v_mul_lo_u32 v14, v0, s22
	v_mad_u64_u32 v[0:1], s[22:23], v0, s3, 0
	v_add3_u32 v1, v1, v14, v13
	v_lshlrev_b64 v[0:1], 2, v[0:1]
	v_add_co_u32_e32 v0, vcc, v0, v3
	v_addc_co_u32_e32 v1, vcc, 0, v1, vcc
	v_add_co_u32_e32 v0, vcc, s8, v0
	v_addc_co_u32_e32 v1, vcc, v5, v1, vcc
	v_mov_b32_e32 v3, v8
.LBB9_6:                                ; =>This Inner Loop Header: Depth=1
	global_load_dwordx4 v[14:17], v[0:1], off
	v_add_co_u32_e32 v0, vcc, 0x200, v0
	v_add_u32_e32 v3, 32, v3
	v_addc_co_u32_e32 v1, vcc, 0, v1, vcc
	v_cmp_le_i32_e32 vcc, s2, v3
	s_or_b64 s[10:11], vcc, s[10:11]
	s_waitcnt vmcnt(0)
	ds_write_b128 v2, v[14:17]
	v_add_u32_e32 v2, 0x200, v2
	s_andn2_b64 exec, exec, s[10:11]
	s_cbranch_execnz .LBB9_6
.LBB9_7:
	s_or_b64 exec, exec, s[18:19]
	s_and_b64 exec, exec, s[0:1]
	s_cbranch_execz .LBB9_12
; %bb.8:
	s_waitcnt lgkmcnt(0)
	global_load_dwordx2 v[0:1], v10, s[4:5]
	global_load_dwordx2 v[2:3], v10, s[6:7]
	v_lshl_add_u32 v5, v12, 2, 0
	v_mbcnt_lo_u32_b32 v12, -1, 0
	s_abs_i32 s4, s3
	v_mbcnt_hi_u32_b32 v17, -1, v12
	v_cvt_f32_u32_e32 v14, s4
	v_and_b32_e32 v12, 0x60, v17
	v_xor_b32_e32 v13, 16, v17
	v_add_u32_e32 v12, 32, v12
	v_xor_b32_e32 v15, 8, v17
	v_cmp_lt_i32_e32 vcc, v13, v12
	v_xor_b32_e32 v16, 4, v17
	v_cndmask_b32_e32 v13, v17, v13, vcc
	v_cmp_lt_i32_e32 vcc, v15, v12
	v_rcp_iflag_f32_e32 v23, v14
	v_xor_b32_e32 v19, 2, v17
	v_cndmask_b32_e32 v15, v17, v15, vcc
	v_cmp_lt_i32_e32 vcc, v16, v12
	v_cndmask_b32_e32 v16, v17, v16, vcc
	v_cmp_lt_i32_e32 vcc, v19, v12
	v_xor_b32_e32 v20, 1, v17
	v_cndmask_b32_e32 v19, v17, v19, vcc
	v_cmp_lt_i32_e32 vcc, v20, v12
	v_lshlrev_b32_e32 v12, 2, v13
	v_lshlrev_b32_e32 v13, 2, v15
	;; [unrolled: 1-line block ×3, first 2 shown]
	v_mul_f32_e32 v19, 0x4f7ffffe, v23
	v_cvt_u32_f32_e32 v19, v19
	s_sub_i32 s5, 0, s4
	v_cndmask_b32_e32 v20, v17, v20, vcc
	s_ashr_i32 s1, s3, 31
	v_lshlrev_b32_e32 v14, 2, v16
	v_lshlrev_b32_e32 v16, 2, v20
	v_mul_lo_u32 v20, s5, v19
	s_lshr_b32 s2, s1, 30
	s_lshr_b32 s1, s1, 29
	v_mul_hi_u32 v20, v19, v20
	s_add_i32 s1, s3, s1
	v_add_u32_e32 v30, v19, v20
	v_or_b32_e32 v18, 2, v10
	s_add_i32 s2, s3, s2
	v_and_b32_e32 v21, 64, v17
	s_ashr_i32 s1, s1, 3
	v_mul_hi_u32 v19, v10, v30
	s_lshr_b32 s0, s3, 31
	s_ashr_i32 s2, s2, 2
	v_add_u32_e32 v21, 64, v21
	v_xor_b32_e32 v22, s1, v17
	v_mul_hi_u32 v20, v18, v30
	v_mul_lo_u32 v19, v19, s4
	s_add_i32 s0, s3, s0
	v_cmp_gt_i32_e32 vcc, s2, v8
	v_cmp_lt_i32_e64 s[2:3], v22, v21
	v_mul_lo_u32 v20, v20, s4
	v_sub_u32_e32 v19, v10, v19
	v_cndmask_b32_e64 v17, v17, v22, s[2:3]
	v_sub_u32_e32 v24, v18, v20
	v_subrev_u32_e32 v18, s4, v19
	v_cmp_le_u32_e64 s[2:3], s4, v19
	v_cndmask_b32_e64 v18, v19, v18, s[2:3]
	v_or_b32_e32 v26, 4, v10
	v_subrev_u32_e32 v19, s4, v18
	v_cmp_le_u32_e64 s[2:3], s4, v18
	v_subrev_u32_e32 v25, s4, v24
	v_cndmask_b32_e64 v18, v18, v19, s[2:3]
	v_cmp_le_u32_e64 s[2:3], s4, v24
	v_mul_hi_u32 v27, v26, v30
	v_cndmask_b32_e64 v24, v24, v25, s[2:3]
	v_mul_lo_u32 v27, v27, s4
	v_or_b32_e32 v28, 6, v10
	v_subrev_u32_e32 v25, s4, v24
	v_cmp_le_u32_e64 s[2:3], s4, v24
	v_sub_u32_e32 v26, v26, v27
	v_cndmask_b32_e64 v24, v24, v25, s[2:3]
	v_subrev_u32_e32 v27, s4, v26
	v_cmp_le_u32_e64 s[2:3], s4, v26
	v_mul_hi_u32 v30, v28, v30
	v_cndmask_b32_e64 v26, v26, v27, s[2:3]
	v_mul_lo_u32 v30, v30, s4
	v_subrev_u32_e32 v27, s4, v26
	v_cmp_le_u32_e64 s[2:3], s4, v26
	v_sub_u32_e32 v28, v28, v30
	v_cndmask_b32_e64 v26, v26, v27, s[2:3]
	v_subrev_u32_e32 v30, s4, v28
	v_cmp_le_u32_e64 s[2:3], s4, v28
	v_cndmask_b32_e64 v28, v28, v30, s[2:3]
	v_subrev_u32_e32 v30, s4, v28
	v_cmp_le_u32_e64 s[2:3], s4, v28
	v_cndmask_b32_e64 v28, v28, v30, s[2:3]
	s_add_i32 s2, s14, s13
	s_add_i32 s2, s2, s12
	s_lshl_b32 s3, s20, 1
	s_lshl_b32 s0, s0, 1
	v_lshlrev_b32_e32 v18, 1, v18
	v_lshlrev_b32_e32 v24, 1, v24
	;; [unrolled: 1-line block ×4, first 2 shown]
	s_sub_i32 s2, s2, s3
	s_and_b32 s0, s0, -4
	v_and_b32_e32 v19, -4, v18
	v_and_b32_e32 v25, -4, v24
	;; [unrolled: 1-line block ×4, first 2 shown]
	v_mul_lo_u32 v4, s2, v4
	v_add_u32_e32 v29, s0, v5
	v_add_u32_e32 v18, v5, v19
	;; [unrolled: 1-line block ×5, first 2 shown]
	v_lshl_add_u32 v4, v4, 7, v11
	v_add_u32_e32 v5, s21, v9
	s_mov_b32 s6, 0
	v_cmp_gt_i32_e64 s[0:1], s1, v8
	v_lshlrev_b32_e32 v17, 2, v17
	v_add_u32_e32 v19, v29, v19
	s_waitcnt vmcnt(1)
	v_lshrrev_b32_e32 v20, 16, v0
	v_lshrrev_b32_e32 v21, 16, v1
	s_waitcnt vmcnt(0)
	v_lshrrev_b32_e32 v22, 16, v2
	v_lshrrev_b32_e32 v23, 16, v3
	v_add_u32_e32 v25, v29, v25
	v_add_u32_e32 v27, v29, v27
	;; [unrolled: 1-line block ×3, first 2 shown]
	v_lshl_or_b32 v4, v8, 2, v4
	v_add3_u32 v8, v5, v10, 0
	s_mov_b64 s[4:5], 0
	s_mov_b32 s7, 0x800000
	v_mov_b32_e32 v9, s15
	s_branch .LBB9_10
.LBB9_9:                                ;   in Loop: Header=BB9_10 Depth=1
	s_or_b64 exec, exec, s[2:3]
	v_cvt_f16_f32_e32 v33, v5
	v_ashrrev_i32_e32 v5, 31, v4
	v_cvt_f16_f32_e32 v30, v30
	v_cvt_f16_f32_e32 v32, v11
	;; [unrolled: 1-line block ×3, first 2 shown]
	v_lshlrev_b64 v[10:11], 1, v[4:5]
	v_mov_b32_e32 v5, s17
	v_add_co_u32_e64 v10, s[2:3], s16, v10
	v_addc_co_u32_e64 v11, s[2:3], v5, v11, s[2:3]
	s_add_i32 s6, s6, 1
	v_cmp_ge_i32_e64 s[2:3], s6, v7
	v_pack_b32_f16 v31, v31, v33
	v_pack_b32_f16 v30, v30, v32
	v_add_u32_e32 v4, 0x80, v4
	s_or_b64 s[4:5], s[2:3], s[4:5]
	v_add_u32_e32 v8, 0x100, v8
	global_store_dwordx2 v[10:11], v[30:31], off
	s_andn2_b64 exec, exec, s[4:5]
	s_cbranch_execz .LBB9_12
.LBB9_10:                               ; =>This Inner Loop Header: Depth=1
	ds_read_b64 v[10:11], v8
	v_add_u32_e32 v32, s6, v6
	v_mov_b32_e32 v33, v9
	v_cmp_gt_i32_e64 s[2:3], s12, v32
	v_cndmask_b32_e64 v32, v2, v0, s[2:3]
	s_waitcnt lgkmcnt(0)
	v_cvt_f32_f16_sdwa v5, v10 dst_sel:DWORD dst_unused:UNUSED_PAD src0_sel:WORD_1
	v_cndmask_b32_e64 v34, v22, v20, s[2:3]
	v_cndmask_b32_e64 v35, v3, v1, s[2:3]
	;; [unrolled: 1-line block ×3, first 2 shown]
	v_mul_f32_e32 v30, v5, v5
	v_fma_mix_f32 v30, v10, v10, v30 op_sel_hi:[1,1,0]
	v_fma_mix_f32 v30, v11, v11, v30 op_sel_hi:[1,1,0]
	v_fma_mix_f32 v30, v11, v11, v30 op_sel:[1,1,0] op_sel_hi:[1,1,0]
	ds_bpermute_b32 v31, v12, v30
	v_cvt_f32_f16_e32 v32, v32
	v_cvt_f32_f16_e32 v34, v34
	;; [unrolled: 1-line block ×4, first 2 shown]
	s_waitcnt lgkmcnt(0)
	v_add_f32_e32 v30, v30, v31
	ds_bpermute_b32 v31, v13, v30
	v_cvt_f32_f16_e32 v10, v10
	s_waitcnt lgkmcnt(0)
	v_add_f32_e32 v30, v30, v31
	ds_bpermute_b32 v31, v14, v30
	s_waitcnt lgkmcnt(0)
	v_add_f32_e32 v30, v30, v31
	ds_bpermute_b32 v31, v15, v30
	;; [unrolled: 3-line block ×3, first 2 shown]
	s_waitcnt lgkmcnt(0)
	v_add_f32_e32 v30, v30, v31
	v_fmac_f32_e32 v33, 0x3c000000, v30
	v_mul_f32_e32 v30, 0x4b800000, v33
	v_cmp_gt_f32_e64 s[2:3], s7, v33
	v_cndmask_b32_e64 v30, v33, v30, s[2:3]
	v_rsq_f32_e32 v30, v30
	v_cvt_f32_f16_e32 v31, v11
	v_cvt_f32_f16_sdwa v33, v11 dst_sel:DWORD dst_unused:UNUSED_PAD src0_sel:WORD_1
	v_mul_f32_e32 v11, 0x45800000, v30
	v_cndmask_b32_e64 v11, v30, v11, s[2:3]
	v_mul_f32_e32 v30, v11, v32
	v_mul_f32_e32 v32, v11, v34
	;; [unrolled: 1-line block ×8, first 2 shown]
	s_and_saveexec_b64 s[2:3], vcc
	s_cbranch_execz .LBB9_9
; %bb.11:                               ;   in Loop: Header=BB9_10 Depth=1
	ds_bpermute_b32 v31, v17, v30
	ds_bpermute_b32 v32, v17, v11
	; wave barrier
	ds_read_b32 v33, v18
	ds_read_b32 v34, v19
	;; [unrolled: 1-line block ×8, first 2 shown]
	s_waitcnt lgkmcnt(9)
	v_cndmask_b32_e64 v31, v31, -v31, s[0:1]
	s_waitcnt lgkmcnt(6)
	v_mul_f32_e32 v31, v31, v34
	v_fmac_f32_e32 v31, v30, v33
	ds_bpermute_b32 v30, v17, v10
	ds_bpermute_b32 v33, v17, v5
	v_cndmask_b32_e64 v32, v32, -v32, s[0:1]
	s_waitcnt lgkmcnt(6)
	v_mul_f32_e32 v32, v32, v36
	v_fmac_f32_e32 v32, v11, v35
	s_waitcnt lgkmcnt(1)
	v_cndmask_b32_e64 v11, v30, -v30, s[0:1]
	v_mul_f32_e32 v34, v11, v38
	v_fmac_f32_e32 v34, v10, v37
	s_waitcnt lgkmcnt(0)
	v_cndmask_b32_e64 v10, v33, -v33, s[0:1]
	v_mul_f32_e32 v33, v10, v40
	v_fmac_f32_e32 v33, v5, v39
	v_mov_b32_e32 v30, v31
	v_mov_b32_e32 v11, v32
	;; [unrolled: 1-line block ×4, first 2 shown]
	; wave barrier
	s_branch .LBB9_9
.LBB9_12:
	s_endpgm
	.section	.rodata,"a",@progbits
	.p2align	6, 0x0
	.amdhsa_kernel _ZN12tensorrt_llm7kernels32fusedQKNormRopeKernelNTokenHeadsIN3c104HalfEfLi128ELb0ELi2EEEvPviiifPKvS6_S6_PKlii
		.amdhsa_group_segment_fixed_size 0
		.amdhsa_private_segment_fixed_size 0
		.amdhsa_kernarg_size 320
		.amdhsa_user_sgpr_count 6
		.amdhsa_user_sgpr_private_segment_buffer 1
		.amdhsa_user_sgpr_dispatch_ptr 0
		.amdhsa_user_sgpr_queue_ptr 0
		.amdhsa_user_sgpr_kernarg_segment_ptr 1
		.amdhsa_user_sgpr_dispatch_id 0
		.amdhsa_user_sgpr_flat_scratch_init 0
		.amdhsa_user_sgpr_kernarg_preload_length 0
		.amdhsa_user_sgpr_kernarg_preload_offset 0
		.amdhsa_user_sgpr_private_segment_size 0
		.amdhsa_uses_dynamic_stack 0
		.amdhsa_system_sgpr_private_segment_wavefront_offset 0
		.amdhsa_system_sgpr_workgroup_id_x 1
		.amdhsa_system_sgpr_workgroup_id_y 0
		.amdhsa_system_sgpr_workgroup_id_z 0
		.amdhsa_system_sgpr_workgroup_info 0
		.amdhsa_system_vgpr_workitem_id 0
		.amdhsa_next_free_vgpr 41
		.amdhsa_next_free_sgpr 24
		.amdhsa_accum_offset 44
		.amdhsa_reserve_vcc 1
		.amdhsa_reserve_flat_scratch 0
		.amdhsa_float_round_mode_32 0
		.amdhsa_float_round_mode_16_64 0
		.amdhsa_float_denorm_mode_32 3
		.amdhsa_float_denorm_mode_16_64 3
		.amdhsa_dx10_clamp 1
		.amdhsa_ieee_mode 1
		.amdhsa_fp16_overflow 0
		.amdhsa_tg_split 0
		.amdhsa_exception_fp_ieee_invalid_op 0
		.amdhsa_exception_fp_denorm_src 0
		.amdhsa_exception_fp_ieee_div_zero 0
		.amdhsa_exception_fp_ieee_overflow 0
		.amdhsa_exception_fp_ieee_underflow 0
		.amdhsa_exception_fp_ieee_inexact 0
		.amdhsa_exception_int_div_zero 0
	.end_amdhsa_kernel
	.section	.text._ZN12tensorrt_llm7kernels32fusedQKNormRopeKernelNTokenHeadsIN3c104HalfEfLi128ELb0ELi2EEEvPviiifPKvS6_S6_PKlii,"axG",@progbits,_ZN12tensorrt_llm7kernels32fusedQKNormRopeKernelNTokenHeadsIN3c104HalfEfLi128ELb0ELi2EEEvPviiifPKvS6_S6_PKlii,comdat
.Lfunc_end9:
	.size	_ZN12tensorrt_llm7kernels32fusedQKNormRopeKernelNTokenHeadsIN3c104HalfEfLi128ELb0ELi2EEEvPviiifPKvS6_S6_PKlii, .Lfunc_end9-_ZN12tensorrt_llm7kernels32fusedQKNormRopeKernelNTokenHeadsIN3c104HalfEfLi128ELb0ELi2EEEvPviiifPKvS6_S6_PKlii
                                        ; -- End function
	.section	.AMDGPU.csdata,"",@progbits
; Kernel info:
; codeLenInByte = 1992
; NumSgprs: 28
; NumVgprs: 41
; NumAgprs: 0
; TotalNumVgprs: 41
; ScratchSize: 0
; MemoryBound: 0
; FloatMode: 240
; IeeeMode: 1
; LDSByteSize: 0 bytes/workgroup (compile time only)
; SGPRBlocks: 3
; VGPRBlocks: 5
; NumSGPRsForWavesPerEU: 28
; NumVGPRsForWavesPerEU: 41
; AccumOffset: 44
; Occupancy: 8
; WaveLimiterHint : 0
; COMPUTE_PGM_RSRC2:SCRATCH_EN: 0
; COMPUTE_PGM_RSRC2:USER_SGPR: 6
; COMPUTE_PGM_RSRC2:TRAP_HANDLER: 0
; COMPUTE_PGM_RSRC2:TGID_X_EN: 1
; COMPUTE_PGM_RSRC2:TGID_Y_EN: 0
; COMPUTE_PGM_RSRC2:TGID_Z_EN: 0
; COMPUTE_PGM_RSRC2:TIDIG_COMP_CNT: 0
; COMPUTE_PGM_RSRC3_GFX90A:ACCUM_OFFSET: 10
; COMPUTE_PGM_RSRC3_GFX90A:TG_SPLIT: 0
	.section	.text._ZN12tensorrt_llm7kernels32fusedQKNormRopeKernelNTokenHeadsIN3c104HalfEfLi256ELb1ELi2EEEvPviiifPKvS6_S6_PKlii,"axG",@progbits,_ZN12tensorrt_llm7kernels32fusedQKNormRopeKernelNTokenHeadsIN3c104HalfEfLi256ELb1ELi2EEEvPviiifPKvS6_S6_PKlii,comdat
	.protected	_ZN12tensorrt_llm7kernels32fusedQKNormRopeKernelNTokenHeadsIN3c104HalfEfLi256ELb1ELi2EEEvPviiifPKvS6_S6_PKlii ; -- Begin function _ZN12tensorrt_llm7kernels32fusedQKNormRopeKernelNTokenHeadsIN3c104HalfEfLi256ELb1ELi2EEEvPviiifPKvS6_S6_PKlii
	.globl	_ZN12tensorrt_llm7kernels32fusedQKNormRopeKernelNTokenHeadsIN3c104HalfEfLi256ELb1ELi2EEEvPviiifPKvS6_S6_PKlii
	.p2align	8
	.type	_ZN12tensorrt_llm7kernels32fusedQKNormRopeKernelNTokenHeadsIN3c104HalfEfLi256ELb1ELi2EEEvPviiifPKvS6_S6_PKlii,@function
_ZN12tensorrt_llm7kernels32fusedQKNormRopeKernelNTokenHeadsIN3c104HalfEfLi256ELb1ELi2EEEvPviiifPKvS6_S6_PKlii: ; @_ZN12tensorrt_llm7kernels32fusedQKNormRopeKernelNTokenHeadsIN3c104HalfEfLi256ELb1ELi2EEEvPviiifPKvS6_S6_PKlii
; %bb.0:
	s_load_dwordx4 s[12:15], s[4:5], 0x8
	s_load_dwordx2 s[16:17], s[4:5], 0x38
	s_load_dword s1, s[4:5], 0x4c
	v_lshrrev_b32_e32 v1, 5, v0
	s_waitcnt lgkmcnt(0)
	s_add_i32 s0, s13, s12
	s_add_i32 s2, s0, 1
	s_lshr_b32 s3, s2, 31
	s_add_i32 s2, s2, s3
	s_ashr_i32 s20, s2, 1
	s_abs_i32 s2, s20
	v_cvt_f32_u32_e32 v2, s2
	s_bfe_u32 s1, s1, 0xb0005
	s_mul_i32 s6, s6, s1
	s_sub_i32 s3, 0, s2
	v_rcp_iflag_f32_e32 v3, v2
	v_add_u32_e32 v2, s6, v1
	v_sub_u32_e32 v4, 0, v2
	v_max_i32_e32 v4, v2, v4
	v_mul_f32_e32 v3, 0x4f7ffffe, v3
	v_cvt_u32_f32_e32 v3, v3
	v_xor_b32_e32 v5, s20, v2
	v_ashrrev_i32_e32 v5, 31, v5
	v_mul_lo_u32 v6, s3, v3
	v_mul_hi_u32 v6, v3, v6
	v_add_u32_e32 v3, v3, v6
	v_mul_hi_u32 v3, v4, v3
	v_mul_lo_u32 v6, v3, s2
	v_sub_u32_e32 v4, v4, v6
	v_add_u32_e32 v6, 1, v3
	v_cmp_le_u32_e32 vcc, s2, v4
	v_cndmask_b32_e32 v3, v3, v6, vcc
	v_subrev_u32_e32 v6, s2, v4
	v_cndmask_b32_e32 v4, v4, v6, vcc
	v_add_u32_e32 v6, 1, v3
	v_cmp_le_u32_e32 vcc, s2, v4
	v_cndmask_b32_e32 v3, v3, v6, vcc
	v_xor_b32_e32 v3, v3, v5
	v_sub_u32_e32 v8, v3, v5
	v_cmp_gt_i32_e32 vcc, s16, v8
	s_and_saveexec_b64 s[2:3], vcc
	s_cbranch_execz .LBB10_12
; %bb.1:
	v_mul_lo_u32 v3, v8, s20
	v_sub_u32_e32 v3, v2, v3
	s_load_dwordx2 s[2:3], s[4:5], 0x0
	v_lshlrev_b32_e32 v18, 1, v3
	v_add_u32_e32 v3, 2, v18
	v_sub_u32_e32 v4, s0, v18
	v_cmp_lt_i32_e32 vcc, s0, v3
	v_and_b32_e32 v10, 31, v0
	v_cndmask_b32_e32 v19, 2, v4, vcc
	s_lshl_b32 s18, s17, 2
	s_mul_i32 s16, s18, s1
	v_lshlrev_b32_e32 v13, 10, v1
	v_cmp_lt_i32_e64 s[0:1], 0, v19
	v_lshlrev_b32_e32 v12, 4, v10
	v_lshlrev_b32_e32 v11, 9, v2
	s_and_saveexec_b64 s[6:7], s[0:1]
	s_cbranch_execz .LBB10_4
; %bb.2:
	s_add_i32 s8, s16, 0
	v_add3_u32 v4, s8, v13, v12
	s_add_i32 s8, s14, s13
	s_add_i32 s8, s8, s12
	s_lshl_b32 s9, s20, 1
	s_sub_i32 s8, s8, s9
	v_mul_lo_u32 v2, s8, v8
	v_lshl_add_u32 v2, v2, 8, v11
	s_mov_b32 s10, 0
	v_lshl_or_b32 v2, v10, 3, v2
	s_mov_b64 s[8:9], 0
	s_waitcnt lgkmcnt(0)
	v_mov_b32_e32 v5, s3
.LBB10_3:                               ; =>This Inner Loop Header: Depth=1
	v_ashrrev_i32_e32 v3, 31, v2
	v_lshlrev_b64 v[6:7], 1, v[2:3]
	v_add_co_u32_e32 v6, vcc, s2, v6
	v_addc_co_u32_e32 v7, vcc, v5, v7, vcc
	global_load_dwordx4 v[14:17], v[6:7], off
	s_add_i32 s10, s10, 1
	v_cmp_ge_i32_e32 vcc, s10, v19
	v_add_u32_e32 v2, 0x100, v2
	s_or_b64 s[8:9], vcc, s[8:9]
	s_waitcnt vmcnt(0)
	ds_write_b128 v4, v[14:17]
	v_add_u32_e32 v4, 0x200, v4
	s_andn2_b64 exec, exec, s[8:9]
	s_cbranch_execnz .LBB10_3
.LBB10_4:
	s_or_b64 exec, exec, s[6:7]
	s_add_i32 s18, s18, 15
	s_load_dwordx8 s[4:11], s[4:5], 0x18
	s_ashr_i32 s19, s18, 31
	s_lshr_b32 s19, s19, 28
	s_add_i32 s18, s18, s19
	s_ashr_i32 s21, s18, 4
	v_mul_lo_u32 v1, v1, s17
	v_cmp_gt_i32_e32 vcc, s21, v10
	v_lshlrev_b32_e32 v14, 2, v1
	s_and_saveexec_b64 s[18:19], vcc
	s_cbranch_execz .LBB10_7
; %bb.5:
	v_ashrrev_i32_e32 v9, 31, v8
	v_lshlrev_b64 v[2:3], 3, v[8:9]
	s_waitcnt lgkmcnt(0)
	v_mov_b32_e32 v1, s11
	v_add_co_u32_e32 v2, vcc, s10, v2
	v_addc_co_u32_e32 v3, vcc, v1, v3, vcc
	global_load_dwordx2 v[4:5], v[2:3], off
	s_ashr_i32 s22, s17, 31
	v_and_b32_e32 v0, 31, v0
	v_lshlrev_b32_e32 v6, 4, v0
	v_mov_b32_e32 v3, s9
	v_add3_u32 v2, v14, v12, 0
	s_mov_b64 s[10:11], 0
	s_waitcnt vmcnt(0)
	v_mul_lo_u32 v5, v5, s17
	v_mul_lo_u32 v7, v4, s22
	v_mad_u64_u32 v[0:1], s[22:23], v4, s17, 0
	v_add3_u32 v1, v1, v7, v5
	v_lshlrev_b64 v[0:1], 2, v[0:1]
	v_add_co_u32_e32 v0, vcc, v0, v6
	v_addc_co_u32_e32 v1, vcc, 0, v1, vcc
	v_add_co_u32_e32 v0, vcc, s8, v0
	v_addc_co_u32_e32 v1, vcc, v3, v1, vcc
	v_mov_b32_e32 v3, v10
.LBB10_6:                               ; =>This Inner Loop Header: Depth=1
	global_load_dwordx4 v[4:7], v[0:1], off
	v_add_co_u32_e32 v0, vcc, 0x200, v0
	v_add_u32_e32 v3, 32, v3
	v_addc_co_u32_e32 v1, vcc, 0, v1, vcc
	v_cmp_le_i32_e32 vcc, s21, v3
	s_or_b64 s[10:11], vcc, s[10:11]
	s_waitcnt vmcnt(0)
	ds_write_b128 v2, v[4:7]
	v_add_u32_e32 v2, 0x200, v2
	s_andn2_b64 exec, exec, s[10:11]
	s_cbranch_execnz .LBB10_6
.LBB10_7:
	s_or_b64 exec, exec, s[18:19]
	s_and_b64 exec, exec, s[0:1]
	s_cbranch_execz .LBB10_12
; %bb.8:
	s_waitcnt lgkmcnt(0)
	global_load_dwordx4 v[0:3], v12, s[4:5]
	global_load_dwordx4 v[4:7], v12, s[6:7]
	v_mbcnt_lo_u32_b32 v9, -1, 0
	v_add_u32_e32 v13, s16, v13
	v_mbcnt_hi_u32_b32 v9, -1, v9
	v_add3_u32 v20, 0, v14, v12
	v_add3_u32 v22, v13, v12, 0
	v_and_b32_e32 v12, 0x60, v9
	v_xor_b32_e32 v13, 16, v9
	v_add_u32_e32 v12, 32, v12
	v_xor_b32_e32 v14, 8, v9
	v_cmp_lt_i32_e32 vcc, v13, v12
	s_add_i32 s8, s14, s13
	v_xor_b32_e32 v15, 4, v9
	v_cndmask_b32_e32 v13, v9, v13, vcc
	v_cmp_lt_i32_e32 vcc, v14, v12
	s_lshr_b32 s0, s17, 31
	s_ashr_i32 s1, s17, 31
	s_lshl_b32 s9, s20, 1
	s_add_i32 s8, s8, s12
	v_xor_b32_e32 v16, 2, v9
	v_cndmask_b32_e32 v14, v9, v14, vcc
	v_cmp_lt_i32_e32 vcc, v15, v12
	s_add_i32 s0, s17, s0
	s_lshr_b32 s1, s1, 29
	v_xor_b32_e32 v17, 1, v9
	s_sub_i32 s8, s8, s9
	v_cndmask_b32_e32 v15, v9, v15, vcc
	v_cmp_lt_i32_e32 vcc, v16, v12
	s_lshl_b32 s0, s0, 1
	s_add_i32 s1, s17, s1
	v_mul_lo_u32 v8, s8, v8
	v_cndmask_b32_e32 v16, v9, v16, vcc
	v_cmp_lt_i32_e32 vcc, v17, v12
	s_and_b32 s0, s0, -4
	s_ashr_i32 s1, s1, 3
	v_cndmask_b32_e32 v9, v9, v17, vcc
	v_lshl_add_u32 v8, v8, 8, v11
	s_mov_b32 s6, 0
	s_mov_b64 s[4:5], 0
	v_mov_b32_e32 v21, s15
	s_mov_b32 s7, 0x800000
	v_cmp_gt_i32_e32 vcc, s1, v10
	v_add_u32_e32 v23, s0, v20
	v_lshlrev_b32_e32 v24, 2, v13
	v_lshlrev_b32_e32 v25, 2, v14
	;; [unrolled: 1-line block ×5, first 2 shown]
	v_lshl_or_b32 v8, v10, 3, v8
	s_waitcnt vmcnt(1)
	v_lshrrev_b32_e32 v29, 16, v0
	s_waitcnt vmcnt(0)
	v_lshrrev_b32_e32 v30, 16, v4
	v_lshrrev_b32_e32 v31, 16, v1
	;; [unrolled: 1-line block ×7, first 2 shown]
	s_branch .LBB10_10
.LBB10_9:                               ;   in Loop: Header=BB10_10 Depth=1
	s_or_b64 exec, exec, s[0:1]
	v_ashrrev_i32_e32 v9, 31, v8
	v_cvt_f16_f32_e32 v37, v10
	v_cvt_f16_f32_e32 v38, v11
	;; [unrolled: 1-line block ×8, first 2 shown]
	v_lshlrev_b64 v[10:11], 1, v[8:9]
	v_mov_b32_e32 v9, s3
	v_add_co_u32_e64 v14, s[0:1], s2, v10
	v_addc_co_u32_e64 v15, s[0:1], v9, v11, s[0:1]
	s_add_i32 s6, s6, 1
	v_cmp_ge_i32_e64 s[0:1], s6, v19
	v_pack_b32_f16 v13, v13, v16
	v_pack_b32_f16 v12, v12, v41
	;; [unrolled: 1-line block ×4, first 2 shown]
	v_add_u32_e32 v8, 0x100, v8
	s_or_b64 s[4:5], s[0:1], s[4:5]
	v_add_u32_e32 v22, 0x200, v22
	global_store_dwordx4 v[14:15], v[10:13], off
	s_andn2_b64 exec, exec, s[4:5]
	s_cbranch_execz .LBB10_12
.LBB10_10:                              ; =>This Inner Loop Header: Depth=1
	ds_read_b128 v[10:13], v22
	v_mov_b32_e32 v37, v21
	s_waitcnt lgkmcnt(0)
	v_cvt_f32_f16_sdwa v15, v10 dst_sel:DWORD dst_unused:UNUSED_PAD src0_sel:WORD_1
	v_cvt_f32_f16_e32 v14, v10
	v_cvt_f32_f16_sdwa v39, v11 dst_sel:DWORD dst_unused:UNUSED_PAD src0_sel:WORD_1
	v_cvt_f32_f16_e32 v38, v11
	;; [unrolled: 2-line block ×4, first 2 shown]
	v_pk_mul_f32 v[12:13], v[14:15], v[14:15]
	v_pk_mul_f32 v[42:43], v[38:39], v[38:39]
	v_add_f32_e32 v9, v12, v13
	v_add_f32_e32 v9, v9, v42
	v_pk_mul_f32 v[44:45], v[40:41], v[40:41]
	v_add_f32_e32 v9, v9, v43
	v_add_f32_e32 v9, v9, v44
	;; [unrolled: 3-line block ×3, first 2 shown]
	v_add_f32_e32 v9, v9, v11
	ds_bpermute_b32 v10, v24, v9
	v_add_u32_e32 v11, s6, v18
	v_cmp_gt_i32_e64 s[0:1], s12, v11
	v_cndmask_b32_e64 v11, v30, v29, s[0:1]
	v_cndmask_b32_e64 v12, v4, v0, s[0:1]
	s_waitcnt lgkmcnt(0)
	v_add_f32_e32 v9, v9, v10
	ds_bpermute_b32 v10, v25, v9
	v_cndmask_b32_e64 v13, v32, v31, s[0:1]
	v_cndmask_b32_e64 v42, v5, v1, s[0:1]
	;; [unrolled: 1-line block ×4, first 2 shown]
	s_waitcnt lgkmcnt(0)
	v_add_f32_e32 v9, v9, v10
	ds_bpermute_b32 v10, v26, v9
	v_cndmask_b32_e64 v45, v36, v35, s[0:1]
	v_cndmask_b32_e64 v47, v7, v3, s[0:1]
	v_cvt_f32_f16_e32 v11, v11
	v_cvt_f32_f16_e32 v13, v13
	s_waitcnt lgkmcnt(0)
	v_add_f32_e32 v9, v9, v10
	ds_bpermute_b32 v10, v27, v9
	v_cvt_f32_f16_e32 v43, v43
	v_cvt_f32_f16_e32 v45, v45
	s_waitcnt lgkmcnt(0)
	v_add_f32_e32 v9, v9, v10
	ds_bpermute_b32 v46, v28, v9
	v_cvt_f32_f16_e32 v10, v12
	v_cvt_f32_f16_e32 v12, v42
	;; [unrolled: 1-line block ×4, first 2 shown]
	s_waitcnt lgkmcnt(0)
	v_add_f32_e32 v9, v9, v46
	v_fmac_f32_e32 v37, 0x3b800000, v9
	v_mul_f32_e32 v9, 0x4b800000, v37
	v_cmp_gt_f32_e64 s[0:1], s7, v37
	v_cndmask_b32_e64 v9, v37, v9, s[0:1]
	v_rsq_f32_e32 v9, v9
	v_mul_f32_e32 v37, 0x45800000, v9
	v_cndmask_b32_e64 v46, v9, v37, s[0:1]
	v_pk_mul_f32 v[10:11], v[46:47], v[10:11] op_sel_hi:[0,1]
	v_pk_mul_f32 v[12:13], v[46:47], v[12:13] op_sel_hi:[0,1]
	v_pk_mul_f32 v[10:11], v[10:11], v[14:15]
	v_pk_mul_f32 v[12:13], v[12:13], v[38:39]
	v_pk_mul_f32 v[14:15], v[46:47], v[42:43] op_sel_hi:[0,1]
	v_pk_mul_f32 v[38:39], v[46:47], v[44:45] op_sel_hi:[0,1]
	v_pk_mul_f32 v[14:15], v[14:15], v[40:41]
	v_pk_mul_f32 v[16:17], v[38:39], v[16:17]
	s_and_saveexec_b64 s[0:1], vcc
	s_cbranch_execz .LBB10_9
; %bb.11:                               ;   in Loop: Header=BB10_10 Depth=1
	ds_read2_b32 v[38:39], v23 offset1:1
	ds_read2_b32 v[40:41], v20 offset1:1
	ds_read2_b32 v[42:43], v23 offset0:2 offset1:3
	ds_read2_b32 v[44:45], v20 offset0:2 offset1:3
	s_waitcnt lgkmcnt(3)
	v_pk_mul_f32 v[46:47], v[10:11], v[38:39] op_sel_hi:[1,0]
	v_pk_mul_f32 v[38:39], v[12:13], v[38:39] op_sel:[0,1]
	s_waitcnt lgkmcnt(2)
	v_pk_fma_f32 v[50:51], v[12:13], v[40:41], v[38:39] op_sel:[0,1,1] op_sel_hi:[1,1,0] neg_lo:[0,0,1] neg_hi:[0,0,1]
	v_pk_fma_f32 v[12:13], v[12:13], v[40:41], v[38:39] op_sel:[0,1,1] op_sel_hi:[1,1,0]
	s_waitcnt lgkmcnt(1)
	v_pk_mul_f32 v[38:39], v[14:15], v[42:43] op_sel_hi:[1,0]
	v_pk_mul_f32 v[48:49], v[10:11], v[40:41] op_sel_hi:[1,0]
	v_pk_fma_f32 v[10:11], v[10:11], v[40:41], v[46:47] op_sel:[0,0,1] op_sel_hi:[1,0,0]
	s_waitcnt lgkmcnt(0)
	v_pk_fma_f32 v[40:41], v[14:15], v[44:45], v[38:39] op_sel:[0,0,1] op_sel_hi:[1,0,0] neg_lo:[0,0,1] neg_hi:[0,0,1]
	v_pk_fma_f32 v[14:15], v[14:15], v[44:45], v[38:39] op_sel:[0,0,1] op_sel_hi:[1,0,0]
	v_mov_b32_e32 v44, v43
	v_pk_mul_f32 v[38:39], v[16:17], v[44:45]
	v_mul_f32_e32 v9, v17, v43
	v_mov_b32_e32 v10, v39
	v_fma_f32 v9, v16, v45, -v9
	v_pk_fma_f32 v[38:39], v[16:17], v[44:45], v[10:11]
	v_sub_f32_e32 v10, v48, v47
	v_mov_b32_e32 v12, v50
	v_mov_b32_e32 v14, v40
	v_mov_b32_e32 v16, v9
	v_mov_b32_e32 v17, v38
	s_branch .LBB10_9
.LBB10_12:
	s_endpgm
	.section	.rodata,"a",@progbits
	.p2align	6, 0x0
	.amdhsa_kernel _ZN12tensorrt_llm7kernels32fusedQKNormRopeKernelNTokenHeadsIN3c104HalfEfLi256ELb1ELi2EEEvPviiifPKvS6_S6_PKlii
		.amdhsa_group_segment_fixed_size 0
		.amdhsa_private_segment_fixed_size 0
		.amdhsa_kernarg_size 320
		.amdhsa_user_sgpr_count 6
		.amdhsa_user_sgpr_private_segment_buffer 1
		.amdhsa_user_sgpr_dispatch_ptr 0
		.amdhsa_user_sgpr_queue_ptr 0
		.amdhsa_user_sgpr_kernarg_segment_ptr 1
		.amdhsa_user_sgpr_dispatch_id 0
		.amdhsa_user_sgpr_flat_scratch_init 0
		.amdhsa_user_sgpr_kernarg_preload_length 0
		.amdhsa_user_sgpr_kernarg_preload_offset 0
		.amdhsa_user_sgpr_private_segment_size 0
		.amdhsa_uses_dynamic_stack 0
		.amdhsa_system_sgpr_private_segment_wavefront_offset 0
		.amdhsa_system_sgpr_workgroup_id_x 1
		.amdhsa_system_sgpr_workgroup_id_y 0
		.amdhsa_system_sgpr_workgroup_id_z 0
		.amdhsa_system_sgpr_workgroup_info 0
		.amdhsa_system_vgpr_workitem_id 0
		.amdhsa_next_free_vgpr 52
		.amdhsa_next_free_sgpr 24
		.amdhsa_accum_offset 52
		.amdhsa_reserve_vcc 1
		.amdhsa_reserve_flat_scratch 0
		.amdhsa_float_round_mode_32 0
		.amdhsa_float_round_mode_16_64 0
		.amdhsa_float_denorm_mode_32 3
		.amdhsa_float_denorm_mode_16_64 3
		.amdhsa_dx10_clamp 1
		.amdhsa_ieee_mode 1
		.amdhsa_fp16_overflow 0
		.amdhsa_tg_split 0
		.amdhsa_exception_fp_ieee_invalid_op 0
		.amdhsa_exception_fp_denorm_src 0
		.amdhsa_exception_fp_ieee_div_zero 0
		.amdhsa_exception_fp_ieee_overflow 0
		.amdhsa_exception_fp_ieee_underflow 0
		.amdhsa_exception_fp_ieee_inexact 0
		.amdhsa_exception_int_div_zero 0
	.end_amdhsa_kernel
	.section	.text._ZN12tensorrt_llm7kernels32fusedQKNormRopeKernelNTokenHeadsIN3c104HalfEfLi256ELb1ELi2EEEvPviiifPKvS6_S6_PKlii,"axG",@progbits,_ZN12tensorrt_llm7kernels32fusedQKNormRopeKernelNTokenHeadsIN3c104HalfEfLi256ELb1ELi2EEEvPviiifPKvS6_S6_PKlii,comdat
.Lfunc_end10:
	.size	_ZN12tensorrt_llm7kernels32fusedQKNormRopeKernelNTokenHeadsIN3c104HalfEfLi256ELb1ELi2EEEvPviiifPKvS6_S6_PKlii, .Lfunc_end10-_ZN12tensorrt_llm7kernels32fusedQKNormRopeKernelNTokenHeadsIN3c104HalfEfLi256ELb1ELi2EEEvPviiifPKvS6_S6_PKlii
                                        ; -- End function
	.section	.AMDGPU.csdata,"",@progbits
; Kernel info:
; codeLenInByte = 1744
; NumSgprs: 28
; NumVgprs: 52
; NumAgprs: 0
; TotalNumVgprs: 52
; ScratchSize: 0
; MemoryBound: 0
; FloatMode: 240
; IeeeMode: 1
; LDSByteSize: 0 bytes/workgroup (compile time only)
; SGPRBlocks: 3
; VGPRBlocks: 6
; NumSGPRsForWavesPerEU: 28
; NumVGPRsForWavesPerEU: 52
; AccumOffset: 52
; Occupancy: 8
; WaveLimiterHint : 0
; COMPUTE_PGM_RSRC2:SCRATCH_EN: 0
; COMPUTE_PGM_RSRC2:USER_SGPR: 6
; COMPUTE_PGM_RSRC2:TRAP_HANDLER: 0
; COMPUTE_PGM_RSRC2:TGID_X_EN: 1
; COMPUTE_PGM_RSRC2:TGID_Y_EN: 0
; COMPUTE_PGM_RSRC2:TGID_Z_EN: 0
; COMPUTE_PGM_RSRC2:TIDIG_COMP_CNT: 0
; COMPUTE_PGM_RSRC3_GFX90A:ACCUM_OFFSET: 12
; COMPUTE_PGM_RSRC3_GFX90A:TG_SPLIT: 0
	.section	.text._ZN12tensorrt_llm7kernels32fusedQKNormRopeKernelNTokenHeadsIN3c104HalfEfLi256ELb0ELi2EEEvPviiifPKvS6_S6_PKlii,"axG",@progbits,_ZN12tensorrt_llm7kernels32fusedQKNormRopeKernelNTokenHeadsIN3c104HalfEfLi256ELb0ELi2EEEvPviiifPKvS6_S6_PKlii,comdat
	.protected	_ZN12tensorrt_llm7kernels32fusedQKNormRopeKernelNTokenHeadsIN3c104HalfEfLi256ELb0ELi2EEEvPviiifPKvS6_S6_PKlii ; -- Begin function _ZN12tensorrt_llm7kernels32fusedQKNormRopeKernelNTokenHeadsIN3c104HalfEfLi256ELb0ELi2EEEvPviiifPKvS6_S6_PKlii
	.globl	_ZN12tensorrt_llm7kernels32fusedQKNormRopeKernelNTokenHeadsIN3c104HalfEfLi256ELb0ELi2EEEvPviiifPKvS6_S6_PKlii
	.p2align	8
	.type	_ZN12tensorrt_llm7kernels32fusedQKNormRopeKernelNTokenHeadsIN3c104HalfEfLi256ELb0ELi2EEEvPviiifPKvS6_S6_PKlii,@function
_ZN12tensorrt_llm7kernels32fusedQKNormRopeKernelNTokenHeadsIN3c104HalfEfLi256ELb0ELi2EEEvPviiifPKvS6_S6_PKlii: ; @_ZN12tensorrt_llm7kernels32fusedQKNormRopeKernelNTokenHeadsIN3c104HalfEfLi256ELb0ELi2EEEvPviiifPKvS6_S6_PKlii
; %bb.0:
	s_load_dwordx4 s[12:15], s[4:5], 0x8
	s_load_dwordx2 s[2:3], s[4:5], 0x38
	s_load_dword s1, s[4:5], 0x4c
	v_lshrrev_b32_e32 v1, 5, v0
	s_waitcnt lgkmcnt(0)
	s_add_i32 s0, s13, s12
	s_add_i32 s7, s0, 1
	s_lshr_b32 s8, s7, 31
	s_add_i32 s7, s7, s8
	s_ashr_i32 s20, s7, 1
	s_abs_i32 s7, s20
	v_cvt_f32_u32_e32 v2, s7
	s_bfe_u32 s1, s1, 0xb0005
	s_mul_i32 s6, s6, s1
	v_rcp_iflag_f32_e32 v3, v2
	v_add_u32_e32 v2, s6, v1
	s_sub_i32 s6, 0, s7
	v_sub_u32_e32 v4, 0, v2
	v_mul_f32_e32 v3, 0x4f7ffffe, v3
	v_cvt_u32_f32_e32 v3, v3
	v_max_i32_e32 v4, v2, v4
	v_xor_b32_e32 v5, s20, v2
	v_ashrrev_i32_e32 v5, 31, v5
	v_mul_lo_u32 v6, s6, v3
	v_mul_hi_u32 v6, v3, v6
	v_add_u32_e32 v3, v3, v6
	v_mul_hi_u32 v3, v4, v3
	v_mul_lo_u32 v6, v3, s7
	v_sub_u32_e32 v4, v4, v6
	v_add_u32_e32 v6, 1, v3
	v_cmp_le_u32_e32 vcc, s7, v4
	v_cndmask_b32_e32 v3, v3, v6, vcc
	v_subrev_u32_e32 v6, s7, v4
	v_cndmask_b32_e32 v4, v4, v6, vcc
	v_add_u32_e32 v6, 1, v3
	v_cmp_le_u32_e32 vcc, s7, v4
	v_cndmask_b32_e32 v3, v3, v6, vcc
	v_xor_b32_e32 v3, v3, v5
	v_sub_u32_e32 v8, v3, v5
	v_cmp_gt_i32_e32 vcc, s2, v8
	s_and_saveexec_b64 s[6:7], vcc
	s_cbranch_execz .LBB11_12
; %bb.1:
	v_mul_lo_u32 v3, v8, s20
	v_sub_u32_e32 v3, v2, v3
	s_load_dwordx2 s[16:17], s[4:5], 0x0
	v_lshlrev_b32_e32 v10, 1, v3
	v_add_u32_e32 v3, 2, v10
	v_sub_u32_e32 v4, s0, v10
	v_cmp_lt_i32_e32 vcc, s0, v3
	v_and_b32_e32 v20, 31, v0
	v_cndmask_b32_e32 v11, 2, v4, vcc
	s_lshl_b32 s2, s3, 2
	s_mul_i32 s21, s2, s1
	v_lshlrev_b32_e32 v29, 10, v1
	v_cmp_lt_i32_e64 s[0:1], 0, v11
	v_lshlrev_b32_e32 v30, 4, v20
	v_lshlrev_b32_e32 v31, 9, v2
	s_and_saveexec_b64 s[6:7], s[0:1]
	s_cbranch_execz .LBB11_4
; %bb.2:
	s_add_i32 s8, s21, 0
	v_add3_u32 v4, s8, v29, v30
	s_add_i32 s8, s14, s13
	s_add_i32 s8, s8, s12
	s_lshl_b32 s9, s20, 1
	s_sub_i32 s8, s8, s9
	v_mul_lo_u32 v2, s8, v8
	v_lshl_add_u32 v2, v2, 8, v31
	s_mov_b32 s10, 0
	v_lshl_or_b32 v2, v20, 3, v2
	s_mov_b64 s[8:9], 0
	s_waitcnt lgkmcnt(0)
	v_mov_b32_e32 v5, s17
.LBB11_3:                               ; =>This Inner Loop Header: Depth=1
	v_ashrrev_i32_e32 v3, 31, v2
	v_lshlrev_b64 v[6:7], 1, v[2:3]
	v_add_co_u32_e32 v6, vcc, s16, v6
	v_addc_co_u32_e32 v7, vcc, v5, v7, vcc
	global_load_dwordx4 v[12:15], v[6:7], off
	s_add_i32 s10, s10, 1
	v_cmp_ge_i32_e32 vcc, s10, v11
	v_add_u32_e32 v2, 0x100, v2
	s_or_b64 s[8:9], vcc, s[8:9]
	s_waitcnt vmcnt(0)
	ds_write_b128 v4, v[12:15]
	v_add_u32_e32 v4, 0x200, v4
	s_andn2_b64 exec, exec, s[8:9]
	s_cbranch_execnz .LBB11_3
.LBB11_4:
	s_or_b64 exec, exec, s[6:7]
	s_add_i32 s2, s2, 15
	s_load_dwordx8 s[4:11], s[4:5], 0x18
	s_ashr_i32 s18, s2, 31
	s_lshr_b32 s18, s18, 28
	s_add_i32 s2, s2, s18
	s_ashr_i32 s2, s2, 4
	v_cmp_gt_i32_e32 vcc, s2, v20
	v_mul_lo_u32 v12, v1, s3
	s_and_saveexec_b64 s[18:19], vcc
	s_cbranch_execz .LBB11_7
; %bb.5:
	v_ashrrev_i32_e32 v9, 31, v8
	v_lshlrev_b64 v[2:3], 3, v[8:9]
	s_waitcnt lgkmcnt(0)
	v_mov_b32_e32 v1, s11
	v_add_co_u32_e32 v2, vcc, s10, v2
	v_addc_co_u32_e32 v3, vcc, v1, v3, vcc
	global_load_dwordx2 v[4:5], v[2:3], off
	s_ashr_i32 s22, s3, 31
	v_lshlrev_b32_e32 v1, 2, v12
	v_and_b32_e32 v0, 31, v0
	v_add3_u32 v2, v1, v30, 0
	v_lshlrev_b32_e32 v6, 4, v0
	v_mov_b32_e32 v3, s9
	s_mov_b64 s[10:11], 0
	s_waitcnt vmcnt(0)
	v_mul_lo_u32 v5, v5, s3
	v_mul_lo_u32 v7, v4, s22
	v_mad_u64_u32 v[0:1], s[22:23], v4, s3, 0
	v_add3_u32 v1, v1, v7, v5
	v_lshlrev_b64 v[0:1], 2, v[0:1]
	v_add_co_u32_e32 v0, vcc, v0, v6
	v_addc_co_u32_e32 v1, vcc, 0, v1, vcc
	v_add_co_u32_e32 v0, vcc, s8, v0
	v_addc_co_u32_e32 v1, vcc, v3, v1, vcc
	v_mov_b32_e32 v3, v20
.LBB11_6:                               ; =>This Inner Loop Header: Depth=1
	global_load_dwordx4 v[4:7], v[0:1], off
	v_add_co_u32_e32 v0, vcc, 0x200, v0
	v_add_u32_e32 v3, 32, v3
	v_addc_co_u32_e32 v1, vcc, 0, v1, vcc
	v_cmp_le_i32_e32 vcc, s2, v3
	s_or_b64 s[10:11], vcc, s[10:11]
	s_waitcnt vmcnt(0)
	ds_write_b128 v2, v[4:7]
	v_add_u32_e32 v2, 0x200, v2
	s_andn2_b64 exec, exec, s[10:11]
	s_cbranch_execnz .LBB11_6
.LBB11_7:
	s_or_b64 exec, exec, s[18:19]
	s_and_b64 exec, exec, s[0:1]
	s_cbranch_execz .LBB11_12
; %bb.8:
	s_waitcnt lgkmcnt(0)
	global_load_dwordx4 v[0:3], v30, s[4:5]
	global_load_dwordx4 v[4:7], v30, s[6:7]
	v_lshl_add_u32 v9, v12, 2, 0
	v_mbcnt_lo_u32_b32 v12, -1, 0
	s_abs_i32 s4, s3
	v_mbcnt_hi_u32_b32 v17, -1, v12
	v_cvt_f32_u32_e32 v14, s4
	v_and_b32_e32 v12, 0x60, v17
	v_xor_b32_e32 v13, 16, v17
	v_add_u32_e32 v12, 32, v12
	v_xor_b32_e32 v15, 8, v17
	v_cmp_lt_i32_e32 vcc, v13, v12
	v_xor_b32_e32 v16, 4, v17
	v_cndmask_b32_e32 v13, v17, v13, vcc
	v_cmp_lt_i32_e32 vcc, v15, v12
	v_rcp_iflag_f32_e32 v23, v14
	v_xor_b32_e32 v18, 2, v17
	v_cndmask_b32_e32 v15, v17, v15, vcc
	v_cmp_lt_i32_e32 vcc, v16, v12
	v_cndmask_b32_e32 v16, v17, v16, vcc
	v_cmp_lt_i32_e32 vcc, v18, v12
	v_xor_b32_e32 v19, 1, v17
	v_cndmask_b32_e32 v18, v17, v18, vcc
	v_cmp_lt_i32_e32 vcc, v19, v12
	v_lshlrev_b32_e32 v12, 2, v13
	v_lshlrev_b32_e32 v13, 2, v15
	;; [unrolled: 1-line block ×3, first 2 shown]
	v_mul_f32_e32 v18, 0x4f7ffffe, v23
	v_cvt_u32_f32_e32 v18, v18
	s_sub_i32 s5, 0, s4
	v_cndmask_b32_e32 v19, v17, v19, vcc
	s_ashr_i32 s1, s3, 31
	v_lshlrev_b32_e32 v14, 2, v16
	v_lshlrev_b32_e32 v16, 2, v19
	v_mul_lo_u32 v19, s5, v18
	s_lshr_b32 s2, s1, 29
	s_lshr_b32 s1, s1, 28
	v_mul_hi_u32 v19, v18, v19
	s_add_i32 s1, s3, s1
	v_add_u32_e32 v46, v18, v19
	s_add_i32 s2, s3, s2
	v_and_b32_e32 v21, 64, v17
	s_ashr_i32 s1, s1, 4
	v_mul_hi_u32 v18, v30, v46
	s_lshr_b32 s0, s3, 31
	s_ashr_i32 s2, s2, 3
	v_add_u32_e32 v21, 64, v21
	v_xor_b32_e32 v22, s1, v17
	v_mul_lo_u32 v18, v18, s4
	v_or_b32_e32 v32, 2, v30
	s_add_i32 s0, s3, s0
	v_cmp_gt_i32_e32 vcc, s2, v20
	v_cmp_lt_i32_e64 s[2:3], v22, v21
	v_sub_u32_e32 v18, v30, v18
	v_cndmask_b32_e64 v17, v17, v22, s[2:3]
	v_subrev_u32_e32 v19, s4, v18
	v_cmp_le_u32_e64 s[2:3], s4, v18
	v_mul_hi_u32 v33, v32, v46
	v_cndmask_b32_e64 v18, v18, v19, s[2:3]
	v_mul_lo_u32 v33, v33, s4
	v_or_b32_e32 v34, 4, v30
	v_subrev_u32_e32 v19, s4, v18
	v_cmp_le_u32_e64 s[2:3], s4, v18
	v_sub_u32_e32 v32, v32, v33
	v_cndmask_b32_e64 v27, v18, v19, s[2:3]
	v_subrev_u32_e32 v33, s4, v32
	v_cmp_le_u32_e64 s[2:3], s4, v32
	v_mul_hi_u32 v35, v34, v46
	v_cndmask_b32_e64 v32, v32, v33, s[2:3]
	v_mul_lo_u32 v35, v35, s4
	v_or_b32_e32 v36, 6, v30
	v_subrev_u32_e32 v33, s4, v32
	v_cmp_le_u32_e64 s[2:3], s4, v32
	;; [unrolled: 10-line block ×6, first 2 shown]
	v_sub_u32_e32 v42, v42, v43
	v_cndmask_b32_e64 v40, v40, v41, s[2:3]
	v_subrev_u32_e32 v43, s4, v42
	v_cmp_le_u32_e64 s[2:3], s4, v42
	v_mul_hi_u32 v46, v44, v46
	v_cndmask_b32_e64 v42, v42, v43, s[2:3]
	v_mul_lo_u32 v46, v46, s4
	v_subrev_u32_e32 v43, s4, v42
	v_cmp_le_u32_e64 s[2:3], s4, v42
	v_sub_u32_e32 v44, v44, v46
	v_cndmask_b32_e64 v42, v42, v43, s[2:3]
	v_subrev_u32_e32 v46, s4, v44
	v_cmp_le_u32_e64 s[2:3], s4, v44
	v_cndmask_b32_e64 v44, v44, v46, s[2:3]
	v_subrev_u32_e32 v46, s4, v44
	v_cmp_le_u32_e64 s[2:3], s4, v44
	v_cndmask_b32_e64 v44, v44, v46, s[2:3]
	s_add_i32 s2, s14, s13
	s_add_i32 s2, s2, s12
	s_lshl_b32 s3, s20, 1
	s_lshl_b32 s0, s0, 1
	v_lshlrev_b32_e32 v27, 1, v27
	v_lshlrev_b32_e32 v32, 1, v32
	v_lshlrev_b32_e32 v34, 1, v34
	v_lshlrev_b32_e32 v36, 1, v36
	v_lshlrev_b32_e32 v38, 1, v38
	v_lshlrev_b32_e32 v40, 1, v40
	v_lshlrev_b32_e32 v42, 1, v42
	v_lshlrev_b32_e32 v44, 1, v44
	s_sub_i32 s2, s2, s3
	s_and_b32 s0, s0, -4
	v_and_b32_e32 v28, -4, v27
	v_and_b32_e32 v33, -4, v32
	;; [unrolled: 1-line block ×8, first 2 shown]
	v_mul_lo_u32 v8, s2, v8
	v_add_u32_e32 v45, s0, v9
	v_add_u32_e32 v27, v9, v28
	;; [unrolled: 1-line block ×9, first 2 shown]
	v_lshl_add_u32 v8, v8, 8, v31
	v_add_u32_e32 v9, s21, v29
	s_mov_b32 s8, 0
	v_cmp_gt_i32_e64 s[0:1], s1, v20
	v_lshlrev_b32_e32 v17, 2, v17
	s_waitcnt vmcnt(1)
	v_lshrrev_b32_e32 v18, 16, v0
	v_lshrrev_b32_e32 v19, 16, v1
	;; [unrolled: 1-line block ×4, first 2 shown]
	s_waitcnt vmcnt(0)
	v_lshrrev_b32_e32 v23, 16, v4
	v_lshrrev_b32_e32 v24, 16, v5
	;; [unrolled: 1-line block ×4, first 2 shown]
	v_add_u32_e32 v28, v45, v28
	v_add_u32_e32 v33, v45, v33
	;; [unrolled: 1-line block ×8, first 2 shown]
	v_lshl_or_b32 v8, v20, 3, v8
	v_add3_u32 v20, v9, v30, 0
	s_mov_b64 s[6:7], 0
	s_mov_b32 s9, 0x800000
	s_branch .LBB11_10
.LBB11_9:                               ;   in Loop: Header=BB11_10 Depth=1
	s_or_b64 exec, exec, s[2:3]
	v_cvt_f16_f32_e32 v51, v48
	v_cvt_f16_f32_e32 v48, v9
	v_ashrrev_i32_e32 v9, 31, v8
	v_cvt_f16_f32_e32 v50, v49
	v_cvt_f16_f32_e32 v47, v47
	;; [unrolled: 1-line block ×6, first 2 shown]
	v_lshlrev_b64 v[30:31], 1, v[8:9]
	v_mov_b32_e32 v9, s17
	v_add_co_u32_e64 v30, s[2:3], s16, v30
	v_addc_co_u32_e64 v31, s[2:3], v9, v31, s[2:3]
	s_add_i32 s8, s8, 1
	v_cmp_ge_i32_e64 s[2:3], s8, v11
	v_pack_b32_f16 v49, v49, v29
	v_pack_b32_f16 v48, v48, v52
	v_pack_b32_f16 v47, v47, v46
	v_pack_b32_f16 v46, v50, v51
	v_add_u32_e32 v8, 0x100, v8
	s_or_b64 s[6:7], s[2:3], s[6:7]
	v_add_u32_e32 v20, 0x200, v20
	global_store_dwordx4 v[30:31], v[46:49], off
	s_andn2_b64 exec, exec, s[6:7]
	s_cbranch_execz .LBB11_12
.LBB11_10:                              ; =>This Inner Loop Header: Depth=1
	ds_read_b128 v[46:49], v20
	s_waitcnt lgkmcnt(0)
	v_cvt_f32_f16_sdwa v9, v46 dst_sel:DWORD dst_unused:UNUSED_PAD src0_sel:WORD_1
	v_cvt_f32_f16_sdwa v31, v47 dst_sel:DWORD dst_unused:UNUSED_PAD src0_sel:WORD_1
	v_cvt_f32_f16_e32 v30, v47
	v_cvt_f32_f16_sdwa v51, v48 dst_sel:DWORD dst_unused:UNUSED_PAD src0_sel:WORD_1
	v_cvt_f32_f16_e32 v50, v48
	v_mul_f32_e32 v29, v9, v9
	v_cvt_f32_f16_sdwa v53, v49 dst_sel:DWORD dst_unused:UNUSED_PAD src0_sel:WORD_1
	v_cvt_f32_f16_e32 v52, v49
	v_pk_mul_f32 v[48:49], v[30:31], v[30:31]
	v_fma_mix_f32 v29, v46, v46, v29 op_sel_hi:[1,1,0]
	v_add_f32_e32 v29, v29, v48
	v_add_f32_e32 v29, v29, v49
	v_pk_mul_f32 v[48:49], v[50:51], v[50:51]
	v_add_f32_e32 v29, v29, v48
	v_add_f32_e32 v29, v29, v49
	v_pk_mul_f32 v[48:49], v[52:53], v[52:53]
	v_add_f32_e32 v29, v29, v48
	v_add_f32_e32 v29, v29, v49
	ds_bpermute_b32 v47, v12, v29
	v_mov_b32_e32 v49, s15
	v_add_u32_e32 v48, s8, v10
	v_cmp_gt_i32_e64 s[2:3], s12, v48
	v_cndmask_b32_e64 v48, v4, v0, s[2:3]
	s_waitcnt lgkmcnt(0)
	v_add_f32_e32 v29, v29, v47
	ds_bpermute_b32 v47, v13, v29
	v_cndmask_b32_e64 v54, v23, v18, s[2:3]
	v_cndmask_b32_e64 v56, v24, v19, s[2:3]
	v_cvt_f32_f16_e32 v48, v48
	v_cndmask_b32_e64 v55, v5, v1, s[2:3]
	s_waitcnt lgkmcnt(0)
	v_add_f32_e32 v29, v29, v47
	ds_bpermute_b32 v47, v14, v29
	v_cndmask_b32_e64 v57, v6, v2, s[2:3]
	v_cvt_f32_f16_e32 v54, v54
	v_cvt_f32_f16_e32 v55, v55
	;; [unrolled: 1-line block ×3, first 2 shown]
	s_waitcnt lgkmcnt(0)
	v_add_f32_e32 v29, v29, v47
	ds_bpermute_b32 v47, v15, v29
	v_cndmask_b32_e64 v58, v25, v21, s[2:3]
	s_waitcnt lgkmcnt(0)
	v_add_f32_e32 v29, v29, v47
	ds_bpermute_b32 v47, v16, v29
	s_waitcnt lgkmcnt(0)
	v_add_f32_e32 v29, v29, v47
	v_fmac_f32_e32 v49, 0x3b800000, v29
	v_mul_f32_e32 v29, 0x4b800000, v49
	v_cmp_gt_f32_e64 s[4:5], s9, v49
	v_cndmask_b32_e64 v29, v49, v29, s[4:5]
	v_rsq_f32_e32 v29, v29
	v_cvt_f32_f16_e32 v47, v56
	v_cvt_f32_f16_e32 v56, v57
	v_mul_f32_e32 v49, 0x45800000, v29
	v_cndmask_b32_e64 v29, v29, v49, s[4:5]
	v_mul_f32_e32 v48, v29, v48
	v_mul_f32_e32 v54, v29, v54
	v_mul_f32_e32 v57, v29, v47
	v_mul_f32_e32 v55, v29, v55
	v_mul_f32_e32 v49, v48, v46
	v_mul_f32_e32 v48, v54, v9
	v_mul_f32_e32 v46, v57, v31
	v_mul_f32_e32 v9, v29, v56
	v_cndmask_b32_e64 v31, v7, v3, s[2:3]
	v_mul_f32_e32 v47, v55, v30
	v_cvt_f32_f16_e32 v30, v58
	v_mul_f32_e32 v9, v9, v50
	v_cvt_f32_f16_e32 v50, v31
	v_cndmask_b32_e64 v31, v26, v22, s[2:3]
	v_cvt_f32_f16_e32 v54, v31
	v_mul_f32_e32 v30, v29, v30
	v_mul_f32_e32 v31, v30, v51
	;; [unrolled: 1-line block ×6, first 2 shown]
	s_and_saveexec_b64 s[2:3], vcc
	s_cbranch_execz .LBB11_9
; %bb.11:                               ;   in Loop: Header=BB11_10 Depth=1
	ds_bpermute_b32 v50, v17, v49
	ds_bpermute_b32 v51, v17, v48
	; wave barrier
	ds_read_b32 v52, v27
	ds_read_b32 v53, v28
	;; [unrolled: 1-line block ×8, first 2 shown]
	s_waitcnt lgkmcnt(9)
	v_cndmask_b32_e64 v50, v50, -v50, s[0:1]
	s_waitcnt lgkmcnt(6)
	v_mul_f32_e32 v50, v50, v53
	v_fmac_f32_e32 v50, v49, v52
	ds_bpermute_b32 v49, v17, v47
	v_cndmask_b32_e64 v51, v51, -v51, s[0:1]
	s_waitcnt lgkmcnt(5)
	v_mul_f32_e32 v51, v51, v55
	v_fmac_f32_e32 v51, v48, v54
	ds_bpermute_b32 v48, v17, v46
	s_waitcnt lgkmcnt(1)
	v_cndmask_b32_e64 v49, v49, -v49, s[0:1]
	v_mul_f32_e32 v52, v49, v57
	ds_bpermute_b32 v49, v17, v9
	v_fmac_f32_e32 v52, v47, v56
	s_waitcnt lgkmcnt(1)
	v_cndmask_b32_e64 v47, v48, -v48, s[0:1]
	v_mul_f32_e32 v53, v47, v59
	ds_bpermute_b32 v47, v17, v31
	v_fmac_f32_e32 v53, v46, v58
	s_waitcnt lgkmcnt(1)
	v_cndmask_b32_e64 v46, v49, -v49, s[0:1]
	ds_read_b32 v48, v38
	ds_read_b32 v49, v39
	;; [unrolled: 1-line block ×8, first 2 shown]
	s_waitcnt lgkmcnt(6)
	v_mul_f32_e32 v60, v46, v49
	v_fmac_f32_e32 v60, v9, v48
	ds_bpermute_b32 v9, v17, v30
	v_cndmask_b32_e64 v46, v47, -v47, s[0:1]
	s_waitcnt lgkmcnt(5)
	v_mul_f32_e32 v55, v46, v55
	ds_bpermute_b32 v46, v17, v29
	v_fmac_f32_e32 v55, v31, v54
	s_waitcnt lgkmcnt(1)
	v_cndmask_b32_e64 v9, v9, -v9, s[0:1]
	v_mul_f32_e32 v54, v9, v57
	v_fmac_f32_e32 v54, v30, v56
	s_waitcnt lgkmcnt(0)
	v_cndmask_b32_e64 v9, v46, -v46, s[0:1]
	v_mul_f32_e32 v56, v9, v59
	v_fmac_f32_e32 v56, v29, v58
	v_mov_b32_e32 v49, v50
	v_mov_b32_e32 v48, v51
	;; [unrolled: 1-line block ×8, first 2 shown]
	; wave barrier
	s_branch .LBB11_9
.LBB11_12:
	s_endpgm
	.section	.rodata,"a",@progbits
	.p2align	6, 0x0
	.amdhsa_kernel _ZN12tensorrt_llm7kernels32fusedQKNormRopeKernelNTokenHeadsIN3c104HalfEfLi256ELb0ELi2EEEvPviiifPKvS6_S6_PKlii
		.amdhsa_group_segment_fixed_size 0
		.amdhsa_private_segment_fixed_size 0
		.amdhsa_kernarg_size 320
		.amdhsa_user_sgpr_count 6
		.amdhsa_user_sgpr_private_segment_buffer 1
		.amdhsa_user_sgpr_dispatch_ptr 0
		.amdhsa_user_sgpr_queue_ptr 0
		.amdhsa_user_sgpr_kernarg_segment_ptr 1
		.amdhsa_user_sgpr_dispatch_id 0
		.amdhsa_user_sgpr_flat_scratch_init 0
		.amdhsa_user_sgpr_kernarg_preload_length 0
		.amdhsa_user_sgpr_kernarg_preload_offset 0
		.amdhsa_user_sgpr_private_segment_size 0
		.amdhsa_uses_dynamic_stack 0
		.amdhsa_system_sgpr_private_segment_wavefront_offset 0
		.amdhsa_system_sgpr_workgroup_id_x 1
		.amdhsa_system_sgpr_workgroup_id_y 0
		.amdhsa_system_sgpr_workgroup_id_z 0
		.amdhsa_system_sgpr_workgroup_info 0
		.amdhsa_system_vgpr_workitem_id 0
		.amdhsa_next_free_vgpr 61
		.amdhsa_next_free_sgpr 24
		.amdhsa_accum_offset 64
		.amdhsa_reserve_vcc 1
		.amdhsa_reserve_flat_scratch 0
		.amdhsa_float_round_mode_32 0
		.amdhsa_float_round_mode_16_64 0
		.amdhsa_float_denorm_mode_32 3
		.amdhsa_float_denorm_mode_16_64 3
		.amdhsa_dx10_clamp 1
		.amdhsa_ieee_mode 1
		.amdhsa_fp16_overflow 0
		.amdhsa_tg_split 0
		.amdhsa_exception_fp_ieee_invalid_op 0
		.amdhsa_exception_fp_denorm_src 0
		.amdhsa_exception_fp_ieee_div_zero 0
		.amdhsa_exception_fp_ieee_overflow 0
		.amdhsa_exception_fp_ieee_underflow 0
		.amdhsa_exception_fp_ieee_inexact 0
		.amdhsa_exception_int_div_zero 0
	.end_amdhsa_kernel
	.section	.text._ZN12tensorrt_llm7kernels32fusedQKNormRopeKernelNTokenHeadsIN3c104HalfEfLi256ELb0ELi2EEEvPviiifPKvS6_S6_PKlii,"axG",@progbits,_ZN12tensorrt_llm7kernels32fusedQKNormRopeKernelNTokenHeadsIN3c104HalfEfLi256ELb0ELi2EEEvPviiifPKvS6_S6_PKlii,comdat
.Lfunc_end11:
	.size	_ZN12tensorrt_llm7kernels32fusedQKNormRopeKernelNTokenHeadsIN3c104HalfEfLi256ELb0ELi2EEEvPviiifPKvS6_S6_PKlii, .Lfunc_end11-_ZN12tensorrt_llm7kernels32fusedQKNormRopeKernelNTokenHeadsIN3c104HalfEfLi256ELb0ELi2EEEvPviiifPKvS6_S6_PKlii
                                        ; -- End function
	.section	.AMDGPU.csdata,"",@progbits
; Kernel info:
; codeLenInByte = 2692
; NumSgprs: 28
; NumVgprs: 61
; NumAgprs: 0
; TotalNumVgprs: 61
; ScratchSize: 0
; MemoryBound: 0
; FloatMode: 240
; IeeeMode: 1
; LDSByteSize: 0 bytes/workgroup (compile time only)
; SGPRBlocks: 3
; VGPRBlocks: 7
; NumSGPRsForWavesPerEU: 28
; NumVGPRsForWavesPerEU: 61
; AccumOffset: 64
; Occupancy: 8
; WaveLimiterHint : 0
; COMPUTE_PGM_RSRC2:SCRATCH_EN: 0
; COMPUTE_PGM_RSRC2:USER_SGPR: 6
; COMPUTE_PGM_RSRC2:TRAP_HANDLER: 0
; COMPUTE_PGM_RSRC2:TGID_X_EN: 1
; COMPUTE_PGM_RSRC2:TGID_Y_EN: 0
; COMPUTE_PGM_RSRC2:TGID_Z_EN: 0
; COMPUTE_PGM_RSRC2:TIDIG_COMP_CNT: 0
; COMPUTE_PGM_RSRC3_GFX90A:ACCUM_OFFSET: 15
; COMPUTE_PGM_RSRC3_GFX90A:TG_SPLIT: 0
	.section	.text._ZN12tensorrt_llm7kernels32fusedQKNormRopeKernelNTokenHeadsIN3c104HalfEfLi64ELb1ELi4EEEvPviiifPKvS6_S6_PKlii,"axG",@progbits,_ZN12tensorrt_llm7kernels32fusedQKNormRopeKernelNTokenHeadsIN3c104HalfEfLi64ELb1ELi4EEEvPviiifPKvS6_S6_PKlii,comdat
	.protected	_ZN12tensorrt_llm7kernels32fusedQKNormRopeKernelNTokenHeadsIN3c104HalfEfLi64ELb1ELi4EEEvPviiifPKvS6_S6_PKlii ; -- Begin function _ZN12tensorrt_llm7kernels32fusedQKNormRopeKernelNTokenHeadsIN3c104HalfEfLi64ELb1ELi4EEEvPviiifPKvS6_S6_PKlii
	.globl	_ZN12tensorrt_llm7kernels32fusedQKNormRopeKernelNTokenHeadsIN3c104HalfEfLi64ELb1ELi4EEEvPviiifPKvS6_S6_PKlii
	.p2align	8
	.type	_ZN12tensorrt_llm7kernels32fusedQKNormRopeKernelNTokenHeadsIN3c104HalfEfLi64ELb1ELi4EEEvPviiifPKvS6_S6_PKlii,@function
_ZN12tensorrt_llm7kernels32fusedQKNormRopeKernelNTokenHeadsIN3c104HalfEfLi64ELb1ELi4EEEvPviiifPKvS6_S6_PKlii: ; @_ZN12tensorrt_llm7kernels32fusedQKNormRopeKernelNTokenHeadsIN3c104HalfEfLi64ELb1ELi4EEEvPviiifPKvS6_S6_PKlii
; %bb.0:
	s_load_dwordx4 s[12:15], s[4:5], 0x8
	s_load_dwordx2 s[2:3], s[4:5], 0x38
	s_load_dword s0, s[4:5], 0x4c
	v_lshrrev_b32_e32 v12, 5, v0
	s_waitcnt lgkmcnt(0)
	s_add_i32 s21, s13, s12
	s_add_i32 s1, s21, 3
	s_ashr_i32 s7, s1, 31
	s_lshr_b32 s7, s7, 30
	s_add_i32 s1, s1, s7
	s_ashr_i32 s20, s1, 2
	s_abs_i32 s1, s20
	v_cvt_f32_u32_e32 v1, s1
	s_bfe_u32 s0, s0, 0xb0005
	s_mul_i32 s6, s6, s0
	v_add_u32_e32 v9, s6, v12
	v_rcp_iflag_f32_e32 v1, v1
	s_sub_i32 s6, 0, s1
	v_sub_u32_e32 v2, 0, v9
	v_max_i32_e32 v2, v9, v2
	v_mul_f32_e32 v1, 0x4f7ffffe, v1
	v_cvt_u32_f32_e32 v1, v1
	v_xor_b32_e32 v3, s20, v9
	v_ashrrev_i32_e32 v3, 31, v3
	v_mul_lo_u32 v4, s6, v1
	v_mul_hi_u32 v4, v1, v4
	v_add_u32_e32 v1, v1, v4
	v_mul_hi_u32 v1, v2, v1
	v_mul_lo_u32 v4, v1, s1
	v_sub_u32_e32 v2, v2, v4
	v_add_u32_e32 v4, 1, v1
	v_cmp_le_u32_e32 vcc, s1, v2
	v_cndmask_b32_e32 v1, v1, v4, vcc
	v_subrev_u32_e32 v4, s1, v2
	v_cndmask_b32_e32 v2, v2, v4, vcc
	v_add_u32_e32 v4, 1, v1
	v_cmp_le_u32_e32 vcc, s1, v2
	v_cndmask_b32_e32 v1, v1, v4, vcc
	v_xor_b32_e32 v1, v1, v3
	v_sub_u32_e32 v2, v1, v3
	v_cmp_gt_i32_e32 vcc, s2, v2
	s_and_saveexec_b64 s[6:7], vcc
	s_cbranch_execz .LBB12_17
; %bb.1:
	v_and_b32_e32 v8, 31, v0
	v_mul_lo_u32 v0, v2, s20
	v_sub_u32_e32 v0, v9, v0
	s_load_dwordx2 s[16:17], s[4:5], 0x0
	v_lshlrev_b32_e32 v0, 2, v0
	v_add_u32_e32 v1, 4, v0
	v_sub_u32_e32 v3, s21, v0
	v_cmp_lt_i32_e32 vcc, s21, v1
	v_cndmask_b32_e32 v7, 4, v3, vcc
	s_lshl_b32 s18, s3, 2
	s_mul_i32 s2, s18, s0
	v_lshlrev_b32_e32 v11, 9, v12
	v_cmp_lt_i32_e64 s[0:1], 0, v7
	v_lshlrev_b32_e32 v10, 2, v8
	s_and_saveexec_b64 s[6:7], s[0:1]
	s_cbranch_execz .LBB12_9
; %bb.2:
	s_mov_b32 s19, 1
	v_lshlrev_b32_e32 v4, 1, v8
	v_cmp_ne_u32_e32 vcc, 1, v7
	s_mov_b64 s[10:11], -1
	v_mov_b32_e32 v1, 0
	s_and_saveexec_b64 s[8:9], vcc
	s_cbranch_execz .LBB12_6
; %bb.3:
	s_add_i32 s21, s21, s14
	s_add_i32 s10, s2, 0
	v_mul_lo_u32 v6, v2, s21
	s_mov_b32 s22, 0
	v_add3_u32 v13, s10, v11, v10
	v_mov_b32_e32 v1, v0
	s_mov_b32 s21, s12
	s_mov_b32 s23, s12
	v_mov_b32_e32 v3, v6
	v_mov_b32_e32 v5, v4
	v_and_b32_e32 v14, 0x7ffffffe, v7
	s_mov_b64 s[10:11], 0
	v_mov_b32_e32 v15, s12
	v_mov_b32_e32 v16, s12
	s_waitcnt lgkmcnt(0)
	v_mov_b32_e32 v17, s17
.LBB12_4:                               ; =>This Inner Loop Header: Depth=1
	v_add_u32_e32 v19, s19, v1
	v_add_u32_e32 v18, s22, v0
	v_cmp_le_i32_e32 vcc, s23, v19
	v_cndmask_b32_e32 v20, 0, v15, vcc
	v_cmp_le_i32_e32 vcc, s21, v18
	v_cndmask_b32_e32 v21, 0, v16, vcc
	v_sub_u32_e32 v18, v18, v21
	v_sub_u32_e32 v19, v19, v20
	v_add3_u32 v18, v6, v21, v18
	v_add3_u32 v19, v3, v20, v19
	v_lshl_or_b32 v18, v18, 6, v4
	v_lshl_or_b32 v20, v19, 6, v5
	v_ashrrev_i32_e32 v19, 31, v18
	v_lshlrev_b64 v[18:19], 1, v[18:19]
	v_ashrrev_i32_e32 v21, 31, v20
	v_add_co_u32_e32 v18, vcc, s16, v18
	v_lshlrev_b64 v[20:21], 1, v[20:21]
	v_addc_co_u32_e32 v19, vcc, v17, v19, vcc
	v_add_co_u32_e32 v20, vcc, s16, v20
	v_addc_co_u32_e32 v21, vcc, v17, v21, vcc
	global_load_dword v22, v[18:19], off
	global_load_dword v23, v[20:21], off
	v_add_u32_e32 v14, -2, v14
	v_lshl_add_u32 v18, s22, 7, v13
	v_lshl_add_u32 v19, s19, 7, v13
	s_add_i32 s22, s22, 2
	s_add_i32 s19, s19, 2
	v_cmp_eq_u32_e32 vcc, 0, v14
	s_or_b64 s[10:11], vcc, s[10:11]
	s_waitcnt vmcnt(1)
	ds_write_b32 v18, v22
	s_waitcnt vmcnt(0)
	ds_write_b32 v19, v23
	s_andn2_b64 exec, exec, s[10:11]
	s_cbranch_execnz .LBB12_4
; %bb.5:
	s_or_b64 exec, exec, s[10:11]
	v_and_b32_e32 v1, 0x7ffffffe, v7
	v_cmp_ne_u32_e32 vcc, v7, v1
	s_orn2_b64 s[10:11], vcc, exec
.LBB12_6:
	s_or_b64 exec, exec, s[8:9]
	s_and_b64 exec, exec, s[10:11]
	s_cbranch_execz .LBB12_9
; %bb.7:
	s_add_i32 s8, s14, s13
	s_add_i32 s8, s8, s12
	s_lshl_b32 s9, s20, 2
	s_sub_i32 s8, s8, s9
	v_mul_lo_u32 v3, s8, v2
	v_lshlrev_b32_e32 v5, 2, v9
	v_add3_u32 v3, v1, v3, v5
	v_lshl_or_b32 v4, v3, 6, v4
	v_lshlrev_b32_e32 v3, 7, v1
	v_add3_u32 v3, s2, v11, v3
	v_add3_u32 v3, v3, v10, 0
	s_mov_b64 s[8:9], 0
	s_waitcnt lgkmcnt(0)
	v_mov_b32_e32 v6, s17
.LBB12_8:                               ; =>This Inner Loop Header: Depth=1
	v_ashrrev_i32_e32 v5, 31, v4
	v_lshlrev_b64 v[14:15], 1, v[4:5]
	v_add_co_u32_e32 v14, vcc, s16, v14
	v_addc_co_u32_e32 v15, vcc, v6, v15, vcc
	global_load_dword v5, v[14:15], off
	v_add_u32_e32 v1, 1, v1
	v_cmp_ge_i32_e32 vcc, v1, v7
	v_add_u32_e32 v4, 64, v4
	s_or_b64 s[8:9], vcc, s[8:9]
	s_waitcnt vmcnt(0)
	ds_write_b32 v3, v5
	v_add_u32_e32 v3, 0x80, v3
	s_andn2_b64 exec, exec, s[8:9]
	s_cbranch_execnz .LBB12_8
.LBB12_9:
	s_or_b64 exec, exec, s[6:7]
	s_add_i32 s18, s18, 15
	s_load_dwordx8 s[4:11], s[4:5], 0x18
	s_ashr_i32 s19, s18, 31
	s_lshr_b32 s19, s19, 28
	s_add_i32 s18, s18, s19
	s_ashr_i32 s21, s18, 4
	v_mul_lo_u32 v1, v12, s3
	v_cmp_gt_i32_e32 vcc, s21, v8
	v_lshlrev_b32_e32 v12, 2, v1
	s_and_saveexec_b64 s[18:19], vcc
	s_cbranch_execz .LBB12_12
; %bb.10:
	v_ashrrev_i32_e32 v3, 31, v2
	v_lshlrev_b64 v[4:5], 3, v[2:3]
	s_waitcnt lgkmcnt(0)
	v_mov_b32_e32 v1, s11
	v_add_co_u32_e32 v4, vcc, s10, v4
	v_addc_co_u32_e32 v5, vcc, v1, v5, vcc
	global_load_dwordx2 v[4:5], v[4:5], off
	s_ashr_i32 s22, s3, 31
	v_lshlrev_b32_e32 v3, 4, v8
	v_add3_u32 v1, v12, v3, 0
	v_mov_b32_e32 v6, s9
	s_mov_b64 s[10:11], 0
	s_waitcnt vmcnt(0)
	v_mul_lo_u32 v13, v5, s3
	v_mul_lo_u32 v14, v4, s22
	v_mad_u64_u32 v[4:5], s[22:23], v4, s3, 0
	v_add3_u32 v5, v5, v14, v13
	v_lshlrev_b64 v[4:5], 2, v[4:5]
	v_add_co_u32_e32 v3, vcc, v4, v3
	v_addc_co_u32_e32 v5, vcc, 0, v5, vcc
	v_add_co_u32_e32 v4, vcc, s8, v3
	v_addc_co_u32_e32 v5, vcc, v6, v5, vcc
	v_mov_b32_e32 v3, v8
.LBB12_11:                              ; =>This Inner Loop Header: Depth=1
	global_load_dwordx4 v[14:17], v[4:5], off
	v_add_co_u32_e32 v4, vcc, 0x200, v4
	v_add_u32_e32 v3, 32, v3
	v_addc_co_u32_e32 v5, vcc, 0, v5, vcc
	v_cmp_le_i32_e32 vcc, s21, v3
	s_or_b64 s[10:11], vcc, s[10:11]
	s_waitcnt vmcnt(0)
	ds_write_b128 v1, v[14:17]
	v_add_u32_e32 v1, 0x200, v1
	s_andn2_b64 exec, exec, s[10:11]
	s_cbranch_execnz .LBB12_11
.LBB12_12:
	s_or_b64 exec, exec, s[18:19]
	s_and_b64 exec, exec, s[0:1]
	s_cbranch_execz .LBB12_17
; %bb.13:
	s_waitcnt lgkmcnt(0)
	global_load_dword v1, v10, s[4:5]
	global_load_dword v6, v10, s[6:7]
	v_mbcnt_lo_u32_b32 v3, -1, 0
	s_lshr_b32 s0, s3, 31
	s_add_i32 s1, s14, s13
	v_add_u32_e32 v5, s2, v11
	v_mbcnt_hi_u32_b32 v3, -1, v3
	v_add3_u32 v12, 0, v12, v10
	s_lshl_b32 s8, s20, 2
	s_add_i32 s0, s3, s0
	s_add_i32 s1, s1, s12
	v_add3_u32 v10, v5, v10, 0
	v_and_b32_e32 v5, 0x60, v3
	s_ashr_i32 s0, s0, 1
	v_xor_b32_e32 v13, 16, v3
	s_sub_i32 s1, s1, s8
	v_add_u32_e32 v5, 32, v5
	v_xor_b32_e32 v14, 8, v3
	v_cmp_gt_i32_e32 vcc, s0, v8
	v_lshl_add_u32 v11, s0, 2, v12
	v_mul_lo_u32 v2, s1, v2
	v_cmp_lt_i32_e64 s[0:1], v13, v5
	v_xor_b32_e32 v15, 4, v3
	v_cndmask_b32_e64 v13, v3, v13, s[0:1]
	v_cmp_lt_i32_e64 s[0:1], v14, v5
	v_xor_b32_e32 v16, 2, v3
	v_cndmask_b32_e64 v14, v3, v14, s[0:1]
	;; [unrolled: 3-line block ×3, first 2 shown]
	v_cmp_lt_i32_e64 s[0:1], v16, v5
	v_lshlrev_b32_e32 v4, 8, v9
	v_cndmask_b32_e64 v16, v3, v16, s[0:1]
	v_cmp_lt_i32_e64 s[0:1], v17, v5
	v_cndmask_b32_e64 v3, v3, v17, s[0:1]
	v_lshl_add_u32 v2, v2, 6, v4
	s_mov_b32 s6, 0
	s_mov_b64 s[4:5], 0
	v_mov_b32_e32 v9, s15
	s_mov_b32 s7, 0x800000
	v_lshlrev_b32_e32 v13, 2, v13
	v_lshlrev_b32_e32 v14, 2, v14
	;; [unrolled: 1-line block ×5, first 2 shown]
	v_lshl_or_b32 v2, v8, 1, v2
	v_mov_b32_e32 v19, s17
	s_waitcnt vmcnt(1)
	v_lshrrev_b32_e32 v8, 16, v1
	s_waitcnt vmcnt(0)
	v_lshrrev_b32_e32 v18, 16, v6
	s_branch .LBB12_15
.LBB12_14:                              ;   in Loop: Header=BB12_15 Depth=1
	s_or_b64 exec, exec, s[0:1]
	v_ashrrev_i32_e32 v3, 31, v2
	v_cvt_f16_f32_e32 v20, v4
	v_cvt_f16_f32_e32 v21, v5
	v_lshlrev_b64 v[4:5], 1, v[2:3]
	v_add_co_u32_e64 v4, s[0:1], s16, v4
	v_addc_co_u32_e64 v5, s[0:1], v19, v5, s[0:1]
	s_add_i32 s6, s6, 1
	v_cmp_ge_i32_e64 s[0:1], s6, v7
	v_pack_b32_f16 v3, v20, v21
	v_add_u32_e32 v2, 64, v2
	s_or_b64 s[4:5], s[0:1], s[4:5]
	v_add_u32_e32 v10, 0x80, v10
	global_store_dword v[4:5], v3, off
	s_andn2_b64 exec, exec, s[4:5]
	s_cbranch_execz .LBB12_17
.LBB12_15:                              ; =>This Inner Loop Header: Depth=1
	ds_read_b32 v3, v10
	v_mov_b32_e32 v22, v9
	s_waitcnt lgkmcnt(0)
	v_cvt_f32_f16_sdwa v5, v3 dst_sel:DWORD dst_unused:UNUSED_PAD src0_sel:WORD_1
	v_cvt_f32_f16_e32 v4, v3
	v_pk_mul_f32 v[20:21], v[4:5], v[4:5]
	v_add_f32_e32 v3, v21, v20
	ds_bpermute_b32 v20, v13, v3
	v_add_u32_e32 v21, s6, v0
	v_cmp_gt_i32_e64 s[0:1], s12, v21
	v_cndmask_b32_e64 v21, v18, v8, s[0:1]
	v_cvt_f32_f16_e32 v21, v21
	s_waitcnt lgkmcnt(0)
	v_add_f32_e32 v3, v3, v20
	ds_bpermute_b32 v20, v14, v3
	s_waitcnt lgkmcnt(0)
	v_add_f32_e32 v3, v3, v20
	ds_bpermute_b32 v20, v15, v3
	;; [unrolled: 3-line block ×4, first 2 shown]
	s_waitcnt lgkmcnt(0)
	v_add_f32_e32 v3, v3, v20
	v_fmac_f32_e32 v22, 0x3c800000, v3
	v_mul_f32_e32 v3, 0x4b800000, v22
	v_cmp_gt_f32_e64 s[2:3], s7, v22
	v_cndmask_b32_e64 v3, v22, v3, s[2:3]
	v_rsq_f32_e32 v3, v3
	v_cndmask_b32_e64 v20, v6, v1, s[0:1]
	v_cvt_f32_f16_e32 v20, v20
	v_mul_f32_e32 v22, 0x45800000, v3
	v_cndmask_b32_e64 v22, v3, v22, s[2:3]
	v_pk_mul_f32 v[20:21], v[22:23], v[20:21] op_sel_hi:[0,1]
	v_pk_mul_f32 v[4:5], v[20:21], v[4:5]
	s_and_saveexec_b64 s[0:1], vcc
	s_cbranch_execz .LBB12_14
; %bb.16:                               ;   in Loop: Header=BB12_15 Depth=1
	ds_read_b32 v20, v11
	ds_read_b32 v21, v12
	s_waitcnt lgkmcnt(1)
	v_mul_f32_e32 v3, v5, v20
	s_waitcnt lgkmcnt(0)
	v_pk_mul_f32 v[22:23], v[4:5], v[20:21]
	v_fma_f32 v24, v4, v21, -v3
	v_mov_b32_e32 v3, v22
	v_pk_fma_f32 v[4:5], v[4:5], v[20:21], v[2:3]
	v_mov_b32_e32 v25, v5
	v_pk_mov_b32 v[4:5], v[24:25], v[24:25] op_sel:[0,1]
	s_branch .LBB12_14
.LBB12_17:
	s_endpgm
	.section	.rodata,"a",@progbits
	.p2align	6, 0x0
	.amdhsa_kernel _ZN12tensorrt_llm7kernels32fusedQKNormRopeKernelNTokenHeadsIN3c104HalfEfLi64ELb1ELi4EEEvPviiifPKvS6_S6_PKlii
		.amdhsa_group_segment_fixed_size 0
		.amdhsa_private_segment_fixed_size 0
		.amdhsa_kernarg_size 320
		.amdhsa_user_sgpr_count 6
		.amdhsa_user_sgpr_private_segment_buffer 1
		.amdhsa_user_sgpr_dispatch_ptr 0
		.amdhsa_user_sgpr_queue_ptr 0
		.amdhsa_user_sgpr_kernarg_segment_ptr 1
		.amdhsa_user_sgpr_dispatch_id 0
		.amdhsa_user_sgpr_flat_scratch_init 0
		.amdhsa_user_sgpr_kernarg_preload_length 0
		.amdhsa_user_sgpr_kernarg_preload_offset 0
		.amdhsa_user_sgpr_private_segment_size 0
		.amdhsa_uses_dynamic_stack 0
		.amdhsa_system_sgpr_private_segment_wavefront_offset 0
		.amdhsa_system_sgpr_workgroup_id_x 1
		.amdhsa_system_sgpr_workgroup_id_y 0
		.amdhsa_system_sgpr_workgroup_id_z 0
		.amdhsa_system_sgpr_workgroup_info 0
		.amdhsa_system_vgpr_workitem_id 0
		.amdhsa_next_free_vgpr 26
		.amdhsa_next_free_sgpr 24
		.amdhsa_accum_offset 28
		.amdhsa_reserve_vcc 1
		.amdhsa_reserve_flat_scratch 0
		.amdhsa_float_round_mode_32 0
		.amdhsa_float_round_mode_16_64 0
		.amdhsa_float_denorm_mode_32 3
		.amdhsa_float_denorm_mode_16_64 3
		.amdhsa_dx10_clamp 1
		.amdhsa_ieee_mode 1
		.amdhsa_fp16_overflow 0
		.amdhsa_tg_split 0
		.amdhsa_exception_fp_ieee_invalid_op 0
		.amdhsa_exception_fp_denorm_src 0
		.amdhsa_exception_fp_ieee_div_zero 0
		.amdhsa_exception_fp_ieee_overflow 0
		.amdhsa_exception_fp_ieee_underflow 0
		.amdhsa_exception_fp_ieee_inexact 0
		.amdhsa_exception_int_div_zero 0
	.end_amdhsa_kernel
	.section	.text._ZN12tensorrt_llm7kernels32fusedQKNormRopeKernelNTokenHeadsIN3c104HalfEfLi64ELb1ELi4EEEvPviiifPKvS6_S6_PKlii,"axG",@progbits,_ZN12tensorrt_llm7kernels32fusedQKNormRopeKernelNTokenHeadsIN3c104HalfEfLi64ELb1ELi4EEEvPviiifPKvS6_S6_PKlii,comdat
.Lfunc_end12:
	.size	_ZN12tensorrt_llm7kernels32fusedQKNormRopeKernelNTokenHeadsIN3c104HalfEfLi64ELb1ELi4EEEvPviiifPKvS6_S6_PKlii, .Lfunc_end12-_ZN12tensorrt_llm7kernels32fusedQKNormRopeKernelNTokenHeadsIN3c104HalfEfLi64ELb1ELi4EEEvPviiifPKvS6_S6_PKlii
                                        ; -- End function
	.section	.AMDGPU.csdata,"",@progbits
; Kernel info:
; codeLenInByte = 1708
; NumSgprs: 28
; NumVgprs: 26
; NumAgprs: 0
; TotalNumVgprs: 26
; ScratchSize: 0
; MemoryBound: 0
; FloatMode: 240
; IeeeMode: 1
; LDSByteSize: 0 bytes/workgroup (compile time only)
; SGPRBlocks: 3
; VGPRBlocks: 3
; NumSGPRsForWavesPerEU: 28
; NumVGPRsForWavesPerEU: 26
; AccumOffset: 28
; Occupancy: 8
; WaveLimiterHint : 0
; COMPUTE_PGM_RSRC2:SCRATCH_EN: 0
; COMPUTE_PGM_RSRC2:USER_SGPR: 6
; COMPUTE_PGM_RSRC2:TRAP_HANDLER: 0
; COMPUTE_PGM_RSRC2:TGID_X_EN: 1
; COMPUTE_PGM_RSRC2:TGID_Y_EN: 0
; COMPUTE_PGM_RSRC2:TGID_Z_EN: 0
; COMPUTE_PGM_RSRC2:TIDIG_COMP_CNT: 0
; COMPUTE_PGM_RSRC3_GFX90A:ACCUM_OFFSET: 6
; COMPUTE_PGM_RSRC3_GFX90A:TG_SPLIT: 0
	.section	.text._ZN12tensorrt_llm7kernels32fusedQKNormRopeKernelNTokenHeadsIN3c104HalfEfLi64ELb0ELi4EEEvPviiifPKvS6_S6_PKlii,"axG",@progbits,_ZN12tensorrt_llm7kernels32fusedQKNormRopeKernelNTokenHeadsIN3c104HalfEfLi64ELb0ELi4EEEvPviiifPKvS6_S6_PKlii,comdat
	.protected	_ZN12tensorrt_llm7kernels32fusedQKNormRopeKernelNTokenHeadsIN3c104HalfEfLi64ELb0ELi4EEEvPviiifPKvS6_S6_PKlii ; -- Begin function _ZN12tensorrt_llm7kernels32fusedQKNormRopeKernelNTokenHeadsIN3c104HalfEfLi64ELb0ELi4EEEvPviiifPKvS6_S6_PKlii
	.globl	_ZN12tensorrt_llm7kernels32fusedQKNormRopeKernelNTokenHeadsIN3c104HalfEfLi64ELb0ELi4EEEvPviiifPKvS6_S6_PKlii
	.p2align	8
	.type	_ZN12tensorrt_llm7kernels32fusedQKNormRopeKernelNTokenHeadsIN3c104HalfEfLi64ELb0ELi4EEEvPviiifPKvS6_S6_PKlii,@function
_ZN12tensorrt_llm7kernels32fusedQKNormRopeKernelNTokenHeadsIN3c104HalfEfLi64ELb0ELi4EEEvPviiifPKvS6_S6_PKlii: ; @_ZN12tensorrt_llm7kernels32fusedQKNormRopeKernelNTokenHeadsIN3c104HalfEfLi64ELb0ELi4EEEvPviiifPKvS6_S6_PKlii
; %bb.0:
	s_load_dwordx4 s[12:15], s[4:5], 0x8
	s_load_dwordx2 s[2:3], s[4:5], 0x38
	s_load_dword s0, s[4:5], 0x4c
	v_lshrrev_b32_e32 v12, 5, v0
	s_waitcnt lgkmcnt(0)
	s_add_i32 s19, s13, s12
	s_add_i32 s1, s19, 3
	s_ashr_i32 s7, s1, 31
	s_lshr_b32 s7, s7, 30
	s_add_i32 s1, s1, s7
	s_ashr_i32 s20, s1, 2
	s_abs_i32 s1, s20
	v_cvt_f32_u32_e32 v1, s1
	s_bfe_u32 s0, s0, 0xb0005
	s_mul_i32 s6, s6, s0
	v_add_u32_e32 v8, s6, v12
	v_rcp_iflag_f32_e32 v1, v1
	s_sub_i32 s6, 0, s1
	v_sub_u32_e32 v2, 0, v8
	v_max_i32_e32 v2, v8, v2
	v_mul_f32_e32 v1, 0x4f7ffffe, v1
	v_cvt_u32_f32_e32 v1, v1
	v_xor_b32_e32 v3, s20, v8
	v_ashrrev_i32_e32 v3, 31, v3
	v_mul_lo_u32 v4, s6, v1
	v_mul_hi_u32 v4, v1, v4
	v_add_u32_e32 v1, v1, v4
	v_mul_hi_u32 v1, v2, v1
	v_mul_lo_u32 v4, v1, s1
	v_sub_u32_e32 v2, v2, v4
	v_add_u32_e32 v4, 1, v1
	v_cmp_le_u32_e32 vcc, s1, v2
	v_cndmask_b32_e32 v1, v1, v4, vcc
	v_subrev_u32_e32 v4, s1, v2
	v_cndmask_b32_e32 v2, v2, v4, vcc
	v_add_u32_e32 v4, 1, v1
	v_cmp_le_u32_e32 vcc, s1, v2
	v_cndmask_b32_e32 v1, v1, v4, vcc
	v_xor_b32_e32 v1, v1, v3
	v_sub_u32_e32 v2, v1, v3
	v_cmp_gt_i32_e32 vcc, s2, v2
	s_and_saveexec_b64 s[6:7], vcc
	s_cbranch_execz .LBB13_17
; %bb.1:
	v_and_b32_e32 v9, 31, v0
	v_mul_lo_u32 v0, v2, s20
	v_sub_u32_e32 v0, v8, v0
	s_load_dwordx2 s[16:17], s[4:5], 0x0
	v_lshlrev_b32_e32 v0, 2, v0
	v_add_u32_e32 v1, 4, v0
	v_sub_u32_e32 v3, s19, v0
	v_cmp_lt_i32_e32 vcc, s19, v1
	v_cndmask_b32_e32 v7, 4, v3, vcc
	s_lshl_b32 s2, s3, 2
	s_mul_i32 s21, s2, s0
	v_lshlrev_b32_e32 v10, 9, v12
	v_cmp_lt_i32_e64 s[0:1], 0, v7
	v_lshlrev_b32_e32 v11, 2, v9
	s_and_saveexec_b64 s[6:7], s[0:1]
	s_cbranch_execz .LBB13_9
; %bb.2:
	s_mov_b32 s18, 1
	v_lshlrev_b32_e32 v4, 1, v9
	v_cmp_ne_u32_e32 vcc, 1, v7
	s_mov_b64 s[10:11], -1
	v_mov_b32_e32 v1, 0
	s_and_saveexec_b64 s[8:9], vcc
	s_cbranch_execz .LBB13_6
; %bb.3:
	s_add_i32 s19, s19, s14
	s_add_i32 s10, s21, 0
	v_mul_lo_u32 v6, v2, s19
	s_mov_b32 s22, 0
	v_add3_u32 v13, s10, v10, v11
	v_mov_b32_e32 v1, v0
	s_mov_b32 s19, s12
	s_mov_b32 s23, s12
	v_mov_b32_e32 v3, v6
	v_mov_b32_e32 v5, v4
	v_and_b32_e32 v14, 0x7ffffffe, v7
	s_mov_b64 s[10:11], 0
	v_mov_b32_e32 v15, s12
	v_mov_b32_e32 v16, s12
	s_waitcnt lgkmcnt(0)
	v_mov_b32_e32 v17, s17
.LBB13_4:                               ; =>This Inner Loop Header: Depth=1
	v_add_u32_e32 v19, s18, v1
	v_add_u32_e32 v18, s22, v0
	v_cmp_le_i32_e32 vcc, s23, v19
	v_cndmask_b32_e32 v20, 0, v15, vcc
	v_cmp_le_i32_e32 vcc, s19, v18
	v_cndmask_b32_e32 v21, 0, v16, vcc
	v_sub_u32_e32 v18, v18, v21
	v_sub_u32_e32 v19, v19, v20
	v_add3_u32 v18, v6, v21, v18
	v_add3_u32 v19, v3, v20, v19
	v_lshl_or_b32 v18, v18, 6, v4
	v_lshl_or_b32 v20, v19, 6, v5
	v_ashrrev_i32_e32 v19, 31, v18
	v_lshlrev_b64 v[18:19], 1, v[18:19]
	v_ashrrev_i32_e32 v21, 31, v20
	v_add_co_u32_e32 v18, vcc, s16, v18
	v_lshlrev_b64 v[20:21], 1, v[20:21]
	v_addc_co_u32_e32 v19, vcc, v17, v19, vcc
	v_add_co_u32_e32 v20, vcc, s16, v20
	v_addc_co_u32_e32 v21, vcc, v17, v21, vcc
	global_load_dword v22, v[18:19], off
	global_load_dword v23, v[20:21], off
	v_add_u32_e32 v14, -2, v14
	v_lshl_add_u32 v18, s22, 7, v13
	v_lshl_add_u32 v19, s18, 7, v13
	s_add_i32 s22, s22, 2
	s_add_i32 s18, s18, 2
	v_cmp_eq_u32_e32 vcc, 0, v14
	s_or_b64 s[10:11], vcc, s[10:11]
	s_waitcnt vmcnt(1)
	ds_write_b32 v18, v22
	s_waitcnt vmcnt(0)
	ds_write_b32 v19, v23
	s_andn2_b64 exec, exec, s[10:11]
	s_cbranch_execnz .LBB13_4
; %bb.5:
	s_or_b64 exec, exec, s[10:11]
	v_and_b32_e32 v1, 0x7ffffffe, v7
	v_cmp_ne_u32_e32 vcc, v7, v1
	s_orn2_b64 s[10:11], vcc, exec
.LBB13_6:
	s_or_b64 exec, exec, s[8:9]
	s_and_b64 exec, exec, s[10:11]
	s_cbranch_execz .LBB13_9
; %bb.7:
	s_add_i32 s8, s14, s13
	s_add_i32 s8, s8, s12
	s_lshl_b32 s9, s20, 2
	s_sub_i32 s8, s8, s9
	v_mul_lo_u32 v3, s8, v2
	v_lshlrev_b32_e32 v5, 2, v8
	v_add3_u32 v3, v1, v3, v5
	v_lshl_or_b32 v4, v3, 6, v4
	v_lshlrev_b32_e32 v3, 7, v1
	v_add3_u32 v3, s21, v10, v3
	v_add3_u32 v3, v3, v11, 0
	s_mov_b64 s[8:9], 0
	s_waitcnt lgkmcnt(0)
	v_mov_b32_e32 v6, s17
.LBB13_8:                               ; =>This Inner Loop Header: Depth=1
	v_ashrrev_i32_e32 v5, 31, v4
	v_lshlrev_b64 v[14:15], 1, v[4:5]
	v_add_co_u32_e32 v14, vcc, s16, v14
	v_addc_co_u32_e32 v15, vcc, v6, v15, vcc
	global_load_dword v5, v[14:15], off
	v_add_u32_e32 v1, 1, v1
	v_cmp_ge_i32_e32 vcc, v1, v7
	v_add_u32_e32 v4, 64, v4
	s_or_b64 s[8:9], vcc, s[8:9]
	s_waitcnt vmcnt(0)
	ds_write_b32 v3, v5
	v_add_u32_e32 v3, 0x80, v3
	s_andn2_b64 exec, exec, s[8:9]
	s_cbranch_execnz .LBB13_8
.LBB13_9:
	s_or_b64 exec, exec, s[6:7]
	s_add_i32 s2, s2, 15
	s_load_dwordx8 s[4:11], s[4:5], 0x18
	s_ashr_i32 s18, s2, 31
	s_lshr_b32 s18, s18, 28
	s_add_i32 s2, s2, s18
	s_ashr_i32 s2, s2, 4
	v_cmp_gt_i32_e32 vcc, s2, v9
	v_mul_lo_u32 v6, v12, s3
	s_and_saveexec_b64 s[18:19], vcc
	s_cbranch_execz .LBB13_12
; %bb.10:
	v_ashrrev_i32_e32 v3, 31, v2
	v_lshlrev_b64 v[4:5], 3, v[2:3]
	s_waitcnt lgkmcnt(0)
	v_mov_b32_e32 v1, s11
	v_add_co_u32_e32 v4, vcc, s10, v4
	v_addc_co_u32_e32 v5, vcc, v1, v5, vcc
	global_load_dwordx2 v[4:5], v[4:5], off
	s_ashr_i32 s22, s3, 31
	v_lshlrev_b32_e32 v1, 2, v6
	v_lshlrev_b32_e32 v3, 4, v9
	v_add3_u32 v1, v1, v3, 0
	v_mov_b32_e32 v12, s9
	s_mov_b64 s[10:11], 0
	s_waitcnt vmcnt(0)
	v_mul_lo_u32 v13, v5, s3
	v_mul_lo_u32 v14, v4, s22
	v_mad_u64_u32 v[4:5], s[22:23], v4, s3, 0
	v_add3_u32 v5, v5, v14, v13
	v_lshlrev_b64 v[4:5], 2, v[4:5]
	v_add_co_u32_e32 v3, vcc, v4, v3
	v_addc_co_u32_e32 v5, vcc, 0, v5, vcc
	v_add_co_u32_e32 v4, vcc, s8, v3
	v_addc_co_u32_e32 v5, vcc, v12, v5, vcc
	v_mov_b32_e32 v3, v9
.LBB13_11:                              ; =>This Inner Loop Header: Depth=1
	global_load_dwordx4 v[12:15], v[4:5], off
	v_add_co_u32_e32 v4, vcc, 0x200, v4
	v_add_u32_e32 v3, 32, v3
	v_addc_co_u32_e32 v5, vcc, 0, v5, vcc
	v_cmp_le_i32_e32 vcc, s2, v3
	s_or_b64 s[10:11], vcc, s[10:11]
	s_waitcnt vmcnt(0)
	ds_write_b128 v1, v[12:15]
	v_add_u32_e32 v1, 0x200, v1
	s_andn2_b64 exec, exec, s[10:11]
	s_cbranch_execnz .LBB13_11
.LBB13_12:
	s_or_b64 exec, exec, s[18:19]
	s_and_b64 exec, exec, s[0:1]
	s_cbranch_execz .LBB13_17
; %bb.13:
	s_waitcnt lgkmcnt(0)
	global_load_dword v1, v11, s[4:5]
	global_load_dword v4, v11, s[6:7]
	v_mbcnt_lo_u32_b32 v5, -1, 0
	s_abs_i32 s4, s3
	s_lshr_b32 s0, s3, 31
	v_mbcnt_hi_u32_b32 v15, -1, v5
	v_cvt_f32_u32_e32 v12, s4
	s_add_i32 s0, s3, s0
	v_and_b32_e32 v5, 0x60, v15
	v_lshl_add_u32 v3, v6, 2, 0
	s_add_i32 s1, s14, s13
	s_ashr_i32 s0, s0, 1
	v_xor_b32_e32 v6, 16, v15
	v_add_u32_e32 v5, 32, v5
	s_add_i32 s6, s1, s12
	v_xor_b32_e32 v13, 8, v15
	v_lshl_add_u32 v20, s0, 2, v3
	v_cmp_gt_i32_e32 vcc, s0, v9
	s_lshr_b32 s2, s0, 1
	v_cmp_lt_i32_e64 s[0:1], v6, v5
	v_xor_b32_e32 v14, 4, v15
	v_cndmask_b32_e64 v6, v15, v6, s[0:1]
	v_cmp_lt_i32_e64 s[0:1], v13, v5
	v_rcp_iflag_f32_e32 v22, v12
	v_xor_b32_e32 v17, 2, v15
	v_cndmask_b32_e64 v13, v15, v13, s[0:1]
	v_cmp_lt_i32_e64 s[0:1], v14, v5
	v_cndmask_b32_e64 v14, v15, v14, s[0:1]
	v_cmp_lt_i32_e64 s[0:1], v17, v5
	v_xor_b32_e32 v18, 1, v15
	v_cndmask_b32_e64 v17, v15, v17, s[0:1]
	v_cmp_lt_i32_e64 s[0:1], v18, v5
	v_lshlrev_b32_e32 v5, 2, v6
	v_lshlrev_b32_e32 v6, 2, v13
	;; [unrolled: 1-line block ×3, first 2 shown]
	v_mul_f32_e32 v17, 0x4f7ffffe, v22
	v_cvt_u32_f32_e32 v17, v17
	s_sub_i32 s5, 0, s4
	v_cndmask_b32_e64 v18, v15, v18, s[0:1]
	v_lshlrev_b32_e32 v12, 2, v14
	v_lshlrev_b32_e32 v14, 2, v18
	v_mul_lo_u32 v18, s5, v17
	v_mul_hi_u32 v18, v17, v18
	v_add_u32_e32 v17, v17, v18
	v_or_b32_e32 v16, 2, v11
	v_and_b32_e32 v19, 64, v15
	v_mul_hi_u32 v18, v11, v17
	v_add_u32_e32 v19, 64, v19
	v_xor_b32_e32 v21, s2, v15
	v_mul_hi_u32 v17, v16, v17
	v_mul_lo_u32 v18, v18, s4
	v_cmp_gt_u32_e64 s[0:1], s2, v9
	v_cmp_lt_i32_e64 s[2:3], v21, v19
	v_mul_lo_u32 v17, v17, s4
	v_sub_u32_e32 v18, v11, v18
	v_cndmask_b32_e64 v15, v15, v21, s[2:3]
	v_sub_u32_e32 v16, v16, v17
	v_subrev_u32_e32 v17, s4, v18
	v_cmp_le_u32_e64 s[2:3], s4, v18
	v_subrev_u32_e32 v19, s4, v16
	v_cndmask_b32_e64 v17, v18, v17, s[2:3]
	v_cmp_le_u32_e64 s[2:3], s4, v16
	v_cndmask_b32_e64 v16, v16, v19, s[2:3]
	v_subrev_u32_e32 v18, s4, v17
	v_cmp_le_u32_e64 s[2:3], s4, v17
	v_subrev_u32_e32 v19, s4, v16
	v_cndmask_b32_e64 v17, v17, v18, s[2:3]
	v_cmp_le_u32_e64 s[2:3], s4, v16
	v_cndmask_b32_e64 v16, v16, v19, s[2:3]
	v_lshlrev_b32_e32 v17, 1, v17
	v_lshlrev_b32_e32 v16, 1, v16
	s_lshl_b32 s2, s20, 2
	v_and_b32_e32 v17, -4, v17
	v_and_b32_e32 v19, -4, v16
	s_sub_i32 s2, s6, s2
	v_add_u32_e32 v16, v3, v17
	v_add_u32_e32 v18, v3, v19
	v_mul_lo_u32 v2, s2, v2
	v_lshlrev_b32_e32 v3, 8, v8
	v_lshl_add_u32 v2, v2, 6, v3
	v_add_u32_e32 v3, s21, v10
	s_mov_b32 s8, 0
	v_lshlrev_b32_e32 v15, 2, v15
	v_add_u32_e32 v17, v20, v17
	v_add_u32_e32 v19, v20, v19
	s_waitcnt vmcnt(1)
	v_lshrrev_b32_e32 v20, 16, v1
	s_waitcnt vmcnt(0)
	v_lshrrev_b32_e32 v21, 16, v4
	v_lshl_or_b32 v2, v9, 1, v2
	v_add3_u32 v8, v3, v11, 0
	s_mov_b64 s[6:7], 0
	v_mov_b32_e32 v9, s15
	s_mov_b32 s9, 0x800000
	v_mov_b32_e32 v10, s17
	s_branch .LBB13_15
.LBB13_14:                              ;   in Loop: Header=BB13_15 Depth=1
	s_or_b64 exec, exec, s[2:3]
	v_cvt_f16_f32_e32 v24, v3
	v_ashrrev_i32_e32 v3, 31, v2
	v_cvt_f16_f32_e32 v11, v11
	v_lshlrev_b64 v[22:23], 1, v[2:3]
	v_add_co_u32_e64 v22, s[2:3], s16, v22
	v_addc_co_u32_e64 v23, s[2:3], v10, v23, s[2:3]
	s_add_i32 s8, s8, 1
	v_cmp_ge_i32_e64 s[2:3], s8, v7
	v_pack_b32_f16 v3, v11, v24
	v_add_u32_e32 v2, 64, v2
	s_or_b64 s[6:7], s[2:3], s[6:7]
	v_add_u32_e32 v8, 0x80, v8
	global_store_dword v[22:23], v3, off
	s_andn2_b64 exec, exec, s[6:7]
	s_cbranch_execz .LBB13_17
.LBB13_15:                              ; =>This Inner Loop Header: Depth=1
	ds_read_b32 v3, v8
	s_waitcnt lgkmcnt(0)
	v_cvt_f32_f16_sdwa v22, v3 dst_sel:DWORD dst_unused:UNUSED_PAD src0_sel:WORD_1
	v_cvt_f32_f16_e32 v23, v3
	v_pk_mul_f32 v[24:25], v[22:23], v[22:23]
	v_add_f32_e32 v3, v24, v25
	ds_bpermute_b32 v11, v5, v3
	v_mov_b32_e32 v25, v9
	v_add_u32_e32 v24, s8, v0
	v_cmp_gt_i32_e64 s[2:3], s12, v24
	v_cndmask_b32_e64 v24, v4, v1, s[2:3]
	s_waitcnt lgkmcnt(0)
	v_add_f32_e32 v3, v3, v11
	ds_bpermute_b32 v11, v6, v3
	s_waitcnt lgkmcnt(0)
	v_add_f32_e32 v3, v3, v11
	ds_bpermute_b32 v11, v12, v3
	s_waitcnt lgkmcnt(0)
	v_add_f32_e32 v3, v3, v11
	ds_bpermute_b32 v11, v13, v3
	s_waitcnt lgkmcnt(0)
	v_add_f32_e32 v3, v3, v11
	ds_bpermute_b32 v11, v14, v3
	s_waitcnt lgkmcnt(0)
	v_add_f32_e32 v3, v3, v11
	v_fmac_f32_e32 v25, 0x3c800000, v3
	v_mul_f32_e32 v3, 0x4b800000, v25
	v_cmp_gt_f32_e64 s[4:5], s9, v25
	v_cndmask_b32_e64 v3, v25, v3, s[4:5]
	v_rsq_f32_e32 v3, v3
	v_cvt_f32_f16_e32 v11, v24
	v_cndmask_b32_e64 v24, v21, v20, s[2:3]
	v_cvt_f32_f16_e32 v24, v24
	v_mul_f32_e32 v25, 0x45800000, v3
	v_cndmask_b32_e64 v3, v3, v25, s[4:5]
	v_mul_f32_e32 v11, v3, v11
	v_mul_f32_e32 v3, v3, v24
	;; [unrolled: 1-line block ×4, first 2 shown]
	s_and_saveexec_b64 s[2:3], vcc
	s_cbranch_execz .LBB13_14
; %bb.16:                               ;   in Loop: Header=BB13_15 Depth=1
	ds_bpermute_b32 v22, v15, v11
	; wave barrier
	ds_read_b32 v23, v16
	ds_read_b32 v24, v17
	ds_bpermute_b32 v25, v15, v3
	ds_read_b32 v26, v18
	ds_read_b32 v27, v19
	s_waitcnt lgkmcnt(5)
	v_cndmask_b32_e64 v22, v22, -v22, s[0:1]
	s_waitcnt lgkmcnt(3)
	v_mul_f32_e32 v22, v22, v24
	v_fmac_f32_e32 v22, v11, v23
	s_waitcnt lgkmcnt(2)
	v_cndmask_b32_e64 v11, v25, -v25, s[0:1]
	s_waitcnt lgkmcnt(0)
	v_mul_f32_e32 v23, v11, v27
	v_fmac_f32_e32 v23, v3, v26
	v_mov_b32_e32 v11, v22
	v_mov_b32_e32 v3, v23
	; wave barrier
	s_branch .LBB13_14
.LBB13_17:
	s_endpgm
	.section	.rodata,"a",@progbits
	.p2align	6, 0x0
	.amdhsa_kernel _ZN12tensorrt_llm7kernels32fusedQKNormRopeKernelNTokenHeadsIN3c104HalfEfLi64ELb0ELi4EEEvPviiifPKvS6_S6_PKlii
		.amdhsa_group_segment_fixed_size 0
		.amdhsa_private_segment_fixed_size 0
		.amdhsa_kernarg_size 320
		.amdhsa_user_sgpr_count 6
		.amdhsa_user_sgpr_private_segment_buffer 1
		.amdhsa_user_sgpr_dispatch_ptr 0
		.amdhsa_user_sgpr_queue_ptr 0
		.amdhsa_user_sgpr_kernarg_segment_ptr 1
		.amdhsa_user_sgpr_dispatch_id 0
		.amdhsa_user_sgpr_flat_scratch_init 0
		.amdhsa_user_sgpr_kernarg_preload_length 0
		.amdhsa_user_sgpr_kernarg_preload_offset 0
		.amdhsa_user_sgpr_private_segment_size 0
		.amdhsa_uses_dynamic_stack 0
		.amdhsa_system_sgpr_private_segment_wavefront_offset 0
		.amdhsa_system_sgpr_workgroup_id_x 1
		.amdhsa_system_sgpr_workgroup_id_y 0
		.amdhsa_system_sgpr_workgroup_id_z 0
		.amdhsa_system_sgpr_workgroup_info 0
		.amdhsa_system_vgpr_workitem_id 0
		.amdhsa_next_free_vgpr 28
		.amdhsa_next_free_sgpr 24
		.amdhsa_accum_offset 28
		.amdhsa_reserve_vcc 1
		.amdhsa_reserve_flat_scratch 0
		.amdhsa_float_round_mode_32 0
		.amdhsa_float_round_mode_16_64 0
		.amdhsa_float_denorm_mode_32 3
		.amdhsa_float_denorm_mode_16_64 3
		.amdhsa_dx10_clamp 1
		.amdhsa_ieee_mode 1
		.amdhsa_fp16_overflow 0
		.amdhsa_tg_split 0
		.amdhsa_exception_fp_ieee_invalid_op 0
		.amdhsa_exception_fp_denorm_src 0
		.amdhsa_exception_fp_ieee_div_zero 0
		.amdhsa_exception_fp_ieee_overflow 0
		.amdhsa_exception_fp_ieee_underflow 0
		.amdhsa_exception_fp_ieee_inexact 0
		.amdhsa_exception_int_div_zero 0
	.end_amdhsa_kernel
	.section	.text._ZN12tensorrt_llm7kernels32fusedQKNormRopeKernelNTokenHeadsIN3c104HalfEfLi64ELb0ELi4EEEvPviiifPKvS6_S6_PKlii,"axG",@progbits,_ZN12tensorrt_llm7kernels32fusedQKNormRopeKernelNTokenHeadsIN3c104HalfEfLi64ELb0ELi4EEEvPviiifPKvS6_S6_PKlii,comdat
.Lfunc_end13:
	.size	_ZN12tensorrt_llm7kernels32fusedQKNormRopeKernelNTokenHeadsIN3c104HalfEfLi64ELb0ELi4EEEvPviiifPKvS6_S6_PKlii, .Lfunc_end13-_ZN12tensorrt_llm7kernels32fusedQKNormRopeKernelNTokenHeadsIN3c104HalfEfLi64ELb0ELi4EEEvPviiifPKvS6_S6_PKlii
                                        ; -- End function
	.section	.AMDGPU.csdata,"",@progbits
; Kernel info:
; codeLenInByte = 1992
; NumSgprs: 28
; NumVgprs: 28
; NumAgprs: 0
; TotalNumVgprs: 28
; ScratchSize: 0
; MemoryBound: 0
; FloatMode: 240
; IeeeMode: 1
; LDSByteSize: 0 bytes/workgroup (compile time only)
; SGPRBlocks: 3
; VGPRBlocks: 3
; NumSGPRsForWavesPerEU: 28
; NumVGPRsForWavesPerEU: 28
; AccumOffset: 28
; Occupancy: 8
; WaveLimiterHint : 0
; COMPUTE_PGM_RSRC2:SCRATCH_EN: 0
; COMPUTE_PGM_RSRC2:USER_SGPR: 6
; COMPUTE_PGM_RSRC2:TRAP_HANDLER: 0
; COMPUTE_PGM_RSRC2:TGID_X_EN: 1
; COMPUTE_PGM_RSRC2:TGID_Y_EN: 0
; COMPUTE_PGM_RSRC2:TGID_Z_EN: 0
; COMPUTE_PGM_RSRC2:TIDIG_COMP_CNT: 0
; COMPUTE_PGM_RSRC3_GFX90A:ACCUM_OFFSET: 6
; COMPUTE_PGM_RSRC3_GFX90A:TG_SPLIT: 0
	.section	.text._ZN12tensorrt_llm7kernels32fusedQKNormRopeKernelNTokenHeadsIN3c104HalfEfLi128ELb1ELi4EEEvPviiifPKvS6_S6_PKlii,"axG",@progbits,_ZN12tensorrt_llm7kernels32fusedQKNormRopeKernelNTokenHeadsIN3c104HalfEfLi128ELb1ELi4EEEvPviiifPKvS6_S6_PKlii,comdat
	.protected	_ZN12tensorrt_llm7kernels32fusedQKNormRopeKernelNTokenHeadsIN3c104HalfEfLi128ELb1ELi4EEEvPviiifPKvS6_S6_PKlii ; -- Begin function _ZN12tensorrt_llm7kernels32fusedQKNormRopeKernelNTokenHeadsIN3c104HalfEfLi128ELb1ELi4EEEvPviiifPKvS6_S6_PKlii
	.globl	_ZN12tensorrt_llm7kernels32fusedQKNormRopeKernelNTokenHeadsIN3c104HalfEfLi128ELb1ELi4EEEvPviiifPKvS6_S6_PKlii
	.p2align	8
	.type	_ZN12tensorrt_llm7kernels32fusedQKNormRopeKernelNTokenHeadsIN3c104HalfEfLi128ELb1ELi4EEEvPviiifPKvS6_S6_PKlii,@function
_ZN12tensorrt_llm7kernels32fusedQKNormRopeKernelNTokenHeadsIN3c104HalfEfLi128ELb1ELi4EEEvPviiifPKvS6_S6_PKlii: ; @_ZN12tensorrt_llm7kernels32fusedQKNormRopeKernelNTokenHeadsIN3c104HalfEfLi128ELb1ELi4EEEvPviiifPKvS6_S6_PKlii
; %bb.0:
	s_load_dwordx4 s[12:15], s[4:5], 0x8
	s_load_dwordx2 s[16:17], s[4:5], 0x38
	s_load_dword s1, s[4:5], 0x4c
	v_lshrrev_b32_e32 v3, 5, v0
	s_waitcnt lgkmcnt(0)
	s_add_i32 s0, s13, s12
	s_add_i32 s2, s0, 3
	s_ashr_i32 s3, s2, 31
	s_lshr_b32 s3, s3, 30
	s_add_i32 s2, s2, s3
	s_ashr_i32 s20, s2, 2
	s_abs_i32 s2, s20
	v_cvt_f32_u32_e32 v1, s2
	s_bfe_u32 s1, s1, 0xb0005
	s_mul_i32 s6, s6, s1
	s_sub_i32 s3, 0, s2
	v_rcp_iflag_f32_e32 v2, v1
	v_add_u32_e32 v1, s6, v3
	v_sub_u32_e32 v4, 0, v1
	v_max_i32_e32 v4, v1, v4
	v_mul_f32_e32 v2, 0x4f7ffffe, v2
	v_cvt_u32_f32_e32 v2, v2
	v_xor_b32_e32 v5, s20, v1
	v_ashrrev_i32_e32 v5, 31, v5
	v_mul_lo_u32 v6, s3, v2
	v_mul_hi_u32 v6, v2, v6
	v_add_u32_e32 v2, v2, v6
	v_mul_hi_u32 v2, v4, v2
	v_mul_lo_u32 v6, v2, s2
	v_sub_u32_e32 v4, v4, v6
	v_add_u32_e32 v6, 1, v2
	v_cmp_le_u32_e32 vcc, s2, v4
	v_cndmask_b32_e32 v2, v2, v6, vcc
	v_subrev_u32_e32 v6, s2, v4
	v_cndmask_b32_e32 v4, v4, v6, vcc
	v_add_u32_e32 v6, 1, v2
	v_cmp_le_u32_e32 vcc, s2, v4
	v_cndmask_b32_e32 v2, v2, v6, vcc
	v_xor_b32_e32 v2, v2, v5
	v_sub_u32_e32 v2, v2, v5
	v_cmp_gt_i32_e32 vcc, s16, v2
	s_and_saveexec_b64 s[2:3], vcc
	s_cbranch_execz .LBB14_12
; %bb.1:
	v_and_b32_e32 v6, 31, v0
	v_mul_lo_u32 v0, v2, s20
	v_sub_u32_e32 v0, v1, v0
	s_load_dwordx2 s[2:3], s[4:5], 0x0
	v_lshlrev_b32_e32 v10, 2, v0
	v_add_u32_e32 v0, 4, v10
	v_sub_u32_e32 v4, s0, v10
	v_cmp_lt_i32_e32 vcc, s0, v0
	v_cndmask_b32_e32 v11, 4, v4, vcc
	s_lshl_b32 s18, s17, 2
	s_mul_i32 s16, s18, s1
	v_lshlrev_b32_e32 v9, 10, v3
	v_cmp_lt_i32_e64 s[0:1], 0, v11
	v_lshlrev_b32_e32 v8, 3, v6
	v_lshlrev_b32_e32 v7, 9, v1
	s_and_saveexec_b64 s[6:7], s[0:1]
	s_cbranch_execz .LBB14_4
; %bb.2:
	s_add_i32 s8, s16, 0
	v_add3_u32 v4, s8, v9, v8
	s_add_i32 s8, s14, s13
	s_add_i32 s8, s8, s12
	s_lshl_b32 s9, s20, 2
	s_sub_i32 s8, s8, s9
	v_mul_lo_u32 v0, s8, v2
	v_lshl_add_u32 v0, v0, 7, v7
	s_mov_b32 s10, 0
	v_lshl_or_b32 v0, v6, 2, v0
	s_mov_b64 s[8:9], 0
	s_waitcnt lgkmcnt(0)
	v_mov_b32_e32 v5, s3
.LBB14_3:                               ; =>This Inner Loop Header: Depth=1
	v_ashrrev_i32_e32 v1, 31, v0
	v_lshlrev_b64 v[12:13], 1, v[0:1]
	v_add_co_u32_e32 v12, vcc, s2, v12
	v_addc_co_u32_e32 v13, vcc, v5, v13, vcc
	global_load_dwordx2 v[12:13], v[12:13], off
	s_add_i32 s10, s10, 1
	v_cmp_ge_i32_e32 vcc, s10, v11
	v_add_u32_e32 v0, 0x80, v0
	s_or_b64 s[8:9], vcc, s[8:9]
	s_waitcnt vmcnt(0)
	ds_write_b64 v4, v[12:13]
	v_add_u32_e32 v4, 0x100, v4
	s_andn2_b64 exec, exec, s[8:9]
	s_cbranch_execnz .LBB14_3
.LBB14_4:
	s_or_b64 exec, exec, s[6:7]
	s_add_i32 s18, s18, 15
	s_load_dwordx8 s[4:11], s[4:5], 0x18
	s_ashr_i32 s19, s18, 31
	s_lshr_b32 s19, s19, 28
	s_add_i32 s18, s18, s19
	s_ashr_i32 s21, s18, 4
	v_mul_lo_u32 v0, v3, s17
	v_cmp_gt_i32_e32 vcc, s21, v6
	v_lshlrev_b32_e32 v12, 2, v0
	s_and_saveexec_b64 s[18:19], vcc
	s_cbranch_execz .LBB14_7
; %bb.5:
	v_ashrrev_i32_e32 v3, 31, v2
	v_lshlrev_b64 v[0:1], 3, v[2:3]
	s_waitcnt lgkmcnt(0)
	v_mov_b32_e32 v3, s11
	v_add_co_u32_e32 v0, vcc, s10, v0
	v_addc_co_u32_e32 v1, vcc, v3, v1, vcc
	global_load_dwordx2 v[0:1], v[0:1], off
	s_ashr_i32 s22, s17, 31
	v_lshlrev_b32_e32 v4, 4, v6
	v_mov_b32_e32 v5, s9
	s_mov_b64 s[10:11], 0
	v_add3_u32 v3, v12, v4, 0
	s_waitcnt vmcnt(0)
	v_mul_lo_u32 v13, v1, s17
	v_mul_lo_u32 v14, v0, s22
	v_mad_u64_u32 v[0:1], s[22:23], v0, s17, 0
	v_add3_u32 v1, v1, v14, v13
	v_lshlrev_b64 v[0:1], 2, v[0:1]
	v_add_co_u32_e32 v0, vcc, v0, v4
	v_addc_co_u32_e32 v1, vcc, 0, v1, vcc
	v_add_co_u32_e32 v0, vcc, s8, v0
	v_addc_co_u32_e32 v1, vcc, v5, v1, vcc
	v_mov_b32_e32 v4, v6
.LBB14_6:                               ; =>This Inner Loop Header: Depth=1
	global_load_dwordx4 v[14:17], v[0:1], off
	v_add_co_u32_e32 v0, vcc, 0x200, v0
	v_add_u32_e32 v4, 32, v4
	v_addc_co_u32_e32 v1, vcc, 0, v1, vcc
	v_cmp_le_i32_e32 vcc, s21, v4
	s_or_b64 s[10:11], vcc, s[10:11]
	s_waitcnt vmcnt(0)
	ds_write_b128 v3, v[14:17]
	v_add_u32_e32 v3, 0x200, v3
	s_andn2_b64 exec, exec, s[10:11]
	s_cbranch_execnz .LBB14_6
.LBB14_7:
	s_or_b64 exec, exec, s[18:19]
	s_and_b64 exec, exec, s[0:1]
	s_cbranch_execz .LBB14_12
; %bb.8:
	s_waitcnt lgkmcnt(0)
	global_load_dwordx2 v[0:1], v8, s[4:5]
	global_load_dwordx2 v[4:5], v8, s[6:7]
	v_mbcnt_lo_u32_b32 v3, -1, 0
	v_add_u32_e32 v9, s16, v9
	v_mbcnt_hi_u32_b32 v3, -1, v3
	v_add3_u32 v12, 0, v12, v8
	v_add3_u32 v14, v9, v8, 0
	v_and_b32_e32 v8, 0x60, v3
	v_xor_b32_e32 v9, 16, v3
	v_add_u32_e32 v8, 32, v8
	v_xor_b32_e32 v15, 8, v3
	v_cmp_lt_i32_e32 vcc, v9, v8
	s_add_i32 s8, s14, s13
	v_xor_b32_e32 v16, 4, v3
	v_cndmask_b32_e32 v9, v3, v9, vcc
	v_cmp_lt_i32_e32 vcc, v15, v8
	s_lshr_b32 s0, s17, 31
	s_ashr_i32 s1, s17, 31
	s_lshl_b32 s9, s20, 2
	s_add_i32 s8, s8, s12
	v_xor_b32_e32 v17, 2, v3
	v_cndmask_b32_e32 v19, v3, v15, vcc
	v_cmp_lt_i32_e32 vcc, v16, v8
	s_add_i32 s0, s17, s0
	s_lshr_b32 s1, s1, 30
	v_xor_b32_e32 v18, 1, v3
	s_sub_i32 s8, s8, s9
	v_cndmask_b32_e32 v20, v3, v16, vcc
	v_cmp_lt_i32_e32 vcc, v17, v8
	s_lshl_b32 s0, s0, 1
	s_add_i32 s1, s17, s1
	v_mul_lo_u32 v2, s8, v2
	v_cndmask_b32_e32 v21, v3, v17, vcc
	v_cmp_lt_i32_e32 vcc, v18, v8
	s_and_b32 s0, s0, -4
	s_ashr_i32 s1, s1, 2
	v_cndmask_b32_e32 v3, v3, v18, vcc
	v_lshl_add_u32 v2, v2, 7, v7
	s_mov_b32 s6, 0
	s_mov_b64 s[4:5], 0
	v_mov_b32_e32 v13, s15
	s_mov_b32 s7, 0x800000
	v_cmp_gt_i32_e32 vcc, s1, v6
	v_add_u32_e32 v15, s0, v12
	v_lshlrev_b32_e32 v16, 2, v9
	v_lshlrev_b32_e32 v17, 2, v19
	;; [unrolled: 1-line block ×5, first 2 shown]
	v_lshl_or_b32 v2, v6, 2, v2
	s_waitcnt vmcnt(1)
	v_lshrrev_b32_e32 v21, 16, v0
	s_waitcnt vmcnt(0)
	v_lshrrev_b32_e32 v22, 16, v4
	v_lshrrev_b32_e32 v23, 16, v1
	;; [unrolled: 1-line block ×3, first 2 shown]
	s_branch .LBB14_10
.LBB14_9:                               ;   in Loop: Header=BB14_10 Depth=1
	s_or_b64 exec, exec, s[0:1]
	v_ashrrev_i32_e32 v3, 31, v2
	v_cvt_f16_f32_e32 v25, v6
	v_cvt_f16_f32_e32 v26, v7
	;; [unrolled: 1-line block ×4, first 2 shown]
	v_lshlrev_b64 v[6:7], 1, v[2:3]
	v_mov_b32_e32 v3, s3
	v_add_co_u32_e64 v6, s[0:1], s2, v6
	v_addc_co_u32_e64 v7, s[0:1], v3, v7, s[0:1]
	s_add_i32 s6, s6, 1
	v_cmp_ge_i32_e64 s[0:1], s6, v11
	v_pack_b32_f16 v9, v8, v9
	v_pack_b32_f16 v8, v25, v26
	v_add_u32_e32 v2, 0x80, v2
	s_or_b64 s[4:5], s[0:1], s[4:5]
	v_add_u32_e32 v14, 0x100, v14
	global_store_dwordx2 v[6:7], v[8:9], off
	s_andn2_b64 exec, exec, s[4:5]
	s_cbranch_execz .LBB14_12
.LBB14_10:                              ; =>This Inner Loop Header: Depth=1
	ds_read_b64 v[6:7], v14
	s_waitcnt lgkmcnt(0)
	v_cvt_f32_f16_sdwa v9, v7 dst_sel:DWORD dst_unused:UNUSED_PAD src0_sel:WORD_1
	v_cvt_f32_f16_e32 v8, v7
	v_cvt_f32_f16_sdwa v7, v6 dst_sel:DWORD dst_unused:UNUSED_PAD src0_sel:WORD_1
	v_cvt_f32_f16_e32 v6, v6
	v_pk_mul_f32 v[26:27], v[8:9], v[8:9]
	v_pk_mul_f32 v[28:29], v[6:7], v[6:7]
	v_add_f32_e32 v3, v28, v29
	v_add_f32_e32 v3, v3, v26
	;; [unrolled: 1-line block ×3, first 2 shown]
	ds_bpermute_b32 v25, v16, v3
	v_add_u32_e32 v26, s6, v10
	v_mov_b32_e32 v28, v13
	v_cmp_gt_i32_e64 s[0:1], s12, v26
	v_cndmask_b32_e64 v26, v22, v21, s[0:1]
	s_waitcnt lgkmcnt(0)
	v_add_f32_e32 v3, v3, v25
	ds_bpermute_b32 v25, v17, v3
	v_cndmask_b32_e64 v29, v4, v0, s[0:1]
	v_cndmask_b32_e64 v30, v24, v23, s[0:1]
	;; [unrolled: 1-line block ×3, first 2 shown]
	v_cvt_f32_f16_e32 v27, v26
	s_waitcnt lgkmcnt(0)
	v_add_f32_e32 v3, v3, v25
	ds_bpermute_b32 v25, v18, v3
	v_cvt_f32_f16_e32 v26, v29
	v_cvt_f32_f16_e32 v29, v30
	s_waitcnt lgkmcnt(0)
	v_add_f32_e32 v3, v3, v25
	ds_bpermute_b32 v25, v19, v3
	s_waitcnt lgkmcnt(0)
	v_add_f32_e32 v3, v3, v25
	ds_bpermute_b32 v25, v20, v3
	s_waitcnt lgkmcnt(0)
	v_add_f32_e32 v3, v3, v25
	v_fmac_f32_e32 v28, 0x3c000000, v3
	v_mul_f32_e32 v3, 0x4b800000, v28
	v_cmp_gt_f32_e64 s[0:1], s7, v28
	v_cndmask_b32_e64 v3, v28, v3, s[0:1]
	v_rsq_f32_e32 v3, v3
	v_cvt_f32_f16_e32 v28, v31
	v_mul_f32_e32 v25, 0x45800000, v3
	v_cndmask_b32_e64 v30, v3, v25, s[0:1]
	v_pk_mul_f32 v[26:27], v[30:31], v[26:27] op_sel_hi:[0,1]
	v_pk_mul_f32 v[28:29], v[30:31], v[28:29] op_sel_hi:[0,1]
	v_pk_mul_f32 v[6:7], v[26:27], v[6:7]
	v_pk_mul_f32 v[8:9], v[28:29], v[8:9]
	s_and_saveexec_b64 s[0:1], vcc
	s_cbranch_execz .LBB14_9
; %bb.11:                               ;   in Loop: Header=BB14_10 Depth=1
	ds_read2_b32 v[26:27], v15 offset1:1
	ds_read2_b32 v[28:29], v12 offset1:1
	s_waitcnt lgkmcnt(1)
	v_pk_mul_f32 v[30:31], v[6:7], v[26:27] op_sel_hi:[1,0]
	s_waitcnt lgkmcnt(0)
	v_pk_mul_f32 v[32:33], v[6:7], v[28:29] op_sel_hi:[1,0]
	v_pk_fma_f32 v[6:7], v[6:7], v[28:29], v[30:31] op_sel:[0,0,1] op_sel_hi:[1,0,0]
	v_mov_b32_e32 v28, v27
	v_mul_f32_e32 v3, v9, v27
	v_pk_mul_f32 v[26:27], v[8:9], v[28:29]
	v_mov_b32_e32 v6, v27
	v_fma_f32 v3, v8, v29, -v3
	v_pk_fma_f32 v[26:27], v[8:9], v[28:29], v[6:7]
	v_sub_f32_e32 v6, v32, v31
	v_mov_b32_e32 v8, v3
	v_mov_b32_e32 v9, v26
	s_branch .LBB14_9
.LBB14_12:
	s_endpgm
	.section	.rodata,"a",@progbits
	.p2align	6, 0x0
	.amdhsa_kernel _ZN12tensorrt_llm7kernels32fusedQKNormRopeKernelNTokenHeadsIN3c104HalfEfLi128ELb1ELi4EEEvPviiifPKvS6_S6_PKlii
		.amdhsa_group_segment_fixed_size 0
		.amdhsa_private_segment_fixed_size 0
		.amdhsa_kernarg_size 320
		.amdhsa_user_sgpr_count 6
		.amdhsa_user_sgpr_private_segment_buffer 1
		.amdhsa_user_sgpr_dispatch_ptr 0
		.amdhsa_user_sgpr_queue_ptr 0
		.amdhsa_user_sgpr_kernarg_segment_ptr 1
		.amdhsa_user_sgpr_dispatch_id 0
		.amdhsa_user_sgpr_flat_scratch_init 0
		.amdhsa_user_sgpr_kernarg_preload_length 0
		.amdhsa_user_sgpr_kernarg_preload_offset 0
		.amdhsa_user_sgpr_private_segment_size 0
		.amdhsa_uses_dynamic_stack 0
		.amdhsa_system_sgpr_private_segment_wavefront_offset 0
		.amdhsa_system_sgpr_workgroup_id_x 1
		.amdhsa_system_sgpr_workgroup_id_y 0
		.amdhsa_system_sgpr_workgroup_id_z 0
		.amdhsa_system_sgpr_workgroup_info 0
		.amdhsa_system_vgpr_workitem_id 0
		.amdhsa_next_free_vgpr 34
		.amdhsa_next_free_sgpr 24
		.amdhsa_accum_offset 36
		.amdhsa_reserve_vcc 1
		.amdhsa_reserve_flat_scratch 0
		.amdhsa_float_round_mode_32 0
		.amdhsa_float_round_mode_16_64 0
		.amdhsa_float_denorm_mode_32 3
		.amdhsa_float_denorm_mode_16_64 3
		.amdhsa_dx10_clamp 1
		.amdhsa_ieee_mode 1
		.amdhsa_fp16_overflow 0
		.amdhsa_tg_split 0
		.amdhsa_exception_fp_ieee_invalid_op 0
		.amdhsa_exception_fp_denorm_src 0
		.amdhsa_exception_fp_ieee_div_zero 0
		.amdhsa_exception_fp_ieee_overflow 0
		.amdhsa_exception_fp_ieee_underflow 0
		.amdhsa_exception_fp_ieee_inexact 0
		.amdhsa_exception_int_div_zero 0
	.end_amdhsa_kernel
	.section	.text._ZN12tensorrt_llm7kernels32fusedQKNormRopeKernelNTokenHeadsIN3c104HalfEfLi128ELb1ELi4EEEvPviiifPKvS6_S6_PKlii,"axG",@progbits,_ZN12tensorrt_llm7kernels32fusedQKNormRopeKernelNTokenHeadsIN3c104HalfEfLi128ELb1ELi4EEEvPviiifPKvS6_S6_PKlii,comdat
.Lfunc_end14:
	.size	_ZN12tensorrt_llm7kernels32fusedQKNormRopeKernelNTokenHeadsIN3c104HalfEfLi128ELb1ELi4EEEvPviiifPKvS6_S6_PKlii, .Lfunc_end14-_ZN12tensorrt_llm7kernels32fusedQKNormRopeKernelNTokenHeadsIN3c104HalfEfLi128ELb1ELi4EEEvPviiifPKvS6_S6_PKlii
                                        ; -- End function
	.section	.AMDGPU.csdata,"",@progbits
; Kernel info:
; codeLenInByte = 1480
; NumSgprs: 28
; NumVgprs: 34
; NumAgprs: 0
; TotalNumVgprs: 34
; ScratchSize: 0
; MemoryBound: 0
; FloatMode: 240
; IeeeMode: 1
; LDSByteSize: 0 bytes/workgroup (compile time only)
; SGPRBlocks: 3
; VGPRBlocks: 4
; NumSGPRsForWavesPerEU: 28
; NumVGPRsForWavesPerEU: 34
; AccumOffset: 36
; Occupancy: 8
; WaveLimiterHint : 0
; COMPUTE_PGM_RSRC2:SCRATCH_EN: 0
; COMPUTE_PGM_RSRC2:USER_SGPR: 6
; COMPUTE_PGM_RSRC2:TRAP_HANDLER: 0
; COMPUTE_PGM_RSRC2:TGID_X_EN: 1
; COMPUTE_PGM_RSRC2:TGID_Y_EN: 0
; COMPUTE_PGM_RSRC2:TGID_Z_EN: 0
; COMPUTE_PGM_RSRC2:TIDIG_COMP_CNT: 0
; COMPUTE_PGM_RSRC3_GFX90A:ACCUM_OFFSET: 8
; COMPUTE_PGM_RSRC3_GFX90A:TG_SPLIT: 0
	.section	.text._ZN12tensorrt_llm7kernels32fusedQKNormRopeKernelNTokenHeadsIN3c104HalfEfLi128ELb0ELi4EEEvPviiifPKvS6_S6_PKlii,"axG",@progbits,_ZN12tensorrt_llm7kernels32fusedQKNormRopeKernelNTokenHeadsIN3c104HalfEfLi128ELb0ELi4EEEvPviiifPKvS6_S6_PKlii,comdat
	.protected	_ZN12tensorrt_llm7kernels32fusedQKNormRopeKernelNTokenHeadsIN3c104HalfEfLi128ELb0ELi4EEEvPviiifPKvS6_S6_PKlii ; -- Begin function _ZN12tensorrt_llm7kernels32fusedQKNormRopeKernelNTokenHeadsIN3c104HalfEfLi128ELb0ELi4EEEvPviiifPKvS6_S6_PKlii
	.globl	_ZN12tensorrt_llm7kernels32fusedQKNormRopeKernelNTokenHeadsIN3c104HalfEfLi128ELb0ELi4EEEvPviiifPKvS6_S6_PKlii
	.p2align	8
	.type	_ZN12tensorrt_llm7kernels32fusedQKNormRopeKernelNTokenHeadsIN3c104HalfEfLi128ELb0ELi4EEEvPviiifPKvS6_S6_PKlii,@function
_ZN12tensorrt_llm7kernels32fusedQKNormRopeKernelNTokenHeadsIN3c104HalfEfLi128ELb0ELi4EEEvPviiifPKvS6_S6_PKlii: ; @_ZN12tensorrt_llm7kernels32fusedQKNormRopeKernelNTokenHeadsIN3c104HalfEfLi128ELb0ELi4EEEvPviiifPKvS6_S6_PKlii
; %bb.0:
	s_load_dwordx4 s[12:15], s[4:5], 0x8
	s_load_dwordx2 s[2:3], s[4:5], 0x38
	s_load_dword s1, s[4:5], 0x4c
	v_lshrrev_b32_e32 v2, 5, v0
	s_waitcnt lgkmcnt(0)
	s_add_i32 s0, s13, s12
	s_add_i32 s7, s0, 3
	s_ashr_i32 s8, s7, 31
	s_lshr_b32 s8, s8, 30
	s_add_i32 s7, s7, s8
	s_ashr_i32 s20, s7, 2
	s_abs_i32 s7, s20
	v_cvt_f32_u32_e32 v1, s7
	s_bfe_u32 s1, s1, 0xb0005
	s_mul_i32 s6, s6, s1
	v_rcp_iflag_f32_e32 v3, v1
	v_add_u32_e32 v1, s6, v2
	s_sub_i32 s6, 0, s7
	v_sub_u32_e32 v4, 0, v1
	v_mul_f32_e32 v3, 0x4f7ffffe, v3
	v_cvt_u32_f32_e32 v3, v3
	v_max_i32_e32 v4, v1, v4
	v_xor_b32_e32 v5, s20, v1
	v_ashrrev_i32_e32 v5, 31, v5
	v_mul_lo_u32 v6, s6, v3
	v_mul_hi_u32 v6, v3, v6
	v_add_u32_e32 v3, v3, v6
	v_mul_hi_u32 v3, v4, v3
	v_mul_lo_u32 v6, v3, s7
	v_sub_u32_e32 v4, v4, v6
	v_add_u32_e32 v6, 1, v3
	v_cmp_le_u32_e32 vcc, s7, v4
	v_cndmask_b32_e32 v3, v3, v6, vcc
	v_subrev_u32_e32 v6, s7, v4
	v_cndmask_b32_e32 v4, v4, v6, vcc
	v_add_u32_e32 v6, 1, v3
	v_cmp_le_u32_e32 vcc, s7, v4
	v_cndmask_b32_e32 v3, v3, v6, vcc
	v_xor_b32_e32 v3, v3, v5
	v_sub_u32_e32 v4, v3, v5
	v_cmp_gt_i32_e32 vcc, s2, v4
	s_and_saveexec_b64 s[6:7], vcc
	s_cbranch_execz .LBB15_12
; %bb.1:
	v_and_b32_e32 v8, 31, v0
	v_mul_lo_u32 v0, v4, s20
	v_sub_u32_e32 v0, v1, v0
	s_load_dwordx2 s[16:17], s[4:5], 0x0
	v_lshlrev_b32_e32 v6, 2, v0
	v_add_u32_e32 v0, 4, v6
	v_sub_u32_e32 v3, s0, v6
	v_cmp_lt_i32_e32 vcc, s0, v0
	v_cndmask_b32_e32 v7, 4, v3, vcc
	s_lshl_b32 s2, s3, 2
	s_mul_i32 s21, s2, s1
	v_lshlrev_b32_e32 v9, 10, v2
	v_cmp_lt_i32_e64 s[0:1], 0, v7
	v_lshlrev_b32_e32 v10, 3, v8
	v_lshlrev_b32_e32 v11, 9, v1
	s_and_saveexec_b64 s[6:7], s[0:1]
	s_cbranch_execz .LBB15_4
; %bb.2:
	s_add_i32 s8, s21, 0
	v_add3_u32 v3, s8, v9, v10
	s_add_i32 s8, s14, s13
	s_add_i32 s8, s8, s12
	s_lshl_b32 s9, s20, 2
	s_sub_i32 s8, s8, s9
	v_mul_lo_u32 v0, s8, v4
	v_lshl_add_u32 v0, v0, 7, v11
	s_mov_b32 s10, 0
	v_lshl_or_b32 v0, v8, 2, v0
	s_mov_b64 s[8:9], 0
	s_waitcnt lgkmcnt(0)
	v_mov_b32_e32 v5, s17
.LBB15_3:                               ; =>This Inner Loop Header: Depth=1
	v_ashrrev_i32_e32 v1, 31, v0
	v_lshlrev_b64 v[12:13], 1, v[0:1]
	v_add_co_u32_e32 v12, vcc, s16, v12
	v_addc_co_u32_e32 v13, vcc, v5, v13, vcc
	global_load_dwordx2 v[12:13], v[12:13], off
	s_add_i32 s10, s10, 1
	v_cmp_ge_i32_e32 vcc, s10, v7
	v_add_u32_e32 v0, 0x80, v0
	s_or_b64 s[8:9], vcc, s[8:9]
	s_waitcnt vmcnt(0)
	ds_write_b64 v3, v[12:13]
	v_add_u32_e32 v3, 0x100, v3
	s_andn2_b64 exec, exec, s[8:9]
	s_cbranch_execnz .LBB15_3
.LBB15_4:
	s_or_b64 exec, exec, s[6:7]
	s_add_i32 s2, s2, 15
	s_load_dwordx8 s[4:11], s[4:5], 0x18
	s_ashr_i32 s18, s2, 31
	s_lshr_b32 s18, s18, 28
	s_add_i32 s2, s2, s18
	s_ashr_i32 s2, s2, 4
	v_cmp_gt_i32_e32 vcc, s2, v8
	v_mul_lo_u32 v12, v2, s3
	s_and_saveexec_b64 s[18:19], vcc
	s_cbranch_execz .LBB15_7
; %bb.5:
	v_ashrrev_i32_e32 v5, 31, v4
	v_lshlrev_b64 v[0:1], 3, v[4:5]
	s_waitcnt lgkmcnt(0)
	v_mov_b32_e32 v2, s11
	v_add_co_u32_e32 v0, vcc, s10, v0
	v_addc_co_u32_e32 v1, vcc, v2, v1, vcc
	global_load_dwordx2 v[0:1], v[0:1], off
	s_ashr_i32 s22, s3, 31
	v_lshlrev_b32_e32 v3, 4, v8
	v_lshlrev_b32_e32 v2, 2, v12
	v_mov_b32_e32 v5, s9
	s_mov_b64 s[10:11], 0
	v_add3_u32 v2, v2, v3, 0
	s_waitcnt vmcnt(0)
	v_mul_lo_u32 v13, v1, s3
	v_mul_lo_u32 v14, v0, s22
	v_mad_u64_u32 v[0:1], s[22:23], v0, s3, 0
	v_add3_u32 v1, v1, v14, v13
	v_lshlrev_b64 v[0:1], 2, v[0:1]
	v_add_co_u32_e32 v0, vcc, v0, v3
	v_addc_co_u32_e32 v1, vcc, 0, v1, vcc
	v_add_co_u32_e32 v0, vcc, s8, v0
	v_addc_co_u32_e32 v1, vcc, v5, v1, vcc
	v_mov_b32_e32 v3, v8
.LBB15_6:                               ; =>This Inner Loop Header: Depth=1
	global_load_dwordx4 v[14:17], v[0:1], off
	v_add_co_u32_e32 v0, vcc, 0x200, v0
	v_add_u32_e32 v3, 32, v3
	v_addc_co_u32_e32 v1, vcc, 0, v1, vcc
	v_cmp_le_i32_e32 vcc, s2, v3
	s_or_b64 s[10:11], vcc, s[10:11]
	s_waitcnt vmcnt(0)
	ds_write_b128 v2, v[14:17]
	v_add_u32_e32 v2, 0x200, v2
	s_andn2_b64 exec, exec, s[10:11]
	s_cbranch_execnz .LBB15_6
.LBB15_7:
	s_or_b64 exec, exec, s[18:19]
	s_and_b64 exec, exec, s[0:1]
	s_cbranch_execz .LBB15_12
; %bb.8:
	s_waitcnt lgkmcnt(0)
	global_load_dwordx2 v[0:1], v10, s[4:5]
	global_load_dwordx2 v[2:3], v10, s[6:7]
	v_lshl_add_u32 v5, v12, 2, 0
	v_mbcnt_lo_u32_b32 v12, -1, 0
	s_abs_i32 s4, s3
	v_mbcnt_hi_u32_b32 v17, -1, v12
	v_cvt_f32_u32_e32 v14, s4
	v_and_b32_e32 v12, 0x60, v17
	v_xor_b32_e32 v13, 16, v17
	v_add_u32_e32 v12, 32, v12
	v_xor_b32_e32 v15, 8, v17
	v_cmp_lt_i32_e32 vcc, v13, v12
	v_xor_b32_e32 v16, 4, v17
	v_cndmask_b32_e32 v13, v17, v13, vcc
	v_cmp_lt_i32_e32 vcc, v15, v12
	v_rcp_iflag_f32_e32 v23, v14
	v_xor_b32_e32 v19, 2, v17
	v_cndmask_b32_e32 v15, v17, v15, vcc
	v_cmp_lt_i32_e32 vcc, v16, v12
	v_cndmask_b32_e32 v16, v17, v16, vcc
	v_cmp_lt_i32_e32 vcc, v19, v12
	v_xor_b32_e32 v20, 1, v17
	v_cndmask_b32_e32 v19, v17, v19, vcc
	v_cmp_lt_i32_e32 vcc, v20, v12
	v_lshlrev_b32_e32 v12, 2, v13
	v_lshlrev_b32_e32 v13, 2, v15
	v_lshlrev_b32_e32 v15, 2, v19
	v_mul_f32_e32 v19, 0x4f7ffffe, v23
	v_cvt_u32_f32_e32 v19, v19
	s_sub_i32 s5, 0, s4
	v_cndmask_b32_e32 v20, v17, v20, vcc
	s_ashr_i32 s1, s3, 31
	v_lshlrev_b32_e32 v14, 2, v16
	v_lshlrev_b32_e32 v16, 2, v20
	v_mul_lo_u32 v20, s5, v19
	s_lshr_b32 s2, s1, 30
	s_lshr_b32 s1, s1, 29
	v_mul_hi_u32 v20, v19, v20
	s_add_i32 s1, s3, s1
	v_add_u32_e32 v30, v19, v20
	v_or_b32_e32 v18, 2, v10
	s_add_i32 s2, s3, s2
	v_and_b32_e32 v21, 64, v17
	s_ashr_i32 s1, s1, 3
	v_mul_hi_u32 v19, v10, v30
	s_lshr_b32 s0, s3, 31
	s_ashr_i32 s2, s2, 2
	v_add_u32_e32 v21, 64, v21
	v_xor_b32_e32 v22, s1, v17
	v_mul_hi_u32 v20, v18, v30
	v_mul_lo_u32 v19, v19, s4
	s_add_i32 s0, s3, s0
	v_cmp_gt_i32_e32 vcc, s2, v8
	v_cmp_lt_i32_e64 s[2:3], v22, v21
	v_mul_lo_u32 v20, v20, s4
	v_sub_u32_e32 v19, v10, v19
	v_cndmask_b32_e64 v17, v17, v22, s[2:3]
	v_sub_u32_e32 v24, v18, v20
	v_subrev_u32_e32 v18, s4, v19
	v_cmp_le_u32_e64 s[2:3], s4, v19
	v_cndmask_b32_e64 v18, v19, v18, s[2:3]
	v_or_b32_e32 v26, 4, v10
	v_subrev_u32_e32 v19, s4, v18
	v_cmp_le_u32_e64 s[2:3], s4, v18
	v_subrev_u32_e32 v25, s4, v24
	v_cndmask_b32_e64 v18, v18, v19, s[2:3]
	v_cmp_le_u32_e64 s[2:3], s4, v24
	v_mul_hi_u32 v27, v26, v30
	v_cndmask_b32_e64 v24, v24, v25, s[2:3]
	v_mul_lo_u32 v27, v27, s4
	v_or_b32_e32 v28, 6, v10
	v_subrev_u32_e32 v25, s4, v24
	v_cmp_le_u32_e64 s[2:3], s4, v24
	v_sub_u32_e32 v26, v26, v27
	v_cndmask_b32_e64 v24, v24, v25, s[2:3]
	v_subrev_u32_e32 v27, s4, v26
	v_cmp_le_u32_e64 s[2:3], s4, v26
	v_mul_hi_u32 v30, v28, v30
	v_cndmask_b32_e64 v26, v26, v27, s[2:3]
	v_mul_lo_u32 v30, v30, s4
	v_subrev_u32_e32 v27, s4, v26
	v_cmp_le_u32_e64 s[2:3], s4, v26
	v_sub_u32_e32 v28, v28, v30
	v_cndmask_b32_e64 v26, v26, v27, s[2:3]
	v_subrev_u32_e32 v30, s4, v28
	v_cmp_le_u32_e64 s[2:3], s4, v28
	v_cndmask_b32_e64 v28, v28, v30, s[2:3]
	v_subrev_u32_e32 v30, s4, v28
	v_cmp_le_u32_e64 s[2:3], s4, v28
	v_cndmask_b32_e64 v28, v28, v30, s[2:3]
	s_add_i32 s2, s14, s13
	s_add_i32 s2, s2, s12
	s_lshl_b32 s3, s20, 2
	s_lshl_b32 s0, s0, 1
	v_lshlrev_b32_e32 v18, 1, v18
	v_lshlrev_b32_e32 v24, 1, v24
	;; [unrolled: 1-line block ×4, first 2 shown]
	s_sub_i32 s2, s2, s3
	s_and_b32 s0, s0, -4
	v_and_b32_e32 v19, -4, v18
	v_and_b32_e32 v25, -4, v24
	;; [unrolled: 1-line block ×4, first 2 shown]
	v_mul_lo_u32 v4, s2, v4
	v_add_u32_e32 v29, s0, v5
	v_add_u32_e32 v18, v5, v19
	;; [unrolled: 1-line block ×5, first 2 shown]
	v_lshl_add_u32 v4, v4, 7, v11
	v_add_u32_e32 v5, s21, v9
	s_mov_b32 s6, 0
	v_cmp_gt_i32_e64 s[0:1], s1, v8
	v_lshlrev_b32_e32 v17, 2, v17
	v_add_u32_e32 v19, v29, v19
	s_waitcnt vmcnt(1)
	v_lshrrev_b32_e32 v20, 16, v0
	v_lshrrev_b32_e32 v21, 16, v1
	s_waitcnt vmcnt(0)
	v_lshrrev_b32_e32 v22, 16, v2
	v_lshrrev_b32_e32 v23, 16, v3
	v_add_u32_e32 v25, v29, v25
	v_add_u32_e32 v27, v29, v27
	;; [unrolled: 1-line block ×3, first 2 shown]
	v_lshl_or_b32 v4, v8, 2, v4
	v_add3_u32 v8, v5, v10, 0
	s_mov_b64 s[4:5], 0
	s_mov_b32 s7, 0x800000
	v_mov_b32_e32 v9, s15
	s_branch .LBB15_10
.LBB15_9:                               ;   in Loop: Header=BB15_10 Depth=1
	s_or_b64 exec, exec, s[2:3]
	v_cvt_f16_f32_e32 v33, v5
	v_ashrrev_i32_e32 v5, 31, v4
	v_cvt_f16_f32_e32 v30, v30
	v_cvt_f16_f32_e32 v32, v11
	;; [unrolled: 1-line block ×3, first 2 shown]
	v_lshlrev_b64 v[10:11], 1, v[4:5]
	v_mov_b32_e32 v5, s17
	v_add_co_u32_e64 v10, s[2:3], s16, v10
	v_addc_co_u32_e64 v11, s[2:3], v5, v11, s[2:3]
	s_add_i32 s6, s6, 1
	v_cmp_ge_i32_e64 s[2:3], s6, v7
	v_pack_b32_f16 v31, v31, v33
	v_pack_b32_f16 v30, v30, v32
	v_add_u32_e32 v4, 0x80, v4
	s_or_b64 s[4:5], s[2:3], s[4:5]
	v_add_u32_e32 v8, 0x100, v8
	global_store_dwordx2 v[10:11], v[30:31], off
	s_andn2_b64 exec, exec, s[4:5]
	s_cbranch_execz .LBB15_12
.LBB15_10:                              ; =>This Inner Loop Header: Depth=1
	ds_read_b64 v[10:11], v8
	v_add_u32_e32 v32, s6, v6
	v_mov_b32_e32 v33, v9
	v_cmp_gt_i32_e64 s[2:3], s12, v32
	v_cndmask_b32_e64 v32, v2, v0, s[2:3]
	s_waitcnt lgkmcnt(0)
	v_cvt_f32_f16_sdwa v5, v10 dst_sel:DWORD dst_unused:UNUSED_PAD src0_sel:WORD_1
	v_cndmask_b32_e64 v34, v22, v20, s[2:3]
	v_cndmask_b32_e64 v35, v3, v1, s[2:3]
	;; [unrolled: 1-line block ×3, first 2 shown]
	v_mul_f32_e32 v30, v5, v5
	v_fma_mix_f32 v30, v10, v10, v30 op_sel_hi:[1,1,0]
	v_fma_mix_f32 v30, v11, v11, v30 op_sel_hi:[1,1,0]
	v_fma_mix_f32 v30, v11, v11, v30 op_sel:[1,1,0] op_sel_hi:[1,1,0]
	ds_bpermute_b32 v31, v12, v30
	v_cvt_f32_f16_e32 v32, v32
	v_cvt_f32_f16_e32 v34, v34
	;; [unrolled: 1-line block ×4, first 2 shown]
	s_waitcnt lgkmcnt(0)
	v_add_f32_e32 v30, v30, v31
	ds_bpermute_b32 v31, v13, v30
	v_cvt_f32_f16_e32 v10, v10
	s_waitcnt lgkmcnt(0)
	v_add_f32_e32 v30, v30, v31
	ds_bpermute_b32 v31, v14, v30
	s_waitcnt lgkmcnt(0)
	v_add_f32_e32 v30, v30, v31
	ds_bpermute_b32 v31, v15, v30
	;; [unrolled: 3-line block ×3, first 2 shown]
	s_waitcnt lgkmcnt(0)
	v_add_f32_e32 v30, v30, v31
	v_fmac_f32_e32 v33, 0x3c000000, v30
	v_mul_f32_e32 v30, 0x4b800000, v33
	v_cmp_gt_f32_e64 s[2:3], s7, v33
	v_cndmask_b32_e64 v30, v33, v30, s[2:3]
	v_rsq_f32_e32 v30, v30
	v_cvt_f32_f16_e32 v31, v11
	v_cvt_f32_f16_sdwa v33, v11 dst_sel:DWORD dst_unused:UNUSED_PAD src0_sel:WORD_1
	v_mul_f32_e32 v11, 0x45800000, v30
	v_cndmask_b32_e64 v11, v30, v11, s[2:3]
	v_mul_f32_e32 v30, v11, v32
	v_mul_f32_e32 v32, v11, v34
	v_mul_f32_e32 v34, v11, v35
	v_mul_f32_e32 v35, v11, v36
	v_mul_f32_e32 v30, v30, v10
	v_mul_f32_e32 v11, v32, v5
	v_mul_f32_e32 v10, v34, v31
	v_mul_f32_e32 v5, v35, v33
	s_and_saveexec_b64 s[2:3], vcc
	s_cbranch_execz .LBB15_9
; %bb.11:                               ;   in Loop: Header=BB15_10 Depth=1
	ds_bpermute_b32 v31, v17, v30
	ds_bpermute_b32 v32, v17, v11
	; wave barrier
	ds_read_b32 v33, v18
	ds_read_b32 v34, v19
	;; [unrolled: 1-line block ×8, first 2 shown]
	s_waitcnt lgkmcnt(9)
	v_cndmask_b32_e64 v31, v31, -v31, s[0:1]
	s_waitcnt lgkmcnt(6)
	v_mul_f32_e32 v31, v31, v34
	v_fmac_f32_e32 v31, v30, v33
	ds_bpermute_b32 v30, v17, v10
	ds_bpermute_b32 v33, v17, v5
	v_cndmask_b32_e64 v32, v32, -v32, s[0:1]
	s_waitcnt lgkmcnt(6)
	v_mul_f32_e32 v32, v32, v36
	v_fmac_f32_e32 v32, v11, v35
	s_waitcnt lgkmcnt(1)
	v_cndmask_b32_e64 v11, v30, -v30, s[0:1]
	v_mul_f32_e32 v34, v11, v38
	v_fmac_f32_e32 v34, v10, v37
	s_waitcnt lgkmcnt(0)
	v_cndmask_b32_e64 v10, v33, -v33, s[0:1]
	v_mul_f32_e32 v33, v10, v40
	v_fmac_f32_e32 v33, v5, v39
	v_mov_b32_e32 v30, v31
	v_mov_b32_e32 v11, v32
	;; [unrolled: 1-line block ×4, first 2 shown]
	; wave barrier
	s_branch .LBB15_9
.LBB15_12:
	s_endpgm
	.section	.rodata,"a",@progbits
	.p2align	6, 0x0
	.amdhsa_kernel _ZN12tensorrt_llm7kernels32fusedQKNormRopeKernelNTokenHeadsIN3c104HalfEfLi128ELb0ELi4EEEvPviiifPKvS6_S6_PKlii
		.amdhsa_group_segment_fixed_size 0
		.amdhsa_private_segment_fixed_size 0
		.amdhsa_kernarg_size 320
		.amdhsa_user_sgpr_count 6
		.amdhsa_user_sgpr_private_segment_buffer 1
		.amdhsa_user_sgpr_dispatch_ptr 0
		.amdhsa_user_sgpr_queue_ptr 0
		.amdhsa_user_sgpr_kernarg_segment_ptr 1
		.amdhsa_user_sgpr_dispatch_id 0
		.amdhsa_user_sgpr_flat_scratch_init 0
		.amdhsa_user_sgpr_kernarg_preload_length 0
		.amdhsa_user_sgpr_kernarg_preload_offset 0
		.amdhsa_user_sgpr_private_segment_size 0
		.amdhsa_uses_dynamic_stack 0
		.amdhsa_system_sgpr_private_segment_wavefront_offset 0
		.amdhsa_system_sgpr_workgroup_id_x 1
		.amdhsa_system_sgpr_workgroup_id_y 0
		.amdhsa_system_sgpr_workgroup_id_z 0
		.amdhsa_system_sgpr_workgroup_info 0
		.amdhsa_system_vgpr_workitem_id 0
		.amdhsa_next_free_vgpr 41
		.amdhsa_next_free_sgpr 24
		.amdhsa_accum_offset 44
		.amdhsa_reserve_vcc 1
		.amdhsa_reserve_flat_scratch 0
		.amdhsa_float_round_mode_32 0
		.amdhsa_float_round_mode_16_64 0
		.amdhsa_float_denorm_mode_32 3
		.amdhsa_float_denorm_mode_16_64 3
		.amdhsa_dx10_clamp 1
		.amdhsa_ieee_mode 1
		.amdhsa_fp16_overflow 0
		.amdhsa_tg_split 0
		.amdhsa_exception_fp_ieee_invalid_op 0
		.amdhsa_exception_fp_denorm_src 0
		.amdhsa_exception_fp_ieee_div_zero 0
		.amdhsa_exception_fp_ieee_overflow 0
		.amdhsa_exception_fp_ieee_underflow 0
		.amdhsa_exception_fp_ieee_inexact 0
		.amdhsa_exception_int_div_zero 0
	.end_amdhsa_kernel
	.section	.text._ZN12tensorrt_llm7kernels32fusedQKNormRopeKernelNTokenHeadsIN3c104HalfEfLi128ELb0ELi4EEEvPviiifPKvS6_S6_PKlii,"axG",@progbits,_ZN12tensorrt_llm7kernels32fusedQKNormRopeKernelNTokenHeadsIN3c104HalfEfLi128ELb0ELi4EEEvPviiifPKvS6_S6_PKlii,comdat
.Lfunc_end15:
	.size	_ZN12tensorrt_llm7kernels32fusedQKNormRopeKernelNTokenHeadsIN3c104HalfEfLi128ELb0ELi4EEEvPviiifPKvS6_S6_PKlii, .Lfunc_end15-_ZN12tensorrt_llm7kernels32fusedQKNormRopeKernelNTokenHeadsIN3c104HalfEfLi128ELb0ELi4EEEvPviiifPKvS6_S6_PKlii
                                        ; -- End function
	.section	.AMDGPU.csdata,"",@progbits
; Kernel info:
; codeLenInByte = 1996
; NumSgprs: 28
; NumVgprs: 41
; NumAgprs: 0
; TotalNumVgprs: 41
; ScratchSize: 0
; MemoryBound: 0
; FloatMode: 240
; IeeeMode: 1
; LDSByteSize: 0 bytes/workgroup (compile time only)
; SGPRBlocks: 3
; VGPRBlocks: 5
; NumSGPRsForWavesPerEU: 28
; NumVGPRsForWavesPerEU: 41
; AccumOffset: 44
; Occupancy: 8
; WaveLimiterHint : 0
; COMPUTE_PGM_RSRC2:SCRATCH_EN: 0
; COMPUTE_PGM_RSRC2:USER_SGPR: 6
; COMPUTE_PGM_RSRC2:TRAP_HANDLER: 0
; COMPUTE_PGM_RSRC2:TGID_X_EN: 1
; COMPUTE_PGM_RSRC2:TGID_Y_EN: 0
; COMPUTE_PGM_RSRC2:TGID_Z_EN: 0
; COMPUTE_PGM_RSRC2:TIDIG_COMP_CNT: 0
; COMPUTE_PGM_RSRC3_GFX90A:ACCUM_OFFSET: 10
; COMPUTE_PGM_RSRC3_GFX90A:TG_SPLIT: 0
	.section	.text._ZN12tensorrt_llm7kernels32fusedQKNormRopeKernelNTokenHeadsIN3c104HalfEfLi256ELb1ELi4EEEvPviiifPKvS6_S6_PKlii,"axG",@progbits,_ZN12tensorrt_llm7kernels32fusedQKNormRopeKernelNTokenHeadsIN3c104HalfEfLi256ELb1ELi4EEEvPviiifPKvS6_S6_PKlii,comdat
	.protected	_ZN12tensorrt_llm7kernels32fusedQKNormRopeKernelNTokenHeadsIN3c104HalfEfLi256ELb1ELi4EEEvPviiifPKvS6_S6_PKlii ; -- Begin function _ZN12tensorrt_llm7kernels32fusedQKNormRopeKernelNTokenHeadsIN3c104HalfEfLi256ELb1ELi4EEEvPviiifPKvS6_S6_PKlii
	.globl	_ZN12tensorrt_llm7kernels32fusedQKNormRopeKernelNTokenHeadsIN3c104HalfEfLi256ELb1ELi4EEEvPviiifPKvS6_S6_PKlii
	.p2align	8
	.type	_ZN12tensorrt_llm7kernels32fusedQKNormRopeKernelNTokenHeadsIN3c104HalfEfLi256ELb1ELi4EEEvPviiifPKvS6_S6_PKlii,@function
_ZN12tensorrt_llm7kernels32fusedQKNormRopeKernelNTokenHeadsIN3c104HalfEfLi256ELb1ELi4EEEvPviiifPKvS6_S6_PKlii: ; @_ZN12tensorrt_llm7kernels32fusedQKNormRopeKernelNTokenHeadsIN3c104HalfEfLi256ELb1ELi4EEEvPviiifPKvS6_S6_PKlii
; %bb.0:
	s_load_dwordx4 s[12:15], s[4:5], 0x8
	s_load_dwordx2 s[16:17], s[4:5], 0x38
	s_load_dword s1, s[4:5], 0x4c
	v_lshrrev_b32_e32 v1, 5, v0
	s_waitcnt lgkmcnt(0)
	s_add_i32 s0, s13, s12
	s_add_i32 s2, s0, 3
	s_ashr_i32 s3, s2, 31
	s_lshr_b32 s3, s3, 30
	s_add_i32 s2, s2, s3
	s_ashr_i32 s20, s2, 2
	s_abs_i32 s2, s20
	v_cvt_f32_u32_e32 v2, s2
	s_bfe_u32 s1, s1, 0xb0005
	s_mul_i32 s6, s6, s1
	s_sub_i32 s3, 0, s2
	v_rcp_iflag_f32_e32 v3, v2
	v_add_u32_e32 v2, s6, v1
	v_sub_u32_e32 v4, 0, v2
	v_max_i32_e32 v4, v2, v4
	v_mul_f32_e32 v3, 0x4f7ffffe, v3
	v_cvt_u32_f32_e32 v3, v3
	v_xor_b32_e32 v5, s20, v2
	v_ashrrev_i32_e32 v5, 31, v5
	v_mul_lo_u32 v6, s3, v3
	v_mul_hi_u32 v6, v3, v6
	v_add_u32_e32 v3, v3, v6
	v_mul_hi_u32 v3, v4, v3
	v_mul_lo_u32 v6, v3, s2
	v_sub_u32_e32 v4, v4, v6
	v_add_u32_e32 v6, 1, v3
	v_cmp_le_u32_e32 vcc, s2, v4
	v_cndmask_b32_e32 v3, v3, v6, vcc
	v_subrev_u32_e32 v6, s2, v4
	v_cndmask_b32_e32 v4, v4, v6, vcc
	v_add_u32_e32 v6, 1, v3
	v_cmp_le_u32_e32 vcc, s2, v4
	v_cndmask_b32_e32 v3, v3, v6, vcc
	v_xor_b32_e32 v3, v3, v5
	v_sub_u32_e32 v8, v3, v5
	v_cmp_gt_i32_e32 vcc, s16, v8
	s_and_saveexec_b64 s[2:3], vcc
	s_cbranch_execz .LBB16_12
; %bb.1:
	v_mul_lo_u32 v3, v8, s20
	v_sub_u32_e32 v3, v2, v3
	s_load_dwordx2 s[2:3], s[4:5], 0x0
	v_lshlrev_b32_e32 v18, 2, v3
	v_add_u32_e32 v3, 4, v18
	v_sub_u32_e32 v4, s0, v18
	v_cmp_lt_i32_e32 vcc, s0, v3
	v_and_b32_e32 v10, 31, v0
	v_cndmask_b32_e32 v19, 4, v4, vcc
	s_lshl_b32 s18, s17, 2
	s_mul_i32 s16, s18, s1
	v_lshlrev_b32_e32 v13, 11, v1
	v_cmp_lt_i32_e64 s[0:1], 0, v19
	v_lshlrev_b32_e32 v12, 4, v10
	v_lshlrev_b32_e32 v11, 10, v2
	s_and_saveexec_b64 s[6:7], s[0:1]
	s_cbranch_execz .LBB16_4
; %bb.2:
	s_add_i32 s8, s16, 0
	v_add3_u32 v4, s8, v13, v12
	s_add_i32 s8, s14, s13
	s_add_i32 s8, s8, s12
	s_lshl_b32 s9, s20, 2
	s_sub_i32 s8, s8, s9
	v_mul_lo_u32 v2, s8, v8
	v_lshl_add_u32 v2, v2, 8, v11
	s_mov_b32 s10, 0
	v_lshl_or_b32 v2, v10, 3, v2
	s_mov_b64 s[8:9], 0
	s_waitcnt lgkmcnt(0)
	v_mov_b32_e32 v5, s3
.LBB16_3:                               ; =>This Inner Loop Header: Depth=1
	v_ashrrev_i32_e32 v3, 31, v2
	v_lshlrev_b64 v[6:7], 1, v[2:3]
	v_add_co_u32_e32 v6, vcc, s2, v6
	v_addc_co_u32_e32 v7, vcc, v5, v7, vcc
	global_load_dwordx4 v[14:17], v[6:7], off
	s_add_i32 s10, s10, 1
	v_cmp_ge_i32_e32 vcc, s10, v19
	v_add_u32_e32 v2, 0x100, v2
	s_or_b64 s[8:9], vcc, s[8:9]
	s_waitcnt vmcnt(0)
	ds_write_b128 v4, v[14:17]
	v_add_u32_e32 v4, 0x200, v4
	s_andn2_b64 exec, exec, s[8:9]
	s_cbranch_execnz .LBB16_3
.LBB16_4:
	s_or_b64 exec, exec, s[6:7]
	s_add_i32 s18, s18, 15
	s_load_dwordx8 s[4:11], s[4:5], 0x18
	s_ashr_i32 s19, s18, 31
	s_lshr_b32 s19, s19, 28
	s_add_i32 s18, s18, s19
	s_ashr_i32 s21, s18, 4
	v_mul_lo_u32 v1, v1, s17
	v_cmp_gt_i32_e32 vcc, s21, v10
	v_lshlrev_b32_e32 v14, 2, v1
	s_and_saveexec_b64 s[18:19], vcc
	s_cbranch_execz .LBB16_7
; %bb.5:
	v_ashrrev_i32_e32 v9, 31, v8
	v_lshlrev_b64 v[2:3], 3, v[8:9]
	s_waitcnt lgkmcnt(0)
	v_mov_b32_e32 v1, s11
	v_add_co_u32_e32 v2, vcc, s10, v2
	v_addc_co_u32_e32 v3, vcc, v1, v3, vcc
	global_load_dwordx2 v[4:5], v[2:3], off
	s_ashr_i32 s22, s17, 31
	v_and_b32_e32 v0, 31, v0
	v_lshlrev_b32_e32 v6, 4, v0
	v_mov_b32_e32 v3, s9
	v_add3_u32 v2, v14, v12, 0
	s_mov_b64 s[10:11], 0
	s_waitcnt vmcnt(0)
	v_mul_lo_u32 v5, v5, s17
	v_mul_lo_u32 v7, v4, s22
	v_mad_u64_u32 v[0:1], s[22:23], v4, s17, 0
	v_add3_u32 v1, v1, v7, v5
	v_lshlrev_b64 v[0:1], 2, v[0:1]
	v_add_co_u32_e32 v0, vcc, v0, v6
	v_addc_co_u32_e32 v1, vcc, 0, v1, vcc
	v_add_co_u32_e32 v0, vcc, s8, v0
	v_addc_co_u32_e32 v1, vcc, v3, v1, vcc
	v_mov_b32_e32 v3, v10
.LBB16_6:                               ; =>This Inner Loop Header: Depth=1
	global_load_dwordx4 v[4:7], v[0:1], off
	v_add_co_u32_e32 v0, vcc, 0x200, v0
	v_add_u32_e32 v3, 32, v3
	v_addc_co_u32_e32 v1, vcc, 0, v1, vcc
	v_cmp_le_i32_e32 vcc, s21, v3
	s_or_b64 s[10:11], vcc, s[10:11]
	s_waitcnt vmcnt(0)
	ds_write_b128 v2, v[4:7]
	v_add_u32_e32 v2, 0x200, v2
	s_andn2_b64 exec, exec, s[10:11]
	s_cbranch_execnz .LBB16_6
.LBB16_7:
	s_or_b64 exec, exec, s[18:19]
	s_and_b64 exec, exec, s[0:1]
	s_cbranch_execz .LBB16_12
; %bb.8:
	s_waitcnt lgkmcnt(0)
	global_load_dwordx4 v[0:3], v12, s[4:5]
	global_load_dwordx4 v[4:7], v12, s[6:7]
	v_mbcnt_lo_u32_b32 v9, -1, 0
	v_add_u32_e32 v13, s16, v13
	v_mbcnt_hi_u32_b32 v9, -1, v9
	v_add3_u32 v20, 0, v14, v12
	v_add3_u32 v22, v13, v12, 0
	v_and_b32_e32 v12, 0x60, v9
	v_xor_b32_e32 v13, 16, v9
	v_add_u32_e32 v12, 32, v12
	v_xor_b32_e32 v14, 8, v9
	v_cmp_lt_i32_e32 vcc, v13, v12
	s_add_i32 s8, s14, s13
	v_xor_b32_e32 v15, 4, v9
	v_cndmask_b32_e32 v13, v9, v13, vcc
	v_cmp_lt_i32_e32 vcc, v14, v12
	s_lshr_b32 s0, s17, 31
	s_ashr_i32 s1, s17, 31
	s_lshl_b32 s9, s20, 2
	s_add_i32 s8, s8, s12
	v_xor_b32_e32 v16, 2, v9
	v_cndmask_b32_e32 v14, v9, v14, vcc
	v_cmp_lt_i32_e32 vcc, v15, v12
	s_add_i32 s0, s17, s0
	s_lshr_b32 s1, s1, 29
	v_xor_b32_e32 v17, 1, v9
	s_sub_i32 s8, s8, s9
	v_cndmask_b32_e32 v15, v9, v15, vcc
	v_cmp_lt_i32_e32 vcc, v16, v12
	s_lshl_b32 s0, s0, 1
	s_add_i32 s1, s17, s1
	v_mul_lo_u32 v8, s8, v8
	v_cndmask_b32_e32 v16, v9, v16, vcc
	v_cmp_lt_i32_e32 vcc, v17, v12
	s_and_b32 s0, s0, -4
	s_ashr_i32 s1, s1, 3
	v_cndmask_b32_e32 v9, v9, v17, vcc
	v_lshl_add_u32 v8, v8, 8, v11
	s_mov_b32 s6, 0
	s_mov_b64 s[4:5], 0
	v_mov_b32_e32 v21, s15
	s_mov_b32 s7, 0x800000
	v_cmp_gt_i32_e32 vcc, s1, v10
	v_add_u32_e32 v23, s0, v20
	v_lshlrev_b32_e32 v24, 2, v13
	v_lshlrev_b32_e32 v25, 2, v14
	;; [unrolled: 1-line block ×5, first 2 shown]
	v_lshl_or_b32 v8, v10, 3, v8
	s_waitcnt vmcnt(1)
	v_lshrrev_b32_e32 v29, 16, v0
	s_waitcnt vmcnt(0)
	v_lshrrev_b32_e32 v30, 16, v4
	v_lshrrev_b32_e32 v31, 16, v1
	v_lshrrev_b32_e32 v32, 16, v5
	v_lshrrev_b32_e32 v33, 16, v2
	v_lshrrev_b32_e32 v34, 16, v6
	v_lshrrev_b32_e32 v35, 16, v3
	v_lshrrev_b32_e32 v36, 16, v7
	s_branch .LBB16_10
.LBB16_9:                               ;   in Loop: Header=BB16_10 Depth=1
	s_or_b64 exec, exec, s[0:1]
	v_ashrrev_i32_e32 v9, 31, v8
	v_cvt_f16_f32_e32 v37, v10
	v_cvt_f16_f32_e32 v38, v11
	;; [unrolled: 1-line block ×8, first 2 shown]
	v_lshlrev_b64 v[10:11], 1, v[8:9]
	v_mov_b32_e32 v9, s3
	v_add_co_u32_e64 v14, s[0:1], s2, v10
	v_addc_co_u32_e64 v15, s[0:1], v9, v11, s[0:1]
	s_add_i32 s6, s6, 1
	v_cmp_ge_i32_e64 s[0:1], s6, v19
	v_pack_b32_f16 v13, v13, v16
	v_pack_b32_f16 v12, v12, v41
	;; [unrolled: 1-line block ×4, first 2 shown]
	v_add_u32_e32 v8, 0x100, v8
	s_or_b64 s[4:5], s[0:1], s[4:5]
	v_add_u32_e32 v22, 0x200, v22
	global_store_dwordx4 v[14:15], v[10:13], off
	s_andn2_b64 exec, exec, s[4:5]
	s_cbranch_execz .LBB16_12
.LBB16_10:                              ; =>This Inner Loop Header: Depth=1
	ds_read_b128 v[10:13], v22
	v_mov_b32_e32 v37, v21
	s_waitcnt lgkmcnt(0)
	v_cvt_f32_f16_sdwa v15, v10 dst_sel:DWORD dst_unused:UNUSED_PAD src0_sel:WORD_1
	v_cvt_f32_f16_e32 v14, v10
	v_cvt_f32_f16_sdwa v39, v11 dst_sel:DWORD dst_unused:UNUSED_PAD src0_sel:WORD_1
	v_cvt_f32_f16_e32 v38, v11
	;; [unrolled: 2-line block ×4, first 2 shown]
	v_pk_mul_f32 v[12:13], v[14:15], v[14:15]
	v_pk_mul_f32 v[42:43], v[38:39], v[38:39]
	v_add_f32_e32 v9, v12, v13
	v_add_f32_e32 v9, v9, v42
	v_pk_mul_f32 v[44:45], v[40:41], v[40:41]
	v_add_f32_e32 v9, v9, v43
	v_add_f32_e32 v9, v9, v44
	;; [unrolled: 3-line block ×3, first 2 shown]
	v_add_f32_e32 v9, v9, v11
	ds_bpermute_b32 v10, v24, v9
	v_add_u32_e32 v11, s6, v18
	v_cmp_gt_i32_e64 s[0:1], s12, v11
	v_cndmask_b32_e64 v11, v30, v29, s[0:1]
	v_cndmask_b32_e64 v12, v4, v0, s[0:1]
	s_waitcnt lgkmcnt(0)
	v_add_f32_e32 v9, v9, v10
	ds_bpermute_b32 v10, v25, v9
	v_cndmask_b32_e64 v13, v32, v31, s[0:1]
	v_cndmask_b32_e64 v42, v5, v1, s[0:1]
	;; [unrolled: 1-line block ×4, first 2 shown]
	s_waitcnt lgkmcnt(0)
	v_add_f32_e32 v9, v9, v10
	ds_bpermute_b32 v10, v26, v9
	v_cndmask_b32_e64 v45, v36, v35, s[0:1]
	v_cndmask_b32_e64 v47, v7, v3, s[0:1]
	v_cvt_f32_f16_e32 v11, v11
	v_cvt_f32_f16_e32 v13, v13
	s_waitcnt lgkmcnt(0)
	v_add_f32_e32 v9, v9, v10
	ds_bpermute_b32 v10, v27, v9
	v_cvt_f32_f16_e32 v43, v43
	v_cvt_f32_f16_e32 v45, v45
	s_waitcnt lgkmcnt(0)
	v_add_f32_e32 v9, v9, v10
	ds_bpermute_b32 v46, v28, v9
	v_cvt_f32_f16_e32 v10, v12
	v_cvt_f32_f16_e32 v12, v42
	;; [unrolled: 1-line block ×4, first 2 shown]
	s_waitcnt lgkmcnt(0)
	v_add_f32_e32 v9, v9, v46
	v_fmac_f32_e32 v37, 0x3b800000, v9
	v_mul_f32_e32 v9, 0x4b800000, v37
	v_cmp_gt_f32_e64 s[0:1], s7, v37
	v_cndmask_b32_e64 v9, v37, v9, s[0:1]
	v_rsq_f32_e32 v9, v9
	v_mul_f32_e32 v37, 0x45800000, v9
	v_cndmask_b32_e64 v46, v9, v37, s[0:1]
	v_pk_mul_f32 v[10:11], v[46:47], v[10:11] op_sel_hi:[0,1]
	v_pk_mul_f32 v[12:13], v[46:47], v[12:13] op_sel_hi:[0,1]
	v_pk_mul_f32 v[10:11], v[10:11], v[14:15]
	v_pk_mul_f32 v[12:13], v[12:13], v[38:39]
	v_pk_mul_f32 v[14:15], v[46:47], v[42:43] op_sel_hi:[0,1]
	v_pk_mul_f32 v[38:39], v[46:47], v[44:45] op_sel_hi:[0,1]
	v_pk_mul_f32 v[14:15], v[14:15], v[40:41]
	v_pk_mul_f32 v[16:17], v[38:39], v[16:17]
	s_and_saveexec_b64 s[0:1], vcc
	s_cbranch_execz .LBB16_9
; %bb.11:                               ;   in Loop: Header=BB16_10 Depth=1
	ds_read2_b32 v[38:39], v23 offset1:1
	ds_read2_b32 v[40:41], v20 offset1:1
	ds_read2_b32 v[42:43], v23 offset0:2 offset1:3
	ds_read2_b32 v[44:45], v20 offset0:2 offset1:3
	s_waitcnt lgkmcnt(3)
	v_pk_mul_f32 v[46:47], v[10:11], v[38:39] op_sel_hi:[1,0]
	v_pk_mul_f32 v[38:39], v[12:13], v[38:39] op_sel:[0,1]
	s_waitcnt lgkmcnt(2)
	v_pk_fma_f32 v[50:51], v[12:13], v[40:41], v[38:39] op_sel:[0,1,1] op_sel_hi:[1,1,0] neg_lo:[0,0,1] neg_hi:[0,0,1]
	v_pk_fma_f32 v[12:13], v[12:13], v[40:41], v[38:39] op_sel:[0,1,1] op_sel_hi:[1,1,0]
	s_waitcnt lgkmcnt(1)
	v_pk_mul_f32 v[38:39], v[14:15], v[42:43] op_sel_hi:[1,0]
	v_pk_mul_f32 v[48:49], v[10:11], v[40:41] op_sel_hi:[1,0]
	v_pk_fma_f32 v[10:11], v[10:11], v[40:41], v[46:47] op_sel:[0,0,1] op_sel_hi:[1,0,0]
	s_waitcnt lgkmcnt(0)
	v_pk_fma_f32 v[40:41], v[14:15], v[44:45], v[38:39] op_sel:[0,0,1] op_sel_hi:[1,0,0] neg_lo:[0,0,1] neg_hi:[0,0,1]
	v_pk_fma_f32 v[14:15], v[14:15], v[44:45], v[38:39] op_sel:[0,0,1] op_sel_hi:[1,0,0]
	v_mov_b32_e32 v44, v43
	v_pk_mul_f32 v[38:39], v[16:17], v[44:45]
	v_mul_f32_e32 v9, v17, v43
	v_mov_b32_e32 v10, v39
	v_fma_f32 v9, v16, v45, -v9
	v_pk_fma_f32 v[38:39], v[16:17], v[44:45], v[10:11]
	v_sub_f32_e32 v10, v48, v47
	v_mov_b32_e32 v12, v50
	v_mov_b32_e32 v14, v40
	;; [unrolled: 1-line block ×4, first 2 shown]
	s_branch .LBB16_9
.LBB16_12:
	s_endpgm
	.section	.rodata,"a",@progbits
	.p2align	6, 0x0
	.amdhsa_kernel _ZN12tensorrt_llm7kernels32fusedQKNormRopeKernelNTokenHeadsIN3c104HalfEfLi256ELb1ELi4EEEvPviiifPKvS6_S6_PKlii
		.amdhsa_group_segment_fixed_size 0
		.amdhsa_private_segment_fixed_size 0
		.amdhsa_kernarg_size 320
		.amdhsa_user_sgpr_count 6
		.amdhsa_user_sgpr_private_segment_buffer 1
		.amdhsa_user_sgpr_dispatch_ptr 0
		.amdhsa_user_sgpr_queue_ptr 0
		.amdhsa_user_sgpr_kernarg_segment_ptr 1
		.amdhsa_user_sgpr_dispatch_id 0
		.amdhsa_user_sgpr_flat_scratch_init 0
		.amdhsa_user_sgpr_kernarg_preload_length 0
		.amdhsa_user_sgpr_kernarg_preload_offset 0
		.amdhsa_user_sgpr_private_segment_size 0
		.amdhsa_uses_dynamic_stack 0
		.amdhsa_system_sgpr_private_segment_wavefront_offset 0
		.amdhsa_system_sgpr_workgroup_id_x 1
		.amdhsa_system_sgpr_workgroup_id_y 0
		.amdhsa_system_sgpr_workgroup_id_z 0
		.amdhsa_system_sgpr_workgroup_info 0
		.amdhsa_system_vgpr_workitem_id 0
		.amdhsa_next_free_vgpr 52
		.amdhsa_next_free_sgpr 24
		.amdhsa_accum_offset 52
		.amdhsa_reserve_vcc 1
		.amdhsa_reserve_flat_scratch 0
		.amdhsa_float_round_mode_32 0
		.amdhsa_float_round_mode_16_64 0
		.amdhsa_float_denorm_mode_32 3
		.amdhsa_float_denorm_mode_16_64 3
		.amdhsa_dx10_clamp 1
		.amdhsa_ieee_mode 1
		.amdhsa_fp16_overflow 0
		.amdhsa_tg_split 0
		.amdhsa_exception_fp_ieee_invalid_op 0
		.amdhsa_exception_fp_denorm_src 0
		.amdhsa_exception_fp_ieee_div_zero 0
		.amdhsa_exception_fp_ieee_overflow 0
		.amdhsa_exception_fp_ieee_underflow 0
		.amdhsa_exception_fp_ieee_inexact 0
		.amdhsa_exception_int_div_zero 0
	.end_amdhsa_kernel
	.section	.text._ZN12tensorrt_llm7kernels32fusedQKNormRopeKernelNTokenHeadsIN3c104HalfEfLi256ELb1ELi4EEEvPviiifPKvS6_S6_PKlii,"axG",@progbits,_ZN12tensorrt_llm7kernels32fusedQKNormRopeKernelNTokenHeadsIN3c104HalfEfLi256ELb1ELi4EEEvPviiifPKvS6_S6_PKlii,comdat
.Lfunc_end16:
	.size	_ZN12tensorrt_llm7kernels32fusedQKNormRopeKernelNTokenHeadsIN3c104HalfEfLi256ELb1ELi4EEEvPviiifPKvS6_S6_PKlii, .Lfunc_end16-_ZN12tensorrt_llm7kernels32fusedQKNormRopeKernelNTokenHeadsIN3c104HalfEfLi256ELb1ELi4EEEvPviiifPKvS6_S6_PKlii
                                        ; -- End function
	.section	.AMDGPU.csdata,"",@progbits
; Kernel info:
; codeLenInByte = 1748
; NumSgprs: 28
; NumVgprs: 52
; NumAgprs: 0
; TotalNumVgprs: 52
; ScratchSize: 0
; MemoryBound: 0
; FloatMode: 240
; IeeeMode: 1
; LDSByteSize: 0 bytes/workgroup (compile time only)
; SGPRBlocks: 3
; VGPRBlocks: 6
; NumSGPRsForWavesPerEU: 28
; NumVGPRsForWavesPerEU: 52
; AccumOffset: 52
; Occupancy: 8
; WaveLimiterHint : 0
; COMPUTE_PGM_RSRC2:SCRATCH_EN: 0
; COMPUTE_PGM_RSRC2:USER_SGPR: 6
; COMPUTE_PGM_RSRC2:TRAP_HANDLER: 0
; COMPUTE_PGM_RSRC2:TGID_X_EN: 1
; COMPUTE_PGM_RSRC2:TGID_Y_EN: 0
; COMPUTE_PGM_RSRC2:TGID_Z_EN: 0
; COMPUTE_PGM_RSRC2:TIDIG_COMP_CNT: 0
; COMPUTE_PGM_RSRC3_GFX90A:ACCUM_OFFSET: 12
; COMPUTE_PGM_RSRC3_GFX90A:TG_SPLIT: 0
	.section	.text._ZN12tensorrt_llm7kernels32fusedQKNormRopeKernelNTokenHeadsIN3c104HalfEfLi256ELb0ELi4EEEvPviiifPKvS6_S6_PKlii,"axG",@progbits,_ZN12tensorrt_llm7kernels32fusedQKNormRopeKernelNTokenHeadsIN3c104HalfEfLi256ELb0ELi4EEEvPviiifPKvS6_S6_PKlii,comdat
	.protected	_ZN12tensorrt_llm7kernels32fusedQKNormRopeKernelNTokenHeadsIN3c104HalfEfLi256ELb0ELi4EEEvPviiifPKvS6_S6_PKlii ; -- Begin function _ZN12tensorrt_llm7kernels32fusedQKNormRopeKernelNTokenHeadsIN3c104HalfEfLi256ELb0ELi4EEEvPviiifPKvS6_S6_PKlii
	.globl	_ZN12tensorrt_llm7kernels32fusedQKNormRopeKernelNTokenHeadsIN3c104HalfEfLi256ELb0ELi4EEEvPviiifPKvS6_S6_PKlii
	.p2align	8
	.type	_ZN12tensorrt_llm7kernels32fusedQKNormRopeKernelNTokenHeadsIN3c104HalfEfLi256ELb0ELi4EEEvPviiifPKvS6_S6_PKlii,@function
_ZN12tensorrt_llm7kernels32fusedQKNormRopeKernelNTokenHeadsIN3c104HalfEfLi256ELb0ELi4EEEvPviiifPKvS6_S6_PKlii: ; @_ZN12tensorrt_llm7kernels32fusedQKNormRopeKernelNTokenHeadsIN3c104HalfEfLi256ELb0ELi4EEEvPviiifPKvS6_S6_PKlii
; %bb.0:
	s_load_dwordx4 s[12:15], s[4:5], 0x8
	s_load_dwordx2 s[2:3], s[4:5], 0x38
	s_load_dword s1, s[4:5], 0x4c
	v_lshrrev_b32_e32 v1, 5, v0
	s_waitcnt lgkmcnt(0)
	s_add_i32 s0, s13, s12
	s_add_i32 s7, s0, 3
	s_ashr_i32 s8, s7, 31
	s_lshr_b32 s8, s8, 30
	s_add_i32 s7, s7, s8
	s_ashr_i32 s20, s7, 2
	s_abs_i32 s7, s20
	v_cvt_f32_u32_e32 v2, s7
	s_bfe_u32 s1, s1, 0xb0005
	s_mul_i32 s6, s6, s1
	v_rcp_iflag_f32_e32 v3, v2
	v_add_u32_e32 v2, s6, v1
	s_sub_i32 s6, 0, s7
	v_sub_u32_e32 v4, 0, v2
	v_mul_f32_e32 v3, 0x4f7ffffe, v3
	v_cvt_u32_f32_e32 v3, v3
	v_max_i32_e32 v4, v2, v4
	v_xor_b32_e32 v5, s20, v2
	v_ashrrev_i32_e32 v5, 31, v5
	v_mul_lo_u32 v6, s6, v3
	v_mul_hi_u32 v6, v3, v6
	v_add_u32_e32 v3, v3, v6
	v_mul_hi_u32 v3, v4, v3
	v_mul_lo_u32 v6, v3, s7
	v_sub_u32_e32 v4, v4, v6
	v_add_u32_e32 v6, 1, v3
	v_cmp_le_u32_e32 vcc, s7, v4
	v_cndmask_b32_e32 v3, v3, v6, vcc
	v_subrev_u32_e32 v6, s7, v4
	v_cndmask_b32_e32 v4, v4, v6, vcc
	v_add_u32_e32 v6, 1, v3
	v_cmp_le_u32_e32 vcc, s7, v4
	v_cndmask_b32_e32 v3, v3, v6, vcc
	v_xor_b32_e32 v3, v3, v5
	v_sub_u32_e32 v8, v3, v5
	v_cmp_gt_i32_e32 vcc, s2, v8
	s_and_saveexec_b64 s[6:7], vcc
	s_cbranch_execz .LBB17_12
; %bb.1:
	v_mul_lo_u32 v3, v8, s20
	v_sub_u32_e32 v3, v2, v3
	s_load_dwordx2 s[16:17], s[4:5], 0x0
	v_lshlrev_b32_e32 v10, 2, v3
	v_add_u32_e32 v3, 4, v10
	v_sub_u32_e32 v4, s0, v10
	v_cmp_lt_i32_e32 vcc, s0, v3
	v_and_b32_e32 v20, 31, v0
	v_cndmask_b32_e32 v11, 4, v4, vcc
	s_lshl_b32 s2, s3, 2
	s_mul_i32 s21, s2, s1
	v_lshlrev_b32_e32 v29, 11, v1
	v_cmp_lt_i32_e64 s[0:1], 0, v11
	v_lshlrev_b32_e32 v30, 4, v20
	v_lshlrev_b32_e32 v31, 10, v2
	s_and_saveexec_b64 s[6:7], s[0:1]
	s_cbranch_execz .LBB17_4
; %bb.2:
	s_add_i32 s8, s21, 0
	v_add3_u32 v4, s8, v29, v30
	s_add_i32 s8, s14, s13
	s_add_i32 s8, s8, s12
	s_lshl_b32 s9, s20, 2
	s_sub_i32 s8, s8, s9
	v_mul_lo_u32 v2, s8, v8
	v_lshl_add_u32 v2, v2, 8, v31
	s_mov_b32 s10, 0
	v_lshl_or_b32 v2, v20, 3, v2
	s_mov_b64 s[8:9], 0
	s_waitcnt lgkmcnt(0)
	v_mov_b32_e32 v5, s17
.LBB17_3:                               ; =>This Inner Loop Header: Depth=1
	v_ashrrev_i32_e32 v3, 31, v2
	v_lshlrev_b64 v[6:7], 1, v[2:3]
	v_add_co_u32_e32 v6, vcc, s16, v6
	v_addc_co_u32_e32 v7, vcc, v5, v7, vcc
	global_load_dwordx4 v[12:15], v[6:7], off
	s_add_i32 s10, s10, 1
	v_cmp_ge_i32_e32 vcc, s10, v11
	v_add_u32_e32 v2, 0x100, v2
	s_or_b64 s[8:9], vcc, s[8:9]
	s_waitcnt vmcnt(0)
	ds_write_b128 v4, v[12:15]
	v_add_u32_e32 v4, 0x200, v4
	s_andn2_b64 exec, exec, s[8:9]
	s_cbranch_execnz .LBB17_3
.LBB17_4:
	s_or_b64 exec, exec, s[6:7]
	s_add_i32 s2, s2, 15
	s_load_dwordx8 s[4:11], s[4:5], 0x18
	s_ashr_i32 s18, s2, 31
	s_lshr_b32 s18, s18, 28
	s_add_i32 s2, s2, s18
	s_ashr_i32 s2, s2, 4
	v_cmp_gt_i32_e32 vcc, s2, v20
	v_mul_lo_u32 v12, v1, s3
	s_and_saveexec_b64 s[18:19], vcc
	s_cbranch_execz .LBB17_7
; %bb.5:
	v_ashrrev_i32_e32 v9, 31, v8
	v_lshlrev_b64 v[2:3], 3, v[8:9]
	s_waitcnt lgkmcnt(0)
	v_mov_b32_e32 v1, s11
	v_add_co_u32_e32 v2, vcc, s10, v2
	v_addc_co_u32_e32 v3, vcc, v1, v3, vcc
	global_load_dwordx2 v[4:5], v[2:3], off
	s_ashr_i32 s22, s3, 31
	v_lshlrev_b32_e32 v1, 2, v12
	v_and_b32_e32 v0, 31, v0
	v_add3_u32 v2, v1, v30, 0
	v_lshlrev_b32_e32 v6, 4, v0
	v_mov_b32_e32 v3, s9
	s_mov_b64 s[10:11], 0
	s_waitcnt vmcnt(0)
	v_mul_lo_u32 v5, v5, s3
	v_mul_lo_u32 v7, v4, s22
	v_mad_u64_u32 v[0:1], s[22:23], v4, s3, 0
	v_add3_u32 v1, v1, v7, v5
	v_lshlrev_b64 v[0:1], 2, v[0:1]
	v_add_co_u32_e32 v0, vcc, v0, v6
	v_addc_co_u32_e32 v1, vcc, 0, v1, vcc
	v_add_co_u32_e32 v0, vcc, s8, v0
	v_addc_co_u32_e32 v1, vcc, v3, v1, vcc
	v_mov_b32_e32 v3, v20
.LBB17_6:                               ; =>This Inner Loop Header: Depth=1
	global_load_dwordx4 v[4:7], v[0:1], off
	v_add_co_u32_e32 v0, vcc, 0x200, v0
	v_add_u32_e32 v3, 32, v3
	v_addc_co_u32_e32 v1, vcc, 0, v1, vcc
	v_cmp_le_i32_e32 vcc, s2, v3
	s_or_b64 s[10:11], vcc, s[10:11]
	s_waitcnt vmcnt(0)
	ds_write_b128 v2, v[4:7]
	v_add_u32_e32 v2, 0x200, v2
	s_andn2_b64 exec, exec, s[10:11]
	s_cbranch_execnz .LBB17_6
.LBB17_7:
	s_or_b64 exec, exec, s[18:19]
	s_and_b64 exec, exec, s[0:1]
	s_cbranch_execz .LBB17_12
; %bb.8:
	s_waitcnt lgkmcnt(0)
	global_load_dwordx4 v[0:3], v30, s[4:5]
	global_load_dwordx4 v[4:7], v30, s[6:7]
	v_lshl_add_u32 v9, v12, 2, 0
	v_mbcnt_lo_u32_b32 v12, -1, 0
	s_abs_i32 s4, s3
	v_mbcnt_hi_u32_b32 v17, -1, v12
	v_cvt_f32_u32_e32 v14, s4
	v_and_b32_e32 v12, 0x60, v17
	v_xor_b32_e32 v13, 16, v17
	v_add_u32_e32 v12, 32, v12
	v_xor_b32_e32 v15, 8, v17
	v_cmp_lt_i32_e32 vcc, v13, v12
	v_xor_b32_e32 v16, 4, v17
	v_cndmask_b32_e32 v13, v17, v13, vcc
	v_cmp_lt_i32_e32 vcc, v15, v12
	v_rcp_iflag_f32_e32 v23, v14
	v_xor_b32_e32 v18, 2, v17
	v_cndmask_b32_e32 v15, v17, v15, vcc
	v_cmp_lt_i32_e32 vcc, v16, v12
	v_cndmask_b32_e32 v16, v17, v16, vcc
	v_cmp_lt_i32_e32 vcc, v18, v12
	v_xor_b32_e32 v19, 1, v17
	v_cndmask_b32_e32 v18, v17, v18, vcc
	v_cmp_lt_i32_e32 vcc, v19, v12
	v_lshlrev_b32_e32 v12, 2, v13
	v_lshlrev_b32_e32 v13, 2, v15
	;; [unrolled: 1-line block ×3, first 2 shown]
	v_mul_f32_e32 v18, 0x4f7ffffe, v23
	v_cvt_u32_f32_e32 v18, v18
	s_sub_i32 s5, 0, s4
	v_cndmask_b32_e32 v19, v17, v19, vcc
	s_ashr_i32 s1, s3, 31
	v_lshlrev_b32_e32 v14, 2, v16
	v_lshlrev_b32_e32 v16, 2, v19
	v_mul_lo_u32 v19, s5, v18
	s_lshr_b32 s2, s1, 29
	s_lshr_b32 s1, s1, 28
	v_mul_hi_u32 v19, v18, v19
	s_add_i32 s1, s3, s1
	v_add_u32_e32 v46, v18, v19
	s_add_i32 s2, s3, s2
	v_and_b32_e32 v21, 64, v17
	s_ashr_i32 s1, s1, 4
	v_mul_hi_u32 v18, v30, v46
	s_lshr_b32 s0, s3, 31
	s_ashr_i32 s2, s2, 3
	v_add_u32_e32 v21, 64, v21
	v_xor_b32_e32 v22, s1, v17
	v_mul_lo_u32 v18, v18, s4
	v_or_b32_e32 v32, 2, v30
	s_add_i32 s0, s3, s0
	v_cmp_gt_i32_e32 vcc, s2, v20
	v_cmp_lt_i32_e64 s[2:3], v22, v21
	v_sub_u32_e32 v18, v30, v18
	v_cndmask_b32_e64 v17, v17, v22, s[2:3]
	v_subrev_u32_e32 v19, s4, v18
	v_cmp_le_u32_e64 s[2:3], s4, v18
	v_mul_hi_u32 v33, v32, v46
	v_cndmask_b32_e64 v18, v18, v19, s[2:3]
	v_mul_lo_u32 v33, v33, s4
	v_or_b32_e32 v34, 4, v30
	v_subrev_u32_e32 v19, s4, v18
	v_cmp_le_u32_e64 s[2:3], s4, v18
	v_sub_u32_e32 v32, v32, v33
	v_cndmask_b32_e64 v27, v18, v19, s[2:3]
	v_subrev_u32_e32 v33, s4, v32
	v_cmp_le_u32_e64 s[2:3], s4, v32
	v_mul_hi_u32 v35, v34, v46
	v_cndmask_b32_e64 v32, v32, v33, s[2:3]
	v_mul_lo_u32 v35, v35, s4
	v_or_b32_e32 v36, 6, v30
	v_subrev_u32_e32 v33, s4, v32
	v_cmp_le_u32_e64 s[2:3], s4, v32
	;; [unrolled: 10-line block ×6, first 2 shown]
	v_sub_u32_e32 v42, v42, v43
	v_cndmask_b32_e64 v40, v40, v41, s[2:3]
	v_subrev_u32_e32 v43, s4, v42
	v_cmp_le_u32_e64 s[2:3], s4, v42
	v_mul_hi_u32 v46, v44, v46
	v_cndmask_b32_e64 v42, v42, v43, s[2:3]
	v_mul_lo_u32 v46, v46, s4
	v_subrev_u32_e32 v43, s4, v42
	v_cmp_le_u32_e64 s[2:3], s4, v42
	v_sub_u32_e32 v44, v44, v46
	v_cndmask_b32_e64 v42, v42, v43, s[2:3]
	v_subrev_u32_e32 v46, s4, v44
	v_cmp_le_u32_e64 s[2:3], s4, v44
	v_cndmask_b32_e64 v44, v44, v46, s[2:3]
	v_subrev_u32_e32 v46, s4, v44
	v_cmp_le_u32_e64 s[2:3], s4, v44
	v_cndmask_b32_e64 v44, v44, v46, s[2:3]
	s_add_i32 s2, s14, s13
	s_add_i32 s2, s2, s12
	s_lshl_b32 s3, s20, 2
	s_lshl_b32 s0, s0, 1
	v_lshlrev_b32_e32 v27, 1, v27
	v_lshlrev_b32_e32 v32, 1, v32
	;; [unrolled: 1-line block ×8, first 2 shown]
	s_sub_i32 s2, s2, s3
	s_and_b32 s0, s0, -4
	v_and_b32_e32 v28, -4, v27
	v_and_b32_e32 v33, -4, v32
	v_and_b32_e32 v35, -4, v34
	v_and_b32_e32 v37, -4, v36
	v_and_b32_e32 v39, -4, v38
	v_and_b32_e32 v41, -4, v40
	v_and_b32_e32 v43, -4, v42
	v_and_b32_e32 v46, -4, v44
	v_mul_lo_u32 v8, s2, v8
	v_add_u32_e32 v45, s0, v9
	v_add_u32_e32 v27, v9, v28
	;; [unrolled: 1-line block ×9, first 2 shown]
	v_lshl_add_u32 v8, v8, 8, v31
	v_add_u32_e32 v9, s21, v29
	s_mov_b32 s8, 0
	v_cmp_gt_i32_e64 s[0:1], s1, v20
	v_lshlrev_b32_e32 v17, 2, v17
	s_waitcnt vmcnt(1)
	v_lshrrev_b32_e32 v18, 16, v0
	v_lshrrev_b32_e32 v19, 16, v1
	;; [unrolled: 1-line block ×4, first 2 shown]
	s_waitcnt vmcnt(0)
	v_lshrrev_b32_e32 v23, 16, v4
	v_lshrrev_b32_e32 v24, 16, v5
	;; [unrolled: 1-line block ×4, first 2 shown]
	v_add_u32_e32 v28, v45, v28
	v_add_u32_e32 v33, v45, v33
	;; [unrolled: 1-line block ×8, first 2 shown]
	v_lshl_or_b32 v8, v20, 3, v8
	v_add3_u32 v20, v9, v30, 0
	s_mov_b64 s[6:7], 0
	s_mov_b32 s9, 0x800000
	s_branch .LBB17_10
.LBB17_9:                               ;   in Loop: Header=BB17_10 Depth=1
	s_or_b64 exec, exec, s[2:3]
	v_cvt_f16_f32_e32 v51, v48
	v_cvt_f16_f32_e32 v48, v9
	v_ashrrev_i32_e32 v9, 31, v8
	v_cvt_f16_f32_e32 v50, v49
	v_cvt_f16_f32_e32 v47, v47
	;; [unrolled: 1-line block ×6, first 2 shown]
	v_lshlrev_b64 v[30:31], 1, v[8:9]
	v_mov_b32_e32 v9, s17
	v_add_co_u32_e64 v30, s[2:3], s16, v30
	v_addc_co_u32_e64 v31, s[2:3], v9, v31, s[2:3]
	s_add_i32 s8, s8, 1
	v_cmp_ge_i32_e64 s[2:3], s8, v11
	v_pack_b32_f16 v49, v49, v29
	v_pack_b32_f16 v48, v48, v52
	;; [unrolled: 1-line block ×4, first 2 shown]
	v_add_u32_e32 v8, 0x100, v8
	s_or_b64 s[6:7], s[2:3], s[6:7]
	v_add_u32_e32 v20, 0x200, v20
	global_store_dwordx4 v[30:31], v[46:49], off
	s_andn2_b64 exec, exec, s[6:7]
	s_cbranch_execz .LBB17_12
.LBB17_10:                              ; =>This Inner Loop Header: Depth=1
	ds_read_b128 v[46:49], v20
	s_waitcnt lgkmcnt(0)
	v_cvt_f32_f16_sdwa v9, v46 dst_sel:DWORD dst_unused:UNUSED_PAD src0_sel:WORD_1
	v_cvt_f32_f16_sdwa v31, v47 dst_sel:DWORD dst_unused:UNUSED_PAD src0_sel:WORD_1
	v_cvt_f32_f16_e32 v30, v47
	v_cvt_f32_f16_sdwa v51, v48 dst_sel:DWORD dst_unused:UNUSED_PAD src0_sel:WORD_1
	v_cvt_f32_f16_e32 v50, v48
	v_mul_f32_e32 v29, v9, v9
	v_cvt_f32_f16_sdwa v53, v49 dst_sel:DWORD dst_unused:UNUSED_PAD src0_sel:WORD_1
	v_cvt_f32_f16_e32 v52, v49
	v_pk_mul_f32 v[48:49], v[30:31], v[30:31]
	v_fma_mix_f32 v29, v46, v46, v29 op_sel_hi:[1,1,0]
	v_add_f32_e32 v29, v29, v48
	v_add_f32_e32 v29, v29, v49
	v_pk_mul_f32 v[48:49], v[50:51], v[50:51]
	v_add_f32_e32 v29, v29, v48
	v_add_f32_e32 v29, v29, v49
	v_pk_mul_f32 v[48:49], v[52:53], v[52:53]
	v_add_f32_e32 v29, v29, v48
	v_add_f32_e32 v29, v29, v49
	ds_bpermute_b32 v47, v12, v29
	v_mov_b32_e32 v49, s15
	v_add_u32_e32 v48, s8, v10
	v_cmp_gt_i32_e64 s[2:3], s12, v48
	v_cndmask_b32_e64 v48, v4, v0, s[2:3]
	s_waitcnt lgkmcnt(0)
	v_add_f32_e32 v29, v29, v47
	ds_bpermute_b32 v47, v13, v29
	v_cndmask_b32_e64 v54, v23, v18, s[2:3]
	v_cndmask_b32_e64 v56, v24, v19, s[2:3]
	v_cvt_f32_f16_e32 v48, v48
	v_cndmask_b32_e64 v55, v5, v1, s[2:3]
	s_waitcnt lgkmcnt(0)
	v_add_f32_e32 v29, v29, v47
	ds_bpermute_b32 v47, v14, v29
	v_cndmask_b32_e64 v57, v6, v2, s[2:3]
	v_cvt_f32_f16_e32 v54, v54
	v_cvt_f32_f16_e32 v55, v55
	;; [unrolled: 1-line block ×3, first 2 shown]
	s_waitcnt lgkmcnt(0)
	v_add_f32_e32 v29, v29, v47
	ds_bpermute_b32 v47, v15, v29
	v_cndmask_b32_e64 v58, v25, v21, s[2:3]
	s_waitcnt lgkmcnt(0)
	v_add_f32_e32 v29, v29, v47
	ds_bpermute_b32 v47, v16, v29
	s_waitcnt lgkmcnt(0)
	v_add_f32_e32 v29, v29, v47
	v_fmac_f32_e32 v49, 0x3b800000, v29
	v_mul_f32_e32 v29, 0x4b800000, v49
	v_cmp_gt_f32_e64 s[4:5], s9, v49
	v_cndmask_b32_e64 v29, v49, v29, s[4:5]
	v_rsq_f32_e32 v29, v29
	v_cvt_f32_f16_e32 v47, v56
	v_cvt_f32_f16_e32 v56, v57
	v_mul_f32_e32 v49, 0x45800000, v29
	v_cndmask_b32_e64 v29, v29, v49, s[4:5]
	v_mul_f32_e32 v48, v29, v48
	v_mul_f32_e32 v54, v29, v54
	v_mul_f32_e32 v57, v29, v47
	v_mul_f32_e32 v55, v29, v55
	v_mul_f32_e32 v49, v48, v46
	v_mul_f32_e32 v48, v54, v9
	v_mul_f32_e32 v46, v57, v31
	v_mul_f32_e32 v9, v29, v56
	v_cndmask_b32_e64 v31, v7, v3, s[2:3]
	v_mul_f32_e32 v47, v55, v30
	v_cvt_f32_f16_e32 v30, v58
	v_mul_f32_e32 v9, v9, v50
	v_cvt_f32_f16_e32 v50, v31
	v_cndmask_b32_e64 v31, v26, v22, s[2:3]
	v_cvt_f32_f16_e32 v54, v31
	v_mul_f32_e32 v30, v29, v30
	v_mul_f32_e32 v31, v30, v51
	;; [unrolled: 1-line block ×6, first 2 shown]
	s_and_saveexec_b64 s[2:3], vcc
	s_cbranch_execz .LBB17_9
; %bb.11:                               ;   in Loop: Header=BB17_10 Depth=1
	ds_bpermute_b32 v50, v17, v49
	ds_bpermute_b32 v51, v17, v48
	; wave barrier
	ds_read_b32 v52, v27
	ds_read_b32 v53, v28
	ds_read_b32 v54, v32
	ds_read_b32 v55, v33
	ds_read_b32 v56, v34
	ds_read_b32 v57, v35
	ds_read_b32 v58, v36
	ds_read_b32 v59, v37
	s_waitcnt lgkmcnt(9)
	v_cndmask_b32_e64 v50, v50, -v50, s[0:1]
	s_waitcnt lgkmcnt(6)
	v_mul_f32_e32 v50, v50, v53
	v_fmac_f32_e32 v50, v49, v52
	ds_bpermute_b32 v49, v17, v47
	v_cndmask_b32_e64 v51, v51, -v51, s[0:1]
	s_waitcnt lgkmcnt(5)
	v_mul_f32_e32 v51, v51, v55
	v_fmac_f32_e32 v51, v48, v54
	ds_bpermute_b32 v48, v17, v46
	s_waitcnt lgkmcnt(1)
	v_cndmask_b32_e64 v49, v49, -v49, s[0:1]
	v_mul_f32_e32 v52, v49, v57
	ds_bpermute_b32 v49, v17, v9
	v_fmac_f32_e32 v52, v47, v56
	s_waitcnt lgkmcnt(1)
	v_cndmask_b32_e64 v47, v48, -v48, s[0:1]
	v_mul_f32_e32 v53, v47, v59
	ds_bpermute_b32 v47, v17, v31
	v_fmac_f32_e32 v53, v46, v58
	s_waitcnt lgkmcnt(1)
	v_cndmask_b32_e64 v46, v49, -v49, s[0:1]
	ds_read_b32 v48, v38
	ds_read_b32 v49, v39
	;; [unrolled: 1-line block ×8, first 2 shown]
	s_waitcnt lgkmcnt(6)
	v_mul_f32_e32 v60, v46, v49
	v_fmac_f32_e32 v60, v9, v48
	ds_bpermute_b32 v9, v17, v30
	v_cndmask_b32_e64 v46, v47, -v47, s[0:1]
	s_waitcnt lgkmcnt(5)
	v_mul_f32_e32 v55, v46, v55
	ds_bpermute_b32 v46, v17, v29
	v_fmac_f32_e32 v55, v31, v54
	s_waitcnt lgkmcnt(1)
	v_cndmask_b32_e64 v9, v9, -v9, s[0:1]
	v_mul_f32_e32 v54, v9, v57
	v_fmac_f32_e32 v54, v30, v56
	s_waitcnt lgkmcnt(0)
	v_cndmask_b32_e64 v9, v46, -v46, s[0:1]
	v_mul_f32_e32 v56, v9, v59
	v_fmac_f32_e32 v56, v29, v58
	v_mov_b32_e32 v49, v50
	v_mov_b32_e32 v48, v51
	;; [unrolled: 1-line block ×8, first 2 shown]
	; wave barrier
	s_branch .LBB17_9
.LBB17_12:
	s_endpgm
	.section	.rodata,"a",@progbits
	.p2align	6, 0x0
	.amdhsa_kernel _ZN12tensorrt_llm7kernels32fusedQKNormRopeKernelNTokenHeadsIN3c104HalfEfLi256ELb0ELi4EEEvPviiifPKvS6_S6_PKlii
		.amdhsa_group_segment_fixed_size 0
		.amdhsa_private_segment_fixed_size 0
		.amdhsa_kernarg_size 320
		.amdhsa_user_sgpr_count 6
		.amdhsa_user_sgpr_private_segment_buffer 1
		.amdhsa_user_sgpr_dispatch_ptr 0
		.amdhsa_user_sgpr_queue_ptr 0
		.amdhsa_user_sgpr_kernarg_segment_ptr 1
		.amdhsa_user_sgpr_dispatch_id 0
		.amdhsa_user_sgpr_flat_scratch_init 0
		.amdhsa_user_sgpr_kernarg_preload_length 0
		.amdhsa_user_sgpr_kernarg_preload_offset 0
		.amdhsa_user_sgpr_private_segment_size 0
		.amdhsa_uses_dynamic_stack 0
		.amdhsa_system_sgpr_private_segment_wavefront_offset 0
		.amdhsa_system_sgpr_workgroup_id_x 1
		.amdhsa_system_sgpr_workgroup_id_y 0
		.amdhsa_system_sgpr_workgroup_id_z 0
		.amdhsa_system_sgpr_workgroup_info 0
		.amdhsa_system_vgpr_workitem_id 0
		.amdhsa_next_free_vgpr 61
		.amdhsa_next_free_sgpr 24
		.amdhsa_accum_offset 64
		.amdhsa_reserve_vcc 1
		.amdhsa_reserve_flat_scratch 0
		.amdhsa_float_round_mode_32 0
		.amdhsa_float_round_mode_16_64 0
		.amdhsa_float_denorm_mode_32 3
		.amdhsa_float_denorm_mode_16_64 3
		.amdhsa_dx10_clamp 1
		.amdhsa_ieee_mode 1
		.amdhsa_fp16_overflow 0
		.amdhsa_tg_split 0
		.amdhsa_exception_fp_ieee_invalid_op 0
		.amdhsa_exception_fp_denorm_src 0
		.amdhsa_exception_fp_ieee_div_zero 0
		.amdhsa_exception_fp_ieee_overflow 0
		.amdhsa_exception_fp_ieee_underflow 0
		.amdhsa_exception_fp_ieee_inexact 0
		.amdhsa_exception_int_div_zero 0
	.end_amdhsa_kernel
	.section	.text._ZN12tensorrt_llm7kernels32fusedQKNormRopeKernelNTokenHeadsIN3c104HalfEfLi256ELb0ELi4EEEvPviiifPKvS6_S6_PKlii,"axG",@progbits,_ZN12tensorrt_llm7kernels32fusedQKNormRopeKernelNTokenHeadsIN3c104HalfEfLi256ELb0ELi4EEEvPviiifPKvS6_S6_PKlii,comdat
.Lfunc_end17:
	.size	_ZN12tensorrt_llm7kernels32fusedQKNormRopeKernelNTokenHeadsIN3c104HalfEfLi256ELb0ELi4EEEvPviiifPKvS6_S6_PKlii, .Lfunc_end17-_ZN12tensorrt_llm7kernels32fusedQKNormRopeKernelNTokenHeadsIN3c104HalfEfLi256ELb0ELi4EEEvPviiifPKvS6_S6_PKlii
                                        ; -- End function
	.section	.AMDGPU.csdata,"",@progbits
; Kernel info:
; codeLenInByte = 2696
; NumSgprs: 28
; NumVgprs: 61
; NumAgprs: 0
; TotalNumVgprs: 61
; ScratchSize: 0
; MemoryBound: 0
; FloatMode: 240
; IeeeMode: 1
; LDSByteSize: 0 bytes/workgroup (compile time only)
; SGPRBlocks: 3
; VGPRBlocks: 7
; NumSGPRsForWavesPerEU: 28
; NumVGPRsForWavesPerEU: 61
; AccumOffset: 64
; Occupancy: 8
; WaveLimiterHint : 0
; COMPUTE_PGM_RSRC2:SCRATCH_EN: 0
; COMPUTE_PGM_RSRC2:USER_SGPR: 6
; COMPUTE_PGM_RSRC2:TRAP_HANDLER: 0
; COMPUTE_PGM_RSRC2:TGID_X_EN: 1
; COMPUTE_PGM_RSRC2:TGID_Y_EN: 0
; COMPUTE_PGM_RSRC2:TGID_Z_EN: 0
; COMPUTE_PGM_RSRC2:TIDIG_COMP_CNT: 0
; COMPUTE_PGM_RSRC3_GFX90A:ACCUM_OFFSET: 15
; COMPUTE_PGM_RSRC3_GFX90A:TG_SPLIT: 0
	.section	.text._ZN12tensorrt_llm7kernels32fusedQKNormRopeKernelNTokenHeadsIN3c104HalfEfLi64ELb1ELi8EEEvPviiifPKvS6_S6_PKlii,"axG",@progbits,_ZN12tensorrt_llm7kernels32fusedQKNormRopeKernelNTokenHeadsIN3c104HalfEfLi64ELb1ELi8EEEvPviiifPKvS6_S6_PKlii,comdat
	.protected	_ZN12tensorrt_llm7kernels32fusedQKNormRopeKernelNTokenHeadsIN3c104HalfEfLi64ELb1ELi8EEEvPviiifPKvS6_S6_PKlii ; -- Begin function _ZN12tensorrt_llm7kernels32fusedQKNormRopeKernelNTokenHeadsIN3c104HalfEfLi64ELb1ELi8EEEvPviiifPKvS6_S6_PKlii
	.globl	_ZN12tensorrt_llm7kernels32fusedQKNormRopeKernelNTokenHeadsIN3c104HalfEfLi64ELb1ELi8EEEvPviiifPKvS6_S6_PKlii
	.p2align	8
	.type	_ZN12tensorrt_llm7kernels32fusedQKNormRopeKernelNTokenHeadsIN3c104HalfEfLi64ELb1ELi8EEEvPviiifPKvS6_S6_PKlii,@function
_ZN12tensorrt_llm7kernels32fusedQKNormRopeKernelNTokenHeadsIN3c104HalfEfLi64ELb1ELi8EEEvPviiifPKvS6_S6_PKlii: ; @_ZN12tensorrt_llm7kernels32fusedQKNormRopeKernelNTokenHeadsIN3c104HalfEfLi64ELb1ELi8EEEvPviiifPKvS6_S6_PKlii
; %bb.0:
	s_load_dwordx4 s[12:15], s[4:5], 0x8
	s_load_dwordx2 s[2:3], s[4:5], 0x38
	s_load_dword s0, s[4:5], 0x4c
	v_lshrrev_b32_e32 v12, 5, v0
	s_waitcnt lgkmcnt(0)
	s_add_i32 s21, s13, s12
	s_add_i32 s1, s21, 7
	s_ashr_i32 s7, s1, 31
	s_lshr_b32 s7, s7, 29
	s_add_i32 s1, s1, s7
	s_ashr_i32 s20, s1, 3
	s_abs_i32 s1, s20
	v_cvt_f32_u32_e32 v1, s1
	s_bfe_u32 s0, s0, 0xb0005
	s_mul_i32 s6, s6, s0
	v_add_u32_e32 v9, s6, v12
	v_rcp_iflag_f32_e32 v1, v1
	s_sub_i32 s6, 0, s1
	v_sub_u32_e32 v2, 0, v9
	v_max_i32_e32 v2, v9, v2
	v_mul_f32_e32 v1, 0x4f7ffffe, v1
	v_cvt_u32_f32_e32 v1, v1
	v_xor_b32_e32 v3, s20, v9
	v_ashrrev_i32_e32 v3, 31, v3
	v_mul_lo_u32 v4, s6, v1
	v_mul_hi_u32 v4, v1, v4
	v_add_u32_e32 v1, v1, v4
	v_mul_hi_u32 v1, v2, v1
	v_mul_lo_u32 v4, v1, s1
	v_sub_u32_e32 v2, v2, v4
	v_add_u32_e32 v4, 1, v1
	v_cmp_le_u32_e32 vcc, s1, v2
	v_cndmask_b32_e32 v1, v1, v4, vcc
	v_subrev_u32_e32 v4, s1, v2
	v_cndmask_b32_e32 v2, v2, v4, vcc
	v_add_u32_e32 v4, 1, v1
	v_cmp_le_u32_e32 vcc, s1, v2
	v_cndmask_b32_e32 v1, v1, v4, vcc
	v_xor_b32_e32 v1, v1, v3
	v_sub_u32_e32 v2, v1, v3
	v_cmp_gt_i32_e32 vcc, s2, v2
	s_and_saveexec_b64 s[6:7], vcc
	s_cbranch_execz .LBB18_17
; %bb.1:
	v_and_b32_e32 v8, 31, v0
	v_mul_lo_u32 v0, v2, s20
	v_sub_u32_e32 v0, v9, v0
	s_load_dwordx2 s[16:17], s[4:5], 0x0
	v_lshlrev_b32_e32 v0, 3, v0
	v_add_u32_e32 v1, 8, v0
	v_sub_u32_e32 v3, s21, v0
	v_cmp_lt_i32_e32 vcc, s21, v1
	v_cndmask_b32_e32 v7, 8, v3, vcc
	s_lshl_b32 s18, s3, 2
	s_mul_i32 s2, s18, s0
	v_lshlrev_b32_e32 v11, 10, v12
	v_cmp_lt_i32_e64 s[0:1], 0, v7
	v_lshlrev_b32_e32 v10, 2, v8
	s_and_saveexec_b64 s[6:7], s[0:1]
	s_cbranch_execz .LBB18_9
; %bb.2:
	s_mov_b32 s19, 1
	v_lshlrev_b32_e32 v4, 1, v8
	v_cmp_ne_u32_e32 vcc, 1, v7
	s_mov_b64 s[10:11], -1
	v_mov_b32_e32 v1, 0
	s_and_saveexec_b64 s[8:9], vcc
	s_cbranch_execz .LBB18_6
; %bb.3:
	s_add_i32 s21, s21, s14
	s_add_i32 s10, s2, 0
	v_mul_lo_u32 v6, v2, s21
	s_mov_b32 s22, 0
	v_add3_u32 v13, s10, v11, v10
	v_mov_b32_e32 v1, v0
	s_mov_b32 s21, s12
	s_mov_b32 s23, s12
	v_mov_b32_e32 v3, v6
	v_mov_b32_e32 v5, v4
	v_and_b32_e32 v14, 0x7ffffffe, v7
	s_mov_b64 s[10:11], 0
	v_mov_b32_e32 v15, s12
	v_mov_b32_e32 v16, s12
	s_waitcnt lgkmcnt(0)
	v_mov_b32_e32 v17, s17
.LBB18_4:                               ; =>This Inner Loop Header: Depth=1
	v_add_u32_e32 v19, s19, v1
	v_add_u32_e32 v18, s22, v0
	v_cmp_le_i32_e32 vcc, s23, v19
	v_cndmask_b32_e32 v20, 0, v15, vcc
	v_cmp_le_i32_e32 vcc, s21, v18
	v_cndmask_b32_e32 v21, 0, v16, vcc
	v_sub_u32_e32 v18, v18, v21
	v_sub_u32_e32 v19, v19, v20
	v_add3_u32 v18, v6, v21, v18
	v_add3_u32 v19, v3, v20, v19
	v_lshl_or_b32 v18, v18, 6, v4
	v_lshl_or_b32 v20, v19, 6, v5
	v_ashrrev_i32_e32 v19, 31, v18
	v_lshlrev_b64 v[18:19], 1, v[18:19]
	v_ashrrev_i32_e32 v21, 31, v20
	v_add_co_u32_e32 v18, vcc, s16, v18
	v_lshlrev_b64 v[20:21], 1, v[20:21]
	v_addc_co_u32_e32 v19, vcc, v17, v19, vcc
	v_add_co_u32_e32 v20, vcc, s16, v20
	v_addc_co_u32_e32 v21, vcc, v17, v21, vcc
	global_load_dword v22, v[18:19], off
	global_load_dword v23, v[20:21], off
	v_add_u32_e32 v14, -2, v14
	v_lshl_add_u32 v18, s22, 7, v13
	v_lshl_add_u32 v19, s19, 7, v13
	s_add_i32 s22, s22, 2
	s_add_i32 s19, s19, 2
	v_cmp_eq_u32_e32 vcc, 0, v14
	s_or_b64 s[10:11], vcc, s[10:11]
	s_waitcnt vmcnt(1)
	ds_write_b32 v18, v22
	s_waitcnt vmcnt(0)
	ds_write_b32 v19, v23
	s_andn2_b64 exec, exec, s[10:11]
	s_cbranch_execnz .LBB18_4
; %bb.5:
	s_or_b64 exec, exec, s[10:11]
	v_and_b32_e32 v1, 0x7ffffffe, v7
	v_cmp_ne_u32_e32 vcc, v7, v1
	s_orn2_b64 s[10:11], vcc, exec
.LBB18_6:
	s_or_b64 exec, exec, s[8:9]
	s_and_b64 exec, exec, s[10:11]
	s_cbranch_execz .LBB18_9
; %bb.7:
	s_add_i32 s8, s14, s13
	s_add_i32 s8, s8, s12
	s_lshl_b32 s9, s20, 3
	s_sub_i32 s8, s8, s9
	v_mul_lo_u32 v3, s8, v2
	v_lshlrev_b32_e32 v5, 3, v9
	v_add3_u32 v3, v1, v3, v5
	v_lshl_or_b32 v4, v3, 6, v4
	v_lshlrev_b32_e32 v3, 7, v1
	v_add3_u32 v3, s2, v11, v3
	v_add3_u32 v3, v3, v10, 0
	s_mov_b64 s[8:9], 0
	s_waitcnt lgkmcnt(0)
	v_mov_b32_e32 v6, s17
.LBB18_8:                               ; =>This Inner Loop Header: Depth=1
	v_ashrrev_i32_e32 v5, 31, v4
	v_lshlrev_b64 v[14:15], 1, v[4:5]
	v_add_co_u32_e32 v14, vcc, s16, v14
	v_addc_co_u32_e32 v15, vcc, v6, v15, vcc
	global_load_dword v5, v[14:15], off
	v_add_u32_e32 v1, 1, v1
	v_cmp_ge_i32_e32 vcc, v1, v7
	v_add_u32_e32 v4, 64, v4
	s_or_b64 s[8:9], vcc, s[8:9]
	s_waitcnt vmcnt(0)
	ds_write_b32 v3, v5
	v_add_u32_e32 v3, 0x80, v3
	s_andn2_b64 exec, exec, s[8:9]
	s_cbranch_execnz .LBB18_8
.LBB18_9:
	s_or_b64 exec, exec, s[6:7]
	s_add_i32 s18, s18, 15
	s_load_dwordx8 s[4:11], s[4:5], 0x18
	s_ashr_i32 s19, s18, 31
	s_lshr_b32 s19, s19, 28
	s_add_i32 s18, s18, s19
	s_ashr_i32 s21, s18, 4
	v_mul_lo_u32 v1, v12, s3
	v_cmp_gt_i32_e32 vcc, s21, v8
	v_lshlrev_b32_e32 v12, 2, v1
	s_and_saveexec_b64 s[18:19], vcc
	s_cbranch_execz .LBB18_12
; %bb.10:
	v_ashrrev_i32_e32 v3, 31, v2
	v_lshlrev_b64 v[4:5], 3, v[2:3]
	s_waitcnt lgkmcnt(0)
	v_mov_b32_e32 v1, s11
	v_add_co_u32_e32 v4, vcc, s10, v4
	v_addc_co_u32_e32 v5, vcc, v1, v5, vcc
	global_load_dwordx2 v[4:5], v[4:5], off
	s_ashr_i32 s22, s3, 31
	v_lshlrev_b32_e32 v3, 4, v8
	v_add3_u32 v1, v12, v3, 0
	v_mov_b32_e32 v6, s9
	s_mov_b64 s[10:11], 0
	s_waitcnt vmcnt(0)
	v_mul_lo_u32 v13, v5, s3
	v_mul_lo_u32 v14, v4, s22
	v_mad_u64_u32 v[4:5], s[22:23], v4, s3, 0
	v_add3_u32 v5, v5, v14, v13
	v_lshlrev_b64 v[4:5], 2, v[4:5]
	v_add_co_u32_e32 v3, vcc, v4, v3
	v_addc_co_u32_e32 v5, vcc, 0, v5, vcc
	v_add_co_u32_e32 v4, vcc, s8, v3
	v_addc_co_u32_e32 v5, vcc, v6, v5, vcc
	v_mov_b32_e32 v3, v8
.LBB18_11:                              ; =>This Inner Loop Header: Depth=1
	global_load_dwordx4 v[14:17], v[4:5], off
	v_add_co_u32_e32 v4, vcc, 0x200, v4
	v_add_u32_e32 v3, 32, v3
	v_addc_co_u32_e32 v5, vcc, 0, v5, vcc
	v_cmp_le_i32_e32 vcc, s21, v3
	s_or_b64 s[10:11], vcc, s[10:11]
	s_waitcnt vmcnt(0)
	ds_write_b128 v1, v[14:17]
	v_add_u32_e32 v1, 0x200, v1
	s_andn2_b64 exec, exec, s[10:11]
	s_cbranch_execnz .LBB18_11
.LBB18_12:
	s_or_b64 exec, exec, s[18:19]
	s_and_b64 exec, exec, s[0:1]
	s_cbranch_execz .LBB18_17
; %bb.13:
	s_waitcnt lgkmcnt(0)
	global_load_dword v1, v10, s[4:5]
	global_load_dword v6, v10, s[6:7]
	v_mbcnt_lo_u32_b32 v3, -1, 0
	s_lshr_b32 s0, s3, 31
	s_add_i32 s1, s14, s13
	v_add_u32_e32 v5, s2, v11
	v_mbcnt_hi_u32_b32 v3, -1, v3
	v_add3_u32 v12, 0, v12, v10
	s_lshl_b32 s8, s20, 3
	s_add_i32 s0, s3, s0
	s_add_i32 s1, s1, s12
	v_add3_u32 v10, v5, v10, 0
	v_and_b32_e32 v5, 0x60, v3
	s_ashr_i32 s0, s0, 1
	v_xor_b32_e32 v13, 16, v3
	s_sub_i32 s1, s1, s8
	v_add_u32_e32 v5, 32, v5
	v_xor_b32_e32 v14, 8, v3
	v_cmp_gt_i32_e32 vcc, s0, v8
	v_lshl_add_u32 v11, s0, 2, v12
	v_mul_lo_u32 v2, s1, v2
	v_cmp_lt_i32_e64 s[0:1], v13, v5
	v_xor_b32_e32 v15, 4, v3
	v_cndmask_b32_e64 v13, v3, v13, s[0:1]
	v_cmp_lt_i32_e64 s[0:1], v14, v5
	v_xor_b32_e32 v16, 2, v3
	v_cndmask_b32_e64 v14, v3, v14, s[0:1]
	;; [unrolled: 3-line block ×3, first 2 shown]
	v_cmp_lt_i32_e64 s[0:1], v16, v5
	v_lshlrev_b32_e32 v4, 9, v9
	v_cndmask_b32_e64 v16, v3, v16, s[0:1]
	v_cmp_lt_i32_e64 s[0:1], v17, v5
	v_cndmask_b32_e64 v3, v3, v17, s[0:1]
	v_lshl_add_u32 v2, v2, 6, v4
	s_mov_b32 s6, 0
	s_mov_b64 s[4:5], 0
	v_mov_b32_e32 v9, s15
	s_mov_b32 s7, 0x800000
	v_lshlrev_b32_e32 v13, 2, v13
	v_lshlrev_b32_e32 v14, 2, v14
	;; [unrolled: 1-line block ×5, first 2 shown]
	v_lshl_or_b32 v2, v8, 1, v2
	v_mov_b32_e32 v19, s17
	s_waitcnt vmcnt(1)
	v_lshrrev_b32_e32 v8, 16, v1
	s_waitcnt vmcnt(0)
	v_lshrrev_b32_e32 v18, 16, v6
	s_branch .LBB18_15
.LBB18_14:                              ;   in Loop: Header=BB18_15 Depth=1
	s_or_b64 exec, exec, s[0:1]
	v_ashrrev_i32_e32 v3, 31, v2
	v_cvt_f16_f32_e32 v20, v4
	v_cvt_f16_f32_e32 v21, v5
	v_lshlrev_b64 v[4:5], 1, v[2:3]
	v_add_co_u32_e64 v4, s[0:1], s16, v4
	v_addc_co_u32_e64 v5, s[0:1], v19, v5, s[0:1]
	s_add_i32 s6, s6, 1
	v_cmp_ge_i32_e64 s[0:1], s6, v7
	v_pack_b32_f16 v3, v20, v21
	v_add_u32_e32 v2, 64, v2
	s_or_b64 s[4:5], s[0:1], s[4:5]
	v_add_u32_e32 v10, 0x80, v10
	global_store_dword v[4:5], v3, off
	s_andn2_b64 exec, exec, s[4:5]
	s_cbranch_execz .LBB18_17
.LBB18_15:                              ; =>This Inner Loop Header: Depth=1
	ds_read_b32 v3, v10
	v_mov_b32_e32 v22, v9
	s_waitcnt lgkmcnt(0)
	v_cvt_f32_f16_sdwa v5, v3 dst_sel:DWORD dst_unused:UNUSED_PAD src0_sel:WORD_1
	v_cvt_f32_f16_e32 v4, v3
	v_pk_mul_f32 v[20:21], v[4:5], v[4:5]
	v_add_f32_e32 v3, v21, v20
	ds_bpermute_b32 v20, v13, v3
	v_add_u32_e32 v21, s6, v0
	v_cmp_gt_i32_e64 s[0:1], s12, v21
	v_cndmask_b32_e64 v21, v18, v8, s[0:1]
	v_cvt_f32_f16_e32 v21, v21
	s_waitcnt lgkmcnt(0)
	v_add_f32_e32 v3, v3, v20
	ds_bpermute_b32 v20, v14, v3
	s_waitcnt lgkmcnt(0)
	v_add_f32_e32 v3, v3, v20
	ds_bpermute_b32 v20, v15, v3
	;; [unrolled: 3-line block ×4, first 2 shown]
	s_waitcnt lgkmcnt(0)
	v_add_f32_e32 v3, v3, v20
	v_fmac_f32_e32 v22, 0x3c800000, v3
	v_mul_f32_e32 v3, 0x4b800000, v22
	v_cmp_gt_f32_e64 s[2:3], s7, v22
	v_cndmask_b32_e64 v3, v22, v3, s[2:3]
	v_rsq_f32_e32 v3, v3
	v_cndmask_b32_e64 v20, v6, v1, s[0:1]
	v_cvt_f32_f16_e32 v20, v20
	v_mul_f32_e32 v22, 0x45800000, v3
	v_cndmask_b32_e64 v22, v3, v22, s[2:3]
	v_pk_mul_f32 v[20:21], v[22:23], v[20:21] op_sel_hi:[0,1]
	v_pk_mul_f32 v[4:5], v[20:21], v[4:5]
	s_and_saveexec_b64 s[0:1], vcc
	s_cbranch_execz .LBB18_14
; %bb.16:                               ;   in Loop: Header=BB18_15 Depth=1
	ds_read_b32 v20, v11
	ds_read_b32 v21, v12
	s_waitcnt lgkmcnt(1)
	v_mul_f32_e32 v3, v5, v20
	s_waitcnt lgkmcnt(0)
	v_pk_mul_f32 v[22:23], v[4:5], v[20:21]
	v_fma_f32 v24, v4, v21, -v3
	v_mov_b32_e32 v3, v22
	v_pk_fma_f32 v[4:5], v[4:5], v[20:21], v[2:3]
	v_mov_b32_e32 v25, v5
	v_pk_mov_b32 v[4:5], v[24:25], v[24:25] op_sel:[0,1]
	s_branch .LBB18_14
.LBB18_17:
	s_endpgm
	.section	.rodata,"a",@progbits
	.p2align	6, 0x0
	.amdhsa_kernel _ZN12tensorrt_llm7kernels32fusedQKNormRopeKernelNTokenHeadsIN3c104HalfEfLi64ELb1ELi8EEEvPviiifPKvS6_S6_PKlii
		.amdhsa_group_segment_fixed_size 0
		.amdhsa_private_segment_fixed_size 0
		.amdhsa_kernarg_size 320
		.amdhsa_user_sgpr_count 6
		.amdhsa_user_sgpr_private_segment_buffer 1
		.amdhsa_user_sgpr_dispatch_ptr 0
		.amdhsa_user_sgpr_queue_ptr 0
		.amdhsa_user_sgpr_kernarg_segment_ptr 1
		.amdhsa_user_sgpr_dispatch_id 0
		.amdhsa_user_sgpr_flat_scratch_init 0
		.amdhsa_user_sgpr_kernarg_preload_length 0
		.amdhsa_user_sgpr_kernarg_preload_offset 0
		.amdhsa_user_sgpr_private_segment_size 0
		.amdhsa_uses_dynamic_stack 0
		.amdhsa_system_sgpr_private_segment_wavefront_offset 0
		.amdhsa_system_sgpr_workgroup_id_x 1
		.amdhsa_system_sgpr_workgroup_id_y 0
		.amdhsa_system_sgpr_workgroup_id_z 0
		.amdhsa_system_sgpr_workgroup_info 0
		.amdhsa_system_vgpr_workitem_id 0
		.amdhsa_next_free_vgpr 26
		.amdhsa_next_free_sgpr 24
		.amdhsa_accum_offset 28
		.amdhsa_reserve_vcc 1
		.amdhsa_reserve_flat_scratch 0
		.amdhsa_float_round_mode_32 0
		.amdhsa_float_round_mode_16_64 0
		.amdhsa_float_denorm_mode_32 3
		.amdhsa_float_denorm_mode_16_64 3
		.amdhsa_dx10_clamp 1
		.amdhsa_ieee_mode 1
		.amdhsa_fp16_overflow 0
		.amdhsa_tg_split 0
		.amdhsa_exception_fp_ieee_invalid_op 0
		.amdhsa_exception_fp_denorm_src 0
		.amdhsa_exception_fp_ieee_div_zero 0
		.amdhsa_exception_fp_ieee_overflow 0
		.amdhsa_exception_fp_ieee_underflow 0
		.amdhsa_exception_fp_ieee_inexact 0
		.amdhsa_exception_int_div_zero 0
	.end_amdhsa_kernel
	.section	.text._ZN12tensorrt_llm7kernels32fusedQKNormRopeKernelNTokenHeadsIN3c104HalfEfLi64ELb1ELi8EEEvPviiifPKvS6_S6_PKlii,"axG",@progbits,_ZN12tensorrt_llm7kernels32fusedQKNormRopeKernelNTokenHeadsIN3c104HalfEfLi64ELb1ELi8EEEvPviiifPKvS6_S6_PKlii,comdat
.Lfunc_end18:
	.size	_ZN12tensorrt_llm7kernels32fusedQKNormRopeKernelNTokenHeadsIN3c104HalfEfLi64ELb1ELi8EEEvPviiifPKvS6_S6_PKlii, .Lfunc_end18-_ZN12tensorrt_llm7kernels32fusedQKNormRopeKernelNTokenHeadsIN3c104HalfEfLi64ELb1ELi8EEEvPviiifPKvS6_S6_PKlii
                                        ; -- End function
	.section	.AMDGPU.csdata,"",@progbits
; Kernel info:
; codeLenInByte = 1708
; NumSgprs: 28
; NumVgprs: 26
; NumAgprs: 0
; TotalNumVgprs: 26
; ScratchSize: 0
; MemoryBound: 0
; FloatMode: 240
; IeeeMode: 1
; LDSByteSize: 0 bytes/workgroup (compile time only)
; SGPRBlocks: 3
; VGPRBlocks: 3
; NumSGPRsForWavesPerEU: 28
; NumVGPRsForWavesPerEU: 26
; AccumOffset: 28
; Occupancy: 8
; WaveLimiterHint : 0
; COMPUTE_PGM_RSRC2:SCRATCH_EN: 0
; COMPUTE_PGM_RSRC2:USER_SGPR: 6
; COMPUTE_PGM_RSRC2:TRAP_HANDLER: 0
; COMPUTE_PGM_RSRC2:TGID_X_EN: 1
; COMPUTE_PGM_RSRC2:TGID_Y_EN: 0
; COMPUTE_PGM_RSRC2:TGID_Z_EN: 0
; COMPUTE_PGM_RSRC2:TIDIG_COMP_CNT: 0
; COMPUTE_PGM_RSRC3_GFX90A:ACCUM_OFFSET: 6
; COMPUTE_PGM_RSRC3_GFX90A:TG_SPLIT: 0
	.section	.text._ZN12tensorrt_llm7kernels32fusedQKNormRopeKernelNTokenHeadsIN3c104HalfEfLi64ELb0ELi8EEEvPviiifPKvS6_S6_PKlii,"axG",@progbits,_ZN12tensorrt_llm7kernels32fusedQKNormRopeKernelNTokenHeadsIN3c104HalfEfLi64ELb0ELi8EEEvPviiifPKvS6_S6_PKlii,comdat
	.protected	_ZN12tensorrt_llm7kernels32fusedQKNormRopeKernelNTokenHeadsIN3c104HalfEfLi64ELb0ELi8EEEvPviiifPKvS6_S6_PKlii ; -- Begin function _ZN12tensorrt_llm7kernels32fusedQKNormRopeKernelNTokenHeadsIN3c104HalfEfLi64ELb0ELi8EEEvPviiifPKvS6_S6_PKlii
	.globl	_ZN12tensorrt_llm7kernels32fusedQKNormRopeKernelNTokenHeadsIN3c104HalfEfLi64ELb0ELi8EEEvPviiifPKvS6_S6_PKlii
	.p2align	8
	.type	_ZN12tensorrt_llm7kernels32fusedQKNormRopeKernelNTokenHeadsIN3c104HalfEfLi64ELb0ELi8EEEvPviiifPKvS6_S6_PKlii,@function
_ZN12tensorrt_llm7kernels32fusedQKNormRopeKernelNTokenHeadsIN3c104HalfEfLi64ELb0ELi8EEEvPviiifPKvS6_S6_PKlii: ; @_ZN12tensorrt_llm7kernels32fusedQKNormRopeKernelNTokenHeadsIN3c104HalfEfLi64ELb0ELi8EEEvPviiifPKvS6_S6_PKlii
; %bb.0:
	s_load_dwordx4 s[12:15], s[4:5], 0x8
	s_load_dwordx2 s[2:3], s[4:5], 0x38
	s_load_dword s0, s[4:5], 0x4c
	v_lshrrev_b32_e32 v12, 5, v0
	s_waitcnt lgkmcnt(0)
	s_add_i32 s19, s13, s12
	s_add_i32 s1, s19, 7
	s_ashr_i32 s7, s1, 31
	s_lshr_b32 s7, s7, 29
	s_add_i32 s1, s1, s7
	s_ashr_i32 s20, s1, 3
	s_abs_i32 s1, s20
	v_cvt_f32_u32_e32 v1, s1
	s_bfe_u32 s0, s0, 0xb0005
	s_mul_i32 s6, s6, s0
	v_add_u32_e32 v8, s6, v12
	v_rcp_iflag_f32_e32 v1, v1
	s_sub_i32 s6, 0, s1
	v_sub_u32_e32 v2, 0, v8
	v_max_i32_e32 v2, v8, v2
	v_mul_f32_e32 v1, 0x4f7ffffe, v1
	v_cvt_u32_f32_e32 v1, v1
	v_xor_b32_e32 v3, s20, v8
	v_ashrrev_i32_e32 v3, 31, v3
	v_mul_lo_u32 v4, s6, v1
	v_mul_hi_u32 v4, v1, v4
	v_add_u32_e32 v1, v1, v4
	v_mul_hi_u32 v1, v2, v1
	v_mul_lo_u32 v4, v1, s1
	v_sub_u32_e32 v2, v2, v4
	v_add_u32_e32 v4, 1, v1
	v_cmp_le_u32_e32 vcc, s1, v2
	v_cndmask_b32_e32 v1, v1, v4, vcc
	v_subrev_u32_e32 v4, s1, v2
	v_cndmask_b32_e32 v2, v2, v4, vcc
	v_add_u32_e32 v4, 1, v1
	v_cmp_le_u32_e32 vcc, s1, v2
	v_cndmask_b32_e32 v1, v1, v4, vcc
	v_xor_b32_e32 v1, v1, v3
	v_sub_u32_e32 v2, v1, v3
	v_cmp_gt_i32_e32 vcc, s2, v2
	s_and_saveexec_b64 s[6:7], vcc
	s_cbranch_execz .LBB19_17
; %bb.1:
	v_and_b32_e32 v9, 31, v0
	v_mul_lo_u32 v0, v2, s20
	v_sub_u32_e32 v0, v8, v0
	s_load_dwordx2 s[16:17], s[4:5], 0x0
	v_lshlrev_b32_e32 v0, 3, v0
	v_add_u32_e32 v1, 8, v0
	v_sub_u32_e32 v3, s19, v0
	v_cmp_lt_i32_e32 vcc, s19, v1
	v_cndmask_b32_e32 v7, 8, v3, vcc
	s_lshl_b32 s2, s3, 2
	s_mul_i32 s21, s2, s0
	v_lshlrev_b32_e32 v10, 10, v12
	v_cmp_lt_i32_e64 s[0:1], 0, v7
	v_lshlrev_b32_e32 v11, 2, v9
	s_and_saveexec_b64 s[6:7], s[0:1]
	s_cbranch_execz .LBB19_9
; %bb.2:
	s_mov_b32 s18, 1
	v_lshlrev_b32_e32 v4, 1, v9
	v_cmp_ne_u32_e32 vcc, 1, v7
	s_mov_b64 s[10:11], -1
	v_mov_b32_e32 v1, 0
	s_and_saveexec_b64 s[8:9], vcc
	s_cbranch_execz .LBB19_6
; %bb.3:
	s_add_i32 s19, s19, s14
	s_add_i32 s10, s21, 0
	v_mul_lo_u32 v6, v2, s19
	s_mov_b32 s22, 0
	v_add3_u32 v13, s10, v10, v11
	v_mov_b32_e32 v1, v0
	s_mov_b32 s19, s12
	s_mov_b32 s23, s12
	v_mov_b32_e32 v3, v6
	v_mov_b32_e32 v5, v4
	v_and_b32_e32 v14, 0x7ffffffe, v7
	s_mov_b64 s[10:11], 0
	v_mov_b32_e32 v15, s12
	v_mov_b32_e32 v16, s12
	s_waitcnt lgkmcnt(0)
	v_mov_b32_e32 v17, s17
.LBB19_4:                               ; =>This Inner Loop Header: Depth=1
	v_add_u32_e32 v19, s18, v1
	v_add_u32_e32 v18, s22, v0
	v_cmp_le_i32_e32 vcc, s23, v19
	v_cndmask_b32_e32 v20, 0, v15, vcc
	v_cmp_le_i32_e32 vcc, s19, v18
	v_cndmask_b32_e32 v21, 0, v16, vcc
	v_sub_u32_e32 v18, v18, v21
	v_sub_u32_e32 v19, v19, v20
	v_add3_u32 v18, v6, v21, v18
	v_add3_u32 v19, v3, v20, v19
	v_lshl_or_b32 v18, v18, 6, v4
	v_lshl_or_b32 v20, v19, 6, v5
	v_ashrrev_i32_e32 v19, 31, v18
	v_lshlrev_b64 v[18:19], 1, v[18:19]
	v_ashrrev_i32_e32 v21, 31, v20
	v_add_co_u32_e32 v18, vcc, s16, v18
	v_lshlrev_b64 v[20:21], 1, v[20:21]
	v_addc_co_u32_e32 v19, vcc, v17, v19, vcc
	v_add_co_u32_e32 v20, vcc, s16, v20
	v_addc_co_u32_e32 v21, vcc, v17, v21, vcc
	global_load_dword v22, v[18:19], off
	global_load_dword v23, v[20:21], off
	v_add_u32_e32 v14, -2, v14
	v_lshl_add_u32 v18, s22, 7, v13
	v_lshl_add_u32 v19, s18, 7, v13
	s_add_i32 s22, s22, 2
	s_add_i32 s18, s18, 2
	v_cmp_eq_u32_e32 vcc, 0, v14
	s_or_b64 s[10:11], vcc, s[10:11]
	s_waitcnt vmcnt(1)
	ds_write_b32 v18, v22
	s_waitcnt vmcnt(0)
	ds_write_b32 v19, v23
	s_andn2_b64 exec, exec, s[10:11]
	s_cbranch_execnz .LBB19_4
; %bb.5:
	s_or_b64 exec, exec, s[10:11]
	v_and_b32_e32 v1, 0x7ffffffe, v7
	v_cmp_ne_u32_e32 vcc, v7, v1
	s_orn2_b64 s[10:11], vcc, exec
.LBB19_6:
	s_or_b64 exec, exec, s[8:9]
	s_and_b64 exec, exec, s[10:11]
	s_cbranch_execz .LBB19_9
; %bb.7:
	s_add_i32 s8, s14, s13
	s_add_i32 s8, s8, s12
	s_lshl_b32 s9, s20, 3
	s_sub_i32 s8, s8, s9
	v_mul_lo_u32 v3, s8, v2
	v_lshlrev_b32_e32 v5, 3, v8
	v_add3_u32 v3, v1, v3, v5
	v_lshl_or_b32 v4, v3, 6, v4
	v_lshlrev_b32_e32 v3, 7, v1
	v_add3_u32 v3, s21, v10, v3
	v_add3_u32 v3, v3, v11, 0
	s_mov_b64 s[8:9], 0
	s_waitcnt lgkmcnt(0)
	v_mov_b32_e32 v6, s17
.LBB19_8:                               ; =>This Inner Loop Header: Depth=1
	v_ashrrev_i32_e32 v5, 31, v4
	v_lshlrev_b64 v[14:15], 1, v[4:5]
	v_add_co_u32_e32 v14, vcc, s16, v14
	v_addc_co_u32_e32 v15, vcc, v6, v15, vcc
	global_load_dword v5, v[14:15], off
	v_add_u32_e32 v1, 1, v1
	v_cmp_ge_i32_e32 vcc, v1, v7
	v_add_u32_e32 v4, 64, v4
	s_or_b64 s[8:9], vcc, s[8:9]
	s_waitcnt vmcnt(0)
	ds_write_b32 v3, v5
	v_add_u32_e32 v3, 0x80, v3
	s_andn2_b64 exec, exec, s[8:9]
	s_cbranch_execnz .LBB19_8
.LBB19_9:
	s_or_b64 exec, exec, s[6:7]
	s_add_i32 s2, s2, 15
	s_load_dwordx8 s[4:11], s[4:5], 0x18
	s_ashr_i32 s18, s2, 31
	s_lshr_b32 s18, s18, 28
	s_add_i32 s2, s2, s18
	s_ashr_i32 s2, s2, 4
	v_cmp_gt_i32_e32 vcc, s2, v9
	v_mul_lo_u32 v6, v12, s3
	s_and_saveexec_b64 s[18:19], vcc
	s_cbranch_execz .LBB19_12
; %bb.10:
	v_ashrrev_i32_e32 v3, 31, v2
	v_lshlrev_b64 v[4:5], 3, v[2:3]
	s_waitcnt lgkmcnt(0)
	v_mov_b32_e32 v1, s11
	v_add_co_u32_e32 v4, vcc, s10, v4
	v_addc_co_u32_e32 v5, vcc, v1, v5, vcc
	global_load_dwordx2 v[4:5], v[4:5], off
	s_ashr_i32 s22, s3, 31
	v_lshlrev_b32_e32 v1, 2, v6
	v_lshlrev_b32_e32 v3, 4, v9
	v_add3_u32 v1, v1, v3, 0
	v_mov_b32_e32 v12, s9
	s_mov_b64 s[10:11], 0
	s_waitcnt vmcnt(0)
	v_mul_lo_u32 v13, v5, s3
	v_mul_lo_u32 v14, v4, s22
	v_mad_u64_u32 v[4:5], s[22:23], v4, s3, 0
	v_add3_u32 v5, v5, v14, v13
	v_lshlrev_b64 v[4:5], 2, v[4:5]
	v_add_co_u32_e32 v3, vcc, v4, v3
	v_addc_co_u32_e32 v5, vcc, 0, v5, vcc
	v_add_co_u32_e32 v4, vcc, s8, v3
	v_addc_co_u32_e32 v5, vcc, v12, v5, vcc
	v_mov_b32_e32 v3, v9
.LBB19_11:                              ; =>This Inner Loop Header: Depth=1
	global_load_dwordx4 v[12:15], v[4:5], off
	v_add_co_u32_e32 v4, vcc, 0x200, v4
	v_add_u32_e32 v3, 32, v3
	v_addc_co_u32_e32 v5, vcc, 0, v5, vcc
	v_cmp_le_i32_e32 vcc, s2, v3
	s_or_b64 s[10:11], vcc, s[10:11]
	s_waitcnt vmcnt(0)
	ds_write_b128 v1, v[12:15]
	v_add_u32_e32 v1, 0x200, v1
	s_andn2_b64 exec, exec, s[10:11]
	s_cbranch_execnz .LBB19_11
.LBB19_12:
	s_or_b64 exec, exec, s[18:19]
	s_and_b64 exec, exec, s[0:1]
	s_cbranch_execz .LBB19_17
; %bb.13:
	s_waitcnt lgkmcnt(0)
	global_load_dword v1, v11, s[4:5]
	global_load_dword v4, v11, s[6:7]
	v_mbcnt_lo_u32_b32 v5, -1, 0
	s_abs_i32 s4, s3
	s_lshr_b32 s0, s3, 31
	v_mbcnt_hi_u32_b32 v15, -1, v5
	v_cvt_f32_u32_e32 v12, s4
	s_add_i32 s0, s3, s0
	v_and_b32_e32 v5, 0x60, v15
	v_lshl_add_u32 v3, v6, 2, 0
	s_add_i32 s1, s14, s13
	s_ashr_i32 s0, s0, 1
	v_xor_b32_e32 v6, 16, v15
	v_add_u32_e32 v5, 32, v5
	s_add_i32 s6, s1, s12
	v_xor_b32_e32 v13, 8, v15
	v_lshl_add_u32 v20, s0, 2, v3
	v_cmp_gt_i32_e32 vcc, s0, v9
	s_lshr_b32 s2, s0, 1
	v_cmp_lt_i32_e64 s[0:1], v6, v5
	v_xor_b32_e32 v14, 4, v15
	v_cndmask_b32_e64 v6, v15, v6, s[0:1]
	v_cmp_lt_i32_e64 s[0:1], v13, v5
	v_rcp_iflag_f32_e32 v22, v12
	v_xor_b32_e32 v17, 2, v15
	v_cndmask_b32_e64 v13, v15, v13, s[0:1]
	v_cmp_lt_i32_e64 s[0:1], v14, v5
	v_cndmask_b32_e64 v14, v15, v14, s[0:1]
	v_cmp_lt_i32_e64 s[0:1], v17, v5
	v_xor_b32_e32 v18, 1, v15
	v_cndmask_b32_e64 v17, v15, v17, s[0:1]
	v_cmp_lt_i32_e64 s[0:1], v18, v5
	v_lshlrev_b32_e32 v5, 2, v6
	v_lshlrev_b32_e32 v6, 2, v13
	;; [unrolled: 1-line block ×3, first 2 shown]
	v_mul_f32_e32 v17, 0x4f7ffffe, v22
	v_cvt_u32_f32_e32 v17, v17
	s_sub_i32 s5, 0, s4
	v_cndmask_b32_e64 v18, v15, v18, s[0:1]
	v_lshlrev_b32_e32 v12, 2, v14
	v_lshlrev_b32_e32 v14, 2, v18
	v_mul_lo_u32 v18, s5, v17
	v_mul_hi_u32 v18, v17, v18
	v_add_u32_e32 v17, v17, v18
	v_or_b32_e32 v16, 2, v11
	v_and_b32_e32 v19, 64, v15
	v_mul_hi_u32 v18, v11, v17
	v_add_u32_e32 v19, 64, v19
	v_xor_b32_e32 v21, s2, v15
	v_mul_hi_u32 v17, v16, v17
	v_mul_lo_u32 v18, v18, s4
	v_cmp_gt_u32_e64 s[0:1], s2, v9
	v_cmp_lt_i32_e64 s[2:3], v21, v19
	v_mul_lo_u32 v17, v17, s4
	v_sub_u32_e32 v18, v11, v18
	v_cndmask_b32_e64 v15, v15, v21, s[2:3]
	v_sub_u32_e32 v16, v16, v17
	v_subrev_u32_e32 v17, s4, v18
	v_cmp_le_u32_e64 s[2:3], s4, v18
	v_subrev_u32_e32 v19, s4, v16
	v_cndmask_b32_e64 v17, v18, v17, s[2:3]
	v_cmp_le_u32_e64 s[2:3], s4, v16
	v_cndmask_b32_e64 v16, v16, v19, s[2:3]
	v_subrev_u32_e32 v18, s4, v17
	v_cmp_le_u32_e64 s[2:3], s4, v17
	v_subrev_u32_e32 v19, s4, v16
	v_cndmask_b32_e64 v17, v17, v18, s[2:3]
	v_cmp_le_u32_e64 s[2:3], s4, v16
	v_cndmask_b32_e64 v16, v16, v19, s[2:3]
	v_lshlrev_b32_e32 v17, 1, v17
	v_lshlrev_b32_e32 v16, 1, v16
	s_lshl_b32 s2, s20, 3
	v_and_b32_e32 v17, -4, v17
	v_and_b32_e32 v19, -4, v16
	s_sub_i32 s2, s6, s2
	v_add_u32_e32 v16, v3, v17
	v_add_u32_e32 v18, v3, v19
	v_mul_lo_u32 v2, s2, v2
	v_lshlrev_b32_e32 v3, 9, v8
	v_lshl_add_u32 v2, v2, 6, v3
	v_add_u32_e32 v3, s21, v10
	s_mov_b32 s8, 0
	v_lshlrev_b32_e32 v15, 2, v15
	v_add_u32_e32 v17, v20, v17
	v_add_u32_e32 v19, v20, v19
	s_waitcnt vmcnt(1)
	v_lshrrev_b32_e32 v20, 16, v1
	s_waitcnt vmcnt(0)
	v_lshrrev_b32_e32 v21, 16, v4
	v_lshl_or_b32 v2, v9, 1, v2
	v_add3_u32 v8, v3, v11, 0
	s_mov_b64 s[6:7], 0
	v_mov_b32_e32 v9, s15
	s_mov_b32 s9, 0x800000
	v_mov_b32_e32 v10, s17
	s_branch .LBB19_15
.LBB19_14:                              ;   in Loop: Header=BB19_15 Depth=1
	s_or_b64 exec, exec, s[2:3]
	v_cvt_f16_f32_e32 v24, v3
	v_ashrrev_i32_e32 v3, 31, v2
	v_cvt_f16_f32_e32 v11, v11
	v_lshlrev_b64 v[22:23], 1, v[2:3]
	v_add_co_u32_e64 v22, s[2:3], s16, v22
	v_addc_co_u32_e64 v23, s[2:3], v10, v23, s[2:3]
	s_add_i32 s8, s8, 1
	v_cmp_ge_i32_e64 s[2:3], s8, v7
	v_pack_b32_f16 v3, v11, v24
	v_add_u32_e32 v2, 64, v2
	s_or_b64 s[6:7], s[2:3], s[6:7]
	v_add_u32_e32 v8, 0x80, v8
	global_store_dword v[22:23], v3, off
	s_andn2_b64 exec, exec, s[6:7]
	s_cbranch_execz .LBB19_17
.LBB19_15:                              ; =>This Inner Loop Header: Depth=1
	ds_read_b32 v3, v8
	s_waitcnt lgkmcnt(0)
	v_cvt_f32_f16_sdwa v22, v3 dst_sel:DWORD dst_unused:UNUSED_PAD src0_sel:WORD_1
	v_cvt_f32_f16_e32 v23, v3
	v_pk_mul_f32 v[24:25], v[22:23], v[22:23]
	v_add_f32_e32 v3, v24, v25
	ds_bpermute_b32 v11, v5, v3
	v_mov_b32_e32 v25, v9
	v_add_u32_e32 v24, s8, v0
	v_cmp_gt_i32_e64 s[2:3], s12, v24
	v_cndmask_b32_e64 v24, v4, v1, s[2:3]
	s_waitcnt lgkmcnt(0)
	v_add_f32_e32 v3, v3, v11
	ds_bpermute_b32 v11, v6, v3
	s_waitcnt lgkmcnt(0)
	v_add_f32_e32 v3, v3, v11
	ds_bpermute_b32 v11, v12, v3
	;; [unrolled: 3-line block ×4, first 2 shown]
	s_waitcnt lgkmcnt(0)
	v_add_f32_e32 v3, v3, v11
	v_fmac_f32_e32 v25, 0x3c800000, v3
	v_mul_f32_e32 v3, 0x4b800000, v25
	v_cmp_gt_f32_e64 s[4:5], s9, v25
	v_cndmask_b32_e64 v3, v25, v3, s[4:5]
	v_rsq_f32_e32 v3, v3
	v_cvt_f32_f16_e32 v11, v24
	v_cndmask_b32_e64 v24, v21, v20, s[2:3]
	v_cvt_f32_f16_e32 v24, v24
	v_mul_f32_e32 v25, 0x45800000, v3
	v_cndmask_b32_e64 v3, v3, v25, s[4:5]
	v_mul_f32_e32 v11, v3, v11
	v_mul_f32_e32 v3, v3, v24
	v_mul_f32_e32 v11, v11, v23
	v_mul_f32_e32 v3, v3, v22
	s_and_saveexec_b64 s[2:3], vcc
	s_cbranch_execz .LBB19_14
; %bb.16:                               ;   in Loop: Header=BB19_15 Depth=1
	ds_bpermute_b32 v22, v15, v11
	; wave barrier
	ds_read_b32 v23, v16
	ds_read_b32 v24, v17
	ds_bpermute_b32 v25, v15, v3
	ds_read_b32 v26, v18
	ds_read_b32 v27, v19
	s_waitcnt lgkmcnt(5)
	v_cndmask_b32_e64 v22, v22, -v22, s[0:1]
	s_waitcnt lgkmcnt(3)
	v_mul_f32_e32 v22, v22, v24
	v_fmac_f32_e32 v22, v11, v23
	s_waitcnt lgkmcnt(2)
	v_cndmask_b32_e64 v11, v25, -v25, s[0:1]
	s_waitcnt lgkmcnt(0)
	v_mul_f32_e32 v23, v11, v27
	v_fmac_f32_e32 v23, v3, v26
	v_mov_b32_e32 v11, v22
	v_mov_b32_e32 v3, v23
	; wave barrier
	s_branch .LBB19_14
.LBB19_17:
	s_endpgm
	.section	.rodata,"a",@progbits
	.p2align	6, 0x0
	.amdhsa_kernel _ZN12tensorrt_llm7kernels32fusedQKNormRopeKernelNTokenHeadsIN3c104HalfEfLi64ELb0ELi8EEEvPviiifPKvS6_S6_PKlii
		.amdhsa_group_segment_fixed_size 0
		.amdhsa_private_segment_fixed_size 0
		.amdhsa_kernarg_size 320
		.amdhsa_user_sgpr_count 6
		.amdhsa_user_sgpr_private_segment_buffer 1
		.amdhsa_user_sgpr_dispatch_ptr 0
		.amdhsa_user_sgpr_queue_ptr 0
		.amdhsa_user_sgpr_kernarg_segment_ptr 1
		.amdhsa_user_sgpr_dispatch_id 0
		.amdhsa_user_sgpr_flat_scratch_init 0
		.amdhsa_user_sgpr_kernarg_preload_length 0
		.amdhsa_user_sgpr_kernarg_preload_offset 0
		.amdhsa_user_sgpr_private_segment_size 0
		.amdhsa_uses_dynamic_stack 0
		.amdhsa_system_sgpr_private_segment_wavefront_offset 0
		.amdhsa_system_sgpr_workgroup_id_x 1
		.amdhsa_system_sgpr_workgroup_id_y 0
		.amdhsa_system_sgpr_workgroup_id_z 0
		.amdhsa_system_sgpr_workgroup_info 0
		.amdhsa_system_vgpr_workitem_id 0
		.amdhsa_next_free_vgpr 28
		.amdhsa_next_free_sgpr 24
		.amdhsa_accum_offset 28
		.amdhsa_reserve_vcc 1
		.amdhsa_reserve_flat_scratch 0
		.amdhsa_float_round_mode_32 0
		.amdhsa_float_round_mode_16_64 0
		.amdhsa_float_denorm_mode_32 3
		.amdhsa_float_denorm_mode_16_64 3
		.amdhsa_dx10_clamp 1
		.amdhsa_ieee_mode 1
		.amdhsa_fp16_overflow 0
		.amdhsa_tg_split 0
		.amdhsa_exception_fp_ieee_invalid_op 0
		.amdhsa_exception_fp_denorm_src 0
		.amdhsa_exception_fp_ieee_div_zero 0
		.amdhsa_exception_fp_ieee_overflow 0
		.amdhsa_exception_fp_ieee_underflow 0
		.amdhsa_exception_fp_ieee_inexact 0
		.amdhsa_exception_int_div_zero 0
	.end_amdhsa_kernel
	.section	.text._ZN12tensorrt_llm7kernels32fusedQKNormRopeKernelNTokenHeadsIN3c104HalfEfLi64ELb0ELi8EEEvPviiifPKvS6_S6_PKlii,"axG",@progbits,_ZN12tensorrt_llm7kernels32fusedQKNormRopeKernelNTokenHeadsIN3c104HalfEfLi64ELb0ELi8EEEvPviiifPKvS6_S6_PKlii,comdat
.Lfunc_end19:
	.size	_ZN12tensorrt_llm7kernels32fusedQKNormRopeKernelNTokenHeadsIN3c104HalfEfLi64ELb0ELi8EEEvPviiifPKvS6_S6_PKlii, .Lfunc_end19-_ZN12tensorrt_llm7kernels32fusedQKNormRopeKernelNTokenHeadsIN3c104HalfEfLi64ELb0ELi8EEEvPviiifPKvS6_S6_PKlii
                                        ; -- End function
	.section	.AMDGPU.csdata,"",@progbits
; Kernel info:
; codeLenInByte = 1992
; NumSgprs: 28
; NumVgprs: 28
; NumAgprs: 0
; TotalNumVgprs: 28
; ScratchSize: 0
; MemoryBound: 0
; FloatMode: 240
; IeeeMode: 1
; LDSByteSize: 0 bytes/workgroup (compile time only)
; SGPRBlocks: 3
; VGPRBlocks: 3
; NumSGPRsForWavesPerEU: 28
; NumVGPRsForWavesPerEU: 28
; AccumOffset: 28
; Occupancy: 8
; WaveLimiterHint : 0
; COMPUTE_PGM_RSRC2:SCRATCH_EN: 0
; COMPUTE_PGM_RSRC2:USER_SGPR: 6
; COMPUTE_PGM_RSRC2:TRAP_HANDLER: 0
; COMPUTE_PGM_RSRC2:TGID_X_EN: 1
; COMPUTE_PGM_RSRC2:TGID_Y_EN: 0
; COMPUTE_PGM_RSRC2:TGID_Z_EN: 0
; COMPUTE_PGM_RSRC2:TIDIG_COMP_CNT: 0
; COMPUTE_PGM_RSRC3_GFX90A:ACCUM_OFFSET: 6
; COMPUTE_PGM_RSRC3_GFX90A:TG_SPLIT: 0
	.section	.text._ZN12tensorrt_llm7kernels32fusedQKNormRopeKernelNTokenHeadsIN3c104HalfEfLi128ELb1ELi8EEEvPviiifPKvS6_S6_PKlii,"axG",@progbits,_ZN12tensorrt_llm7kernels32fusedQKNormRopeKernelNTokenHeadsIN3c104HalfEfLi128ELb1ELi8EEEvPviiifPKvS6_S6_PKlii,comdat
	.protected	_ZN12tensorrt_llm7kernels32fusedQKNormRopeKernelNTokenHeadsIN3c104HalfEfLi128ELb1ELi8EEEvPviiifPKvS6_S6_PKlii ; -- Begin function _ZN12tensorrt_llm7kernels32fusedQKNormRopeKernelNTokenHeadsIN3c104HalfEfLi128ELb1ELi8EEEvPviiifPKvS6_S6_PKlii
	.globl	_ZN12tensorrt_llm7kernels32fusedQKNormRopeKernelNTokenHeadsIN3c104HalfEfLi128ELb1ELi8EEEvPviiifPKvS6_S6_PKlii
	.p2align	8
	.type	_ZN12tensorrt_llm7kernels32fusedQKNormRopeKernelNTokenHeadsIN3c104HalfEfLi128ELb1ELi8EEEvPviiifPKvS6_S6_PKlii,@function
_ZN12tensorrt_llm7kernels32fusedQKNormRopeKernelNTokenHeadsIN3c104HalfEfLi128ELb1ELi8EEEvPviiifPKvS6_S6_PKlii: ; @_ZN12tensorrt_llm7kernels32fusedQKNormRopeKernelNTokenHeadsIN3c104HalfEfLi128ELb1ELi8EEEvPviiifPKvS6_S6_PKlii
; %bb.0:
	s_load_dwordx4 s[12:15], s[4:5], 0x8
	s_load_dwordx2 s[16:17], s[4:5], 0x38
	s_load_dword s1, s[4:5], 0x4c
	v_lshrrev_b32_e32 v3, 5, v0
	s_waitcnt lgkmcnt(0)
	s_add_i32 s0, s13, s12
	s_add_i32 s2, s0, 7
	s_ashr_i32 s3, s2, 31
	s_lshr_b32 s3, s3, 29
	s_add_i32 s2, s2, s3
	s_ashr_i32 s20, s2, 3
	s_abs_i32 s2, s20
	v_cvt_f32_u32_e32 v1, s2
	s_bfe_u32 s1, s1, 0xb0005
	s_mul_i32 s6, s6, s1
	s_sub_i32 s3, 0, s2
	v_rcp_iflag_f32_e32 v2, v1
	v_add_u32_e32 v1, s6, v3
	v_sub_u32_e32 v4, 0, v1
	v_max_i32_e32 v4, v1, v4
	v_mul_f32_e32 v2, 0x4f7ffffe, v2
	v_cvt_u32_f32_e32 v2, v2
	v_xor_b32_e32 v5, s20, v1
	v_ashrrev_i32_e32 v5, 31, v5
	v_mul_lo_u32 v6, s3, v2
	v_mul_hi_u32 v6, v2, v6
	v_add_u32_e32 v2, v2, v6
	v_mul_hi_u32 v2, v4, v2
	v_mul_lo_u32 v6, v2, s2
	v_sub_u32_e32 v4, v4, v6
	v_add_u32_e32 v6, 1, v2
	v_cmp_le_u32_e32 vcc, s2, v4
	v_cndmask_b32_e32 v2, v2, v6, vcc
	v_subrev_u32_e32 v6, s2, v4
	v_cndmask_b32_e32 v4, v4, v6, vcc
	v_add_u32_e32 v6, 1, v2
	v_cmp_le_u32_e32 vcc, s2, v4
	v_cndmask_b32_e32 v2, v2, v6, vcc
	v_xor_b32_e32 v2, v2, v5
	v_sub_u32_e32 v2, v2, v5
	v_cmp_gt_i32_e32 vcc, s16, v2
	s_and_saveexec_b64 s[2:3], vcc
	s_cbranch_execz .LBB20_12
; %bb.1:
	v_and_b32_e32 v6, 31, v0
	v_mul_lo_u32 v0, v2, s20
	v_sub_u32_e32 v0, v1, v0
	s_load_dwordx2 s[2:3], s[4:5], 0x0
	v_lshlrev_b32_e32 v10, 3, v0
	v_add_u32_e32 v0, 8, v10
	v_sub_u32_e32 v4, s0, v10
	v_cmp_lt_i32_e32 vcc, s0, v0
	v_cndmask_b32_e32 v11, 8, v4, vcc
	s_lshl_b32 s18, s17, 2
	s_mul_i32 s16, s18, s1
	v_lshlrev_b32_e32 v9, 11, v3
	v_cmp_lt_i32_e64 s[0:1], 0, v11
	v_lshlrev_b32_e32 v8, 3, v6
	v_lshlrev_b32_e32 v7, 10, v1
	s_and_saveexec_b64 s[6:7], s[0:1]
	s_cbranch_execz .LBB20_4
; %bb.2:
	s_add_i32 s8, s16, 0
	v_add3_u32 v4, s8, v9, v8
	s_add_i32 s8, s14, s13
	s_add_i32 s8, s8, s12
	s_lshl_b32 s9, s20, 3
	s_sub_i32 s8, s8, s9
	v_mul_lo_u32 v0, s8, v2
	v_lshl_add_u32 v0, v0, 7, v7
	s_mov_b32 s10, 0
	v_lshl_or_b32 v0, v6, 2, v0
	s_mov_b64 s[8:9], 0
	s_waitcnt lgkmcnt(0)
	v_mov_b32_e32 v5, s3
.LBB20_3:                               ; =>This Inner Loop Header: Depth=1
	v_ashrrev_i32_e32 v1, 31, v0
	v_lshlrev_b64 v[12:13], 1, v[0:1]
	v_add_co_u32_e32 v12, vcc, s2, v12
	v_addc_co_u32_e32 v13, vcc, v5, v13, vcc
	global_load_dwordx2 v[12:13], v[12:13], off
	s_add_i32 s10, s10, 1
	v_cmp_ge_i32_e32 vcc, s10, v11
	v_add_u32_e32 v0, 0x80, v0
	s_or_b64 s[8:9], vcc, s[8:9]
	s_waitcnt vmcnt(0)
	ds_write_b64 v4, v[12:13]
	v_add_u32_e32 v4, 0x100, v4
	s_andn2_b64 exec, exec, s[8:9]
	s_cbranch_execnz .LBB20_3
.LBB20_4:
	s_or_b64 exec, exec, s[6:7]
	s_add_i32 s18, s18, 15
	s_load_dwordx8 s[4:11], s[4:5], 0x18
	s_ashr_i32 s19, s18, 31
	s_lshr_b32 s19, s19, 28
	s_add_i32 s18, s18, s19
	s_ashr_i32 s21, s18, 4
	v_mul_lo_u32 v0, v3, s17
	v_cmp_gt_i32_e32 vcc, s21, v6
	v_lshlrev_b32_e32 v12, 2, v0
	s_and_saveexec_b64 s[18:19], vcc
	s_cbranch_execz .LBB20_7
; %bb.5:
	v_ashrrev_i32_e32 v3, 31, v2
	v_lshlrev_b64 v[0:1], 3, v[2:3]
	s_waitcnt lgkmcnt(0)
	v_mov_b32_e32 v3, s11
	v_add_co_u32_e32 v0, vcc, s10, v0
	v_addc_co_u32_e32 v1, vcc, v3, v1, vcc
	global_load_dwordx2 v[0:1], v[0:1], off
	s_ashr_i32 s22, s17, 31
	v_lshlrev_b32_e32 v4, 4, v6
	v_mov_b32_e32 v5, s9
	s_mov_b64 s[10:11], 0
	v_add3_u32 v3, v12, v4, 0
	s_waitcnt vmcnt(0)
	v_mul_lo_u32 v13, v1, s17
	v_mul_lo_u32 v14, v0, s22
	v_mad_u64_u32 v[0:1], s[22:23], v0, s17, 0
	v_add3_u32 v1, v1, v14, v13
	v_lshlrev_b64 v[0:1], 2, v[0:1]
	v_add_co_u32_e32 v0, vcc, v0, v4
	v_addc_co_u32_e32 v1, vcc, 0, v1, vcc
	v_add_co_u32_e32 v0, vcc, s8, v0
	v_addc_co_u32_e32 v1, vcc, v5, v1, vcc
	v_mov_b32_e32 v4, v6
.LBB20_6:                               ; =>This Inner Loop Header: Depth=1
	global_load_dwordx4 v[14:17], v[0:1], off
	v_add_co_u32_e32 v0, vcc, 0x200, v0
	v_add_u32_e32 v4, 32, v4
	v_addc_co_u32_e32 v1, vcc, 0, v1, vcc
	v_cmp_le_i32_e32 vcc, s21, v4
	s_or_b64 s[10:11], vcc, s[10:11]
	s_waitcnt vmcnt(0)
	ds_write_b128 v3, v[14:17]
	v_add_u32_e32 v3, 0x200, v3
	s_andn2_b64 exec, exec, s[10:11]
	s_cbranch_execnz .LBB20_6
.LBB20_7:
	s_or_b64 exec, exec, s[18:19]
	s_and_b64 exec, exec, s[0:1]
	s_cbranch_execz .LBB20_12
; %bb.8:
	s_waitcnt lgkmcnt(0)
	global_load_dwordx2 v[0:1], v8, s[4:5]
	global_load_dwordx2 v[4:5], v8, s[6:7]
	v_mbcnt_lo_u32_b32 v3, -1, 0
	v_add_u32_e32 v9, s16, v9
	v_mbcnt_hi_u32_b32 v3, -1, v3
	v_add3_u32 v12, 0, v12, v8
	v_add3_u32 v14, v9, v8, 0
	v_and_b32_e32 v8, 0x60, v3
	v_xor_b32_e32 v9, 16, v3
	v_add_u32_e32 v8, 32, v8
	v_xor_b32_e32 v15, 8, v3
	v_cmp_lt_i32_e32 vcc, v9, v8
	s_add_i32 s8, s14, s13
	v_xor_b32_e32 v16, 4, v3
	v_cndmask_b32_e32 v9, v3, v9, vcc
	v_cmp_lt_i32_e32 vcc, v15, v8
	s_lshr_b32 s0, s17, 31
	s_ashr_i32 s1, s17, 31
	s_lshl_b32 s9, s20, 3
	s_add_i32 s8, s8, s12
	v_xor_b32_e32 v17, 2, v3
	v_cndmask_b32_e32 v19, v3, v15, vcc
	v_cmp_lt_i32_e32 vcc, v16, v8
	s_add_i32 s0, s17, s0
	s_lshr_b32 s1, s1, 30
	v_xor_b32_e32 v18, 1, v3
	s_sub_i32 s8, s8, s9
	v_cndmask_b32_e32 v20, v3, v16, vcc
	v_cmp_lt_i32_e32 vcc, v17, v8
	s_lshl_b32 s0, s0, 1
	s_add_i32 s1, s17, s1
	v_mul_lo_u32 v2, s8, v2
	v_cndmask_b32_e32 v21, v3, v17, vcc
	v_cmp_lt_i32_e32 vcc, v18, v8
	s_and_b32 s0, s0, -4
	s_ashr_i32 s1, s1, 2
	v_cndmask_b32_e32 v3, v3, v18, vcc
	v_lshl_add_u32 v2, v2, 7, v7
	s_mov_b32 s6, 0
	s_mov_b64 s[4:5], 0
	v_mov_b32_e32 v13, s15
	s_mov_b32 s7, 0x800000
	v_cmp_gt_i32_e32 vcc, s1, v6
	v_add_u32_e32 v15, s0, v12
	v_lshlrev_b32_e32 v16, 2, v9
	v_lshlrev_b32_e32 v17, 2, v19
	;; [unrolled: 1-line block ×5, first 2 shown]
	v_lshl_or_b32 v2, v6, 2, v2
	s_waitcnt vmcnt(1)
	v_lshrrev_b32_e32 v21, 16, v0
	s_waitcnt vmcnt(0)
	v_lshrrev_b32_e32 v22, 16, v4
	v_lshrrev_b32_e32 v23, 16, v1
	;; [unrolled: 1-line block ×3, first 2 shown]
	s_branch .LBB20_10
.LBB20_9:                               ;   in Loop: Header=BB20_10 Depth=1
	s_or_b64 exec, exec, s[0:1]
	v_ashrrev_i32_e32 v3, 31, v2
	v_cvt_f16_f32_e32 v25, v6
	v_cvt_f16_f32_e32 v26, v7
	;; [unrolled: 1-line block ×4, first 2 shown]
	v_lshlrev_b64 v[6:7], 1, v[2:3]
	v_mov_b32_e32 v3, s3
	v_add_co_u32_e64 v6, s[0:1], s2, v6
	v_addc_co_u32_e64 v7, s[0:1], v3, v7, s[0:1]
	s_add_i32 s6, s6, 1
	v_cmp_ge_i32_e64 s[0:1], s6, v11
	v_pack_b32_f16 v9, v8, v9
	v_pack_b32_f16 v8, v25, v26
	v_add_u32_e32 v2, 0x80, v2
	s_or_b64 s[4:5], s[0:1], s[4:5]
	v_add_u32_e32 v14, 0x100, v14
	global_store_dwordx2 v[6:7], v[8:9], off
	s_andn2_b64 exec, exec, s[4:5]
	s_cbranch_execz .LBB20_12
.LBB20_10:                              ; =>This Inner Loop Header: Depth=1
	ds_read_b64 v[6:7], v14
	s_waitcnt lgkmcnt(0)
	v_cvt_f32_f16_sdwa v9, v7 dst_sel:DWORD dst_unused:UNUSED_PAD src0_sel:WORD_1
	v_cvt_f32_f16_e32 v8, v7
	v_cvt_f32_f16_sdwa v7, v6 dst_sel:DWORD dst_unused:UNUSED_PAD src0_sel:WORD_1
	v_cvt_f32_f16_e32 v6, v6
	v_pk_mul_f32 v[26:27], v[8:9], v[8:9]
	v_pk_mul_f32 v[28:29], v[6:7], v[6:7]
	v_add_f32_e32 v3, v28, v29
	v_add_f32_e32 v3, v3, v26
	;; [unrolled: 1-line block ×3, first 2 shown]
	ds_bpermute_b32 v25, v16, v3
	v_add_u32_e32 v26, s6, v10
	v_mov_b32_e32 v28, v13
	v_cmp_gt_i32_e64 s[0:1], s12, v26
	v_cndmask_b32_e64 v26, v22, v21, s[0:1]
	s_waitcnt lgkmcnt(0)
	v_add_f32_e32 v3, v3, v25
	ds_bpermute_b32 v25, v17, v3
	v_cndmask_b32_e64 v29, v4, v0, s[0:1]
	v_cndmask_b32_e64 v30, v24, v23, s[0:1]
	;; [unrolled: 1-line block ×3, first 2 shown]
	v_cvt_f32_f16_e32 v27, v26
	s_waitcnt lgkmcnt(0)
	v_add_f32_e32 v3, v3, v25
	ds_bpermute_b32 v25, v18, v3
	v_cvt_f32_f16_e32 v26, v29
	v_cvt_f32_f16_e32 v29, v30
	s_waitcnt lgkmcnt(0)
	v_add_f32_e32 v3, v3, v25
	ds_bpermute_b32 v25, v19, v3
	s_waitcnt lgkmcnt(0)
	v_add_f32_e32 v3, v3, v25
	ds_bpermute_b32 v25, v20, v3
	s_waitcnt lgkmcnt(0)
	v_add_f32_e32 v3, v3, v25
	v_fmac_f32_e32 v28, 0x3c000000, v3
	v_mul_f32_e32 v3, 0x4b800000, v28
	v_cmp_gt_f32_e64 s[0:1], s7, v28
	v_cndmask_b32_e64 v3, v28, v3, s[0:1]
	v_rsq_f32_e32 v3, v3
	v_cvt_f32_f16_e32 v28, v31
	v_mul_f32_e32 v25, 0x45800000, v3
	v_cndmask_b32_e64 v30, v3, v25, s[0:1]
	v_pk_mul_f32 v[26:27], v[30:31], v[26:27] op_sel_hi:[0,1]
	v_pk_mul_f32 v[28:29], v[30:31], v[28:29] op_sel_hi:[0,1]
	v_pk_mul_f32 v[6:7], v[26:27], v[6:7]
	v_pk_mul_f32 v[8:9], v[28:29], v[8:9]
	s_and_saveexec_b64 s[0:1], vcc
	s_cbranch_execz .LBB20_9
; %bb.11:                               ;   in Loop: Header=BB20_10 Depth=1
	ds_read2_b32 v[26:27], v15 offset1:1
	ds_read2_b32 v[28:29], v12 offset1:1
	s_waitcnt lgkmcnt(1)
	v_pk_mul_f32 v[30:31], v[6:7], v[26:27] op_sel_hi:[1,0]
	s_waitcnt lgkmcnt(0)
	v_pk_mul_f32 v[32:33], v[6:7], v[28:29] op_sel_hi:[1,0]
	v_pk_fma_f32 v[6:7], v[6:7], v[28:29], v[30:31] op_sel:[0,0,1] op_sel_hi:[1,0,0]
	v_mov_b32_e32 v28, v27
	v_mul_f32_e32 v3, v9, v27
	v_pk_mul_f32 v[26:27], v[8:9], v[28:29]
	v_mov_b32_e32 v6, v27
	v_fma_f32 v3, v8, v29, -v3
	v_pk_fma_f32 v[26:27], v[8:9], v[28:29], v[6:7]
	v_sub_f32_e32 v6, v32, v31
	v_mov_b32_e32 v8, v3
	v_mov_b32_e32 v9, v26
	s_branch .LBB20_9
.LBB20_12:
	s_endpgm
	.section	.rodata,"a",@progbits
	.p2align	6, 0x0
	.amdhsa_kernel _ZN12tensorrt_llm7kernels32fusedQKNormRopeKernelNTokenHeadsIN3c104HalfEfLi128ELb1ELi8EEEvPviiifPKvS6_S6_PKlii
		.amdhsa_group_segment_fixed_size 0
		.amdhsa_private_segment_fixed_size 0
		.amdhsa_kernarg_size 320
		.amdhsa_user_sgpr_count 6
		.amdhsa_user_sgpr_private_segment_buffer 1
		.amdhsa_user_sgpr_dispatch_ptr 0
		.amdhsa_user_sgpr_queue_ptr 0
		.amdhsa_user_sgpr_kernarg_segment_ptr 1
		.amdhsa_user_sgpr_dispatch_id 0
		.amdhsa_user_sgpr_flat_scratch_init 0
		.amdhsa_user_sgpr_kernarg_preload_length 0
		.amdhsa_user_sgpr_kernarg_preload_offset 0
		.amdhsa_user_sgpr_private_segment_size 0
		.amdhsa_uses_dynamic_stack 0
		.amdhsa_system_sgpr_private_segment_wavefront_offset 0
		.amdhsa_system_sgpr_workgroup_id_x 1
		.amdhsa_system_sgpr_workgroup_id_y 0
		.amdhsa_system_sgpr_workgroup_id_z 0
		.amdhsa_system_sgpr_workgroup_info 0
		.amdhsa_system_vgpr_workitem_id 0
		.amdhsa_next_free_vgpr 34
		.amdhsa_next_free_sgpr 24
		.amdhsa_accum_offset 36
		.amdhsa_reserve_vcc 1
		.amdhsa_reserve_flat_scratch 0
		.amdhsa_float_round_mode_32 0
		.amdhsa_float_round_mode_16_64 0
		.amdhsa_float_denorm_mode_32 3
		.amdhsa_float_denorm_mode_16_64 3
		.amdhsa_dx10_clamp 1
		.amdhsa_ieee_mode 1
		.amdhsa_fp16_overflow 0
		.amdhsa_tg_split 0
		.amdhsa_exception_fp_ieee_invalid_op 0
		.amdhsa_exception_fp_denorm_src 0
		.amdhsa_exception_fp_ieee_div_zero 0
		.amdhsa_exception_fp_ieee_overflow 0
		.amdhsa_exception_fp_ieee_underflow 0
		.amdhsa_exception_fp_ieee_inexact 0
		.amdhsa_exception_int_div_zero 0
	.end_amdhsa_kernel
	.section	.text._ZN12tensorrt_llm7kernels32fusedQKNormRopeKernelNTokenHeadsIN3c104HalfEfLi128ELb1ELi8EEEvPviiifPKvS6_S6_PKlii,"axG",@progbits,_ZN12tensorrt_llm7kernels32fusedQKNormRopeKernelNTokenHeadsIN3c104HalfEfLi128ELb1ELi8EEEvPviiifPKvS6_S6_PKlii,comdat
.Lfunc_end20:
	.size	_ZN12tensorrt_llm7kernels32fusedQKNormRopeKernelNTokenHeadsIN3c104HalfEfLi128ELb1ELi8EEEvPviiifPKvS6_S6_PKlii, .Lfunc_end20-_ZN12tensorrt_llm7kernels32fusedQKNormRopeKernelNTokenHeadsIN3c104HalfEfLi128ELb1ELi8EEEvPviiifPKvS6_S6_PKlii
                                        ; -- End function
	.section	.AMDGPU.csdata,"",@progbits
; Kernel info:
; codeLenInByte = 1480
; NumSgprs: 28
; NumVgprs: 34
; NumAgprs: 0
; TotalNumVgprs: 34
; ScratchSize: 0
; MemoryBound: 0
; FloatMode: 240
; IeeeMode: 1
; LDSByteSize: 0 bytes/workgroup (compile time only)
; SGPRBlocks: 3
; VGPRBlocks: 4
; NumSGPRsForWavesPerEU: 28
; NumVGPRsForWavesPerEU: 34
; AccumOffset: 36
; Occupancy: 8
; WaveLimiterHint : 0
; COMPUTE_PGM_RSRC2:SCRATCH_EN: 0
; COMPUTE_PGM_RSRC2:USER_SGPR: 6
; COMPUTE_PGM_RSRC2:TRAP_HANDLER: 0
; COMPUTE_PGM_RSRC2:TGID_X_EN: 1
; COMPUTE_PGM_RSRC2:TGID_Y_EN: 0
; COMPUTE_PGM_RSRC2:TGID_Z_EN: 0
; COMPUTE_PGM_RSRC2:TIDIG_COMP_CNT: 0
; COMPUTE_PGM_RSRC3_GFX90A:ACCUM_OFFSET: 8
; COMPUTE_PGM_RSRC3_GFX90A:TG_SPLIT: 0
	.section	.text._ZN12tensorrt_llm7kernels32fusedQKNormRopeKernelNTokenHeadsIN3c104HalfEfLi128ELb0ELi8EEEvPviiifPKvS6_S6_PKlii,"axG",@progbits,_ZN12tensorrt_llm7kernels32fusedQKNormRopeKernelNTokenHeadsIN3c104HalfEfLi128ELb0ELi8EEEvPviiifPKvS6_S6_PKlii,comdat
	.protected	_ZN12tensorrt_llm7kernels32fusedQKNormRopeKernelNTokenHeadsIN3c104HalfEfLi128ELb0ELi8EEEvPviiifPKvS6_S6_PKlii ; -- Begin function _ZN12tensorrt_llm7kernels32fusedQKNormRopeKernelNTokenHeadsIN3c104HalfEfLi128ELb0ELi8EEEvPviiifPKvS6_S6_PKlii
	.globl	_ZN12tensorrt_llm7kernels32fusedQKNormRopeKernelNTokenHeadsIN3c104HalfEfLi128ELb0ELi8EEEvPviiifPKvS6_S6_PKlii
	.p2align	8
	.type	_ZN12tensorrt_llm7kernels32fusedQKNormRopeKernelNTokenHeadsIN3c104HalfEfLi128ELb0ELi8EEEvPviiifPKvS6_S6_PKlii,@function
_ZN12tensorrt_llm7kernels32fusedQKNormRopeKernelNTokenHeadsIN3c104HalfEfLi128ELb0ELi8EEEvPviiifPKvS6_S6_PKlii: ; @_ZN12tensorrt_llm7kernels32fusedQKNormRopeKernelNTokenHeadsIN3c104HalfEfLi128ELb0ELi8EEEvPviiifPKvS6_S6_PKlii
; %bb.0:
	s_load_dwordx4 s[12:15], s[4:5], 0x8
	s_load_dwordx2 s[2:3], s[4:5], 0x38
	s_load_dword s1, s[4:5], 0x4c
	v_lshrrev_b32_e32 v2, 5, v0
	s_waitcnt lgkmcnt(0)
	s_add_i32 s0, s13, s12
	s_add_i32 s7, s0, 7
	s_ashr_i32 s8, s7, 31
	s_lshr_b32 s8, s8, 29
	s_add_i32 s7, s7, s8
	s_ashr_i32 s20, s7, 3
	s_abs_i32 s7, s20
	v_cvt_f32_u32_e32 v1, s7
	s_bfe_u32 s1, s1, 0xb0005
	s_mul_i32 s6, s6, s1
	v_rcp_iflag_f32_e32 v3, v1
	v_add_u32_e32 v1, s6, v2
	s_sub_i32 s6, 0, s7
	v_sub_u32_e32 v4, 0, v1
	v_mul_f32_e32 v3, 0x4f7ffffe, v3
	v_cvt_u32_f32_e32 v3, v3
	v_max_i32_e32 v4, v1, v4
	v_xor_b32_e32 v5, s20, v1
	v_ashrrev_i32_e32 v5, 31, v5
	v_mul_lo_u32 v6, s6, v3
	v_mul_hi_u32 v6, v3, v6
	v_add_u32_e32 v3, v3, v6
	v_mul_hi_u32 v3, v4, v3
	v_mul_lo_u32 v6, v3, s7
	v_sub_u32_e32 v4, v4, v6
	v_add_u32_e32 v6, 1, v3
	v_cmp_le_u32_e32 vcc, s7, v4
	v_cndmask_b32_e32 v3, v3, v6, vcc
	v_subrev_u32_e32 v6, s7, v4
	v_cndmask_b32_e32 v4, v4, v6, vcc
	v_add_u32_e32 v6, 1, v3
	v_cmp_le_u32_e32 vcc, s7, v4
	v_cndmask_b32_e32 v3, v3, v6, vcc
	v_xor_b32_e32 v3, v3, v5
	v_sub_u32_e32 v4, v3, v5
	v_cmp_gt_i32_e32 vcc, s2, v4
	s_and_saveexec_b64 s[6:7], vcc
	s_cbranch_execz .LBB21_12
; %bb.1:
	v_and_b32_e32 v8, 31, v0
	v_mul_lo_u32 v0, v4, s20
	v_sub_u32_e32 v0, v1, v0
	s_load_dwordx2 s[16:17], s[4:5], 0x0
	v_lshlrev_b32_e32 v6, 3, v0
	v_add_u32_e32 v0, 8, v6
	v_sub_u32_e32 v3, s0, v6
	v_cmp_lt_i32_e32 vcc, s0, v0
	v_cndmask_b32_e32 v7, 8, v3, vcc
	s_lshl_b32 s2, s3, 2
	s_mul_i32 s21, s2, s1
	v_lshlrev_b32_e32 v9, 11, v2
	v_cmp_lt_i32_e64 s[0:1], 0, v7
	v_lshlrev_b32_e32 v10, 3, v8
	v_lshlrev_b32_e32 v11, 10, v1
	s_and_saveexec_b64 s[6:7], s[0:1]
	s_cbranch_execz .LBB21_4
; %bb.2:
	s_add_i32 s8, s21, 0
	v_add3_u32 v3, s8, v9, v10
	s_add_i32 s8, s14, s13
	s_add_i32 s8, s8, s12
	s_lshl_b32 s9, s20, 3
	s_sub_i32 s8, s8, s9
	v_mul_lo_u32 v0, s8, v4
	v_lshl_add_u32 v0, v0, 7, v11
	s_mov_b32 s10, 0
	v_lshl_or_b32 v0, v8, 2, v0
	s_mov_b64 s[8:9], 0
	s_waitcnt lgkmcnt(0)
	v_mov_b32_e32 v5, s17
.LBB21_3:                               ; =>This Inner Loop Header: Depth=1
	v_ashrrev_i32_e32 v1, 31, v0
	v_lshlrev_b64 v[12:13], 1, v[0:1]
	v_add_co_u32_e32 v12, vcc, s16, v12
	v_addc_co_u32_e32 v13, vcc, v5, v13, vcc
	global_load_dwordx2 v[12:13], v[12:13], off
	s_add_i32 s10, s10, 1
	v_cmp_ge_i32_e32 vcc, s10, v7
	v_add_u32_e32 v0, 0x80, v0
	s_or_b64 s[8:9], vcc, s[8:9]
	s_waitcnt vmcnt(0)
	ds_write_b64 v3, v[12:13]
	v_add_u32_e32 v3, 0x100, v3
	s_andn2_b64 exec, exec, s[8:9]
	s_cbranch_execnz .LBB21_3
.LBB21_4:
	s_or_b64 exec, exec, s[6:7]
	s_add_i32 s2, s2, 15
	s_load_dwordx8 s[4:11], s[4:5], 0x18
	s_ashr_i32 s18, s2, 31
	s_lshr_b32 s18, s18, 28
	s_add_i32 s2, s2, s18
	s_ashr_i32 s2, s2, 4
	v_cmp_gt_i32_e32 vcc, s2, v8
	v_mul_lo_u32 v12, v2, s3
	s_and_saveexec_b64 s[18:19], vcc
	s_cbranch_execz .LBB21_7
; %bb.5:
	v_ashrrev_i32_e32 v5, 31, v4
	v_lshlrev_b64 v[0:1], 3, v[4:5]
	s_waitcnt lgkmcnt(0)
	v_mov_b32_e32 v2, s11
	v_add_co_u32_e32 v0, vcc, s10, v0
	v_addc_co_u32_e32 v1, vcc, v2, v1, vcc
	global_load_dwordx2 v[0:1], v[0:1], off
	s_ashr_i32 s22, s3, 31
	v_lshlrev_b32_e32 v3, 4, v8
	v_lshlrev_b32_e32 v2, 2, v12
	v_mov_b32_e32 v5, s9
	s_mov_b64 s[10:11], 0
	v_add3_u32 v2, v2, v3, 0
	s_waitcnt vmcnt(0)
	v_mul_lo_u32 v13, v1, s3
	v_mul_lo_u32 v14, v0, s22
	v_mad_u64_u32 v[0:1], s[22:23], v0, s3, 0
	v_add3_u32 v1, v1, v14, v13
	v_lshlrev_b64 v[0:1], 2, v[0:1]
	v_add_co_u32_e32 v0, vcc, v0, v3
	v_addc_co_u32_e32 v1, vcc, 0, v1, vcc
	v_add_co_u32_e32 v0, vcc, s8, v0
	v_addc_co_u32_e32 v1, vcc, v5, v1, vcc
	v_mov_b32_e32 v3, v8
.LBB21_6:                               ; =>This Inner Loop Header: Depth=1
	global_load_dwordx4 v[14:17], v[0:1], off
	v_add_co_u32_e32 v0, vcc, 0x200, v0
	v_add_u32_e32 v3, 32, v3
	v_addc_co_u32_e32 v1, vcc, 0, v1, vcc
	v_cmp_le_i32_e32 vcc, s2, v3
	s_or_b64 s[10:11], vcc, s[10:11]
	s_waitcnt vmcnt(0)
	ds_write_b128 v2, v[14:17]
	v_add_u32_e32 v2, 0x200, v2
	s_andn2_b64 exec, exec, s[10:11]
	s_cbranch_execnz .LBB21_6
.LBB21_7:
	s_or_b64 exec, exec, s[18:19]
	s_and_b64 exec, exec, s[0:1]
	s_cbranch_execz .LBB21_12
; %bb.8:
	s_waitcnt lgkmcnt(0)
	global_load_dwordx2 v[0:1], v10, s[4:5]
	global_load_dwordx2 v[2:3], v10, s[6:7]
	v_lshl_add_u32 v5, v12, 2, 0
	v_mbcnt_lo_u32_b32 v12, -1, 0
	s_abs_i32 s4, s3
	v_mbcnt_hi_u32_b32 v17, -1, v12
	v_cvt_f32_u32_e32 v14, s4
	v_and_b32_e32 v12, 0x60, v17
	v_xor_b32_e32 v13, 16, v17
	v_add_u32_e32 v12, 32, v12
	v_xor_b32_e32 v15, 8, v17
	v_cmp_lt_i32_e32 vcc, v13, v12
	v_xor_b32_e32 v16, 4, v17
	v_cndmask_b32_e32 v13, v17, v13, vcc
	v_cmp_lt_i32_e32 vcc, v15, v12
	v_rcp_iflag_f32_e32 v23, v14
	v_xor_b32_e32 v19, 2, v17
	v_cndmask_b32_e32 v15, v17, v15, vcc
	v_cmp_lt_i32_e32 vcc, v16, v12
	v_cndmask_b32_e32 v16, v17, v16, vcc
	v_cmp_lt_i32_e32 vcc, v19, v12
	v_xor_b32_e32 v20, 1, v17
	v_cndmask_b32_e32 v19, v17, v19, vcc
	v_cmp_lt_i32_e32 vcc, v20, v12
	v_lshlrev_b32_e32 v12, 2, v13
	v_lshlrev_b32_e32 v13, 2, v15
	;; [unrolled: 1-line block ×3, first 2 shown]
	v_mul_f32_e32 v19, 0x4f7ffffe, v23
	v_cvt_u32_f32_e32 v19, v19
	s_sub_i32 s5, 0, s4
	v_cndmask_b32_e32 v20, v17, v20, vcc
	s_ashr_i32 s1, s3, 31
	v_lshlrev_b32_e32 v14, 2, v16
	v_lshlrev_b32_e32 v16, 2, v20
	v_mul_lo_u32 v20, s5, v19
	s_lshr_b32 s2, s1, 30
	s_lshr_b32 s1, s1, 29
	v_mul_hi_u32 v20, v19, v20
	s_add_i32 s1, s3, s1
	v_add_u32_e32 v30, v19, v20
	v_or_b32_e32 v18, 2, v10
	s_add_i32 s2, s3, s2
	v_and_b32_e32 v21, 64, v17
	s_ashr_i32 s1, s1, 3
	v_mul_hi_u32 v19, v10, v30
	s_lshr_b32 s0, s3, 31
	s_ashr_i32 s2, s2, 2
	v_add_u32_e32 v21, 64, v21
	v_xor_b32_e32 v22, s1, v17
	v_mul_hi_u32 v20, v18, v30
	v_mul_lo_u32 v19, v19, s4
	s_add_i32 s0, s3, s0
	v_cmp_gt_i32_e32 vcc, s2, v8
	v_cmp_lt_i32_e64 s[2:3], v22, v21
	v_mul_lo_u32 v20, v20, s4
	v_sub_u32_e32 v19, v10, v19
	v_cndmask_b32_e64 v17, v17, v22, s[2:3]
	v_sub_u32_e32 v24, v18, v20
	v_subrev_u32_e32 v18, s4, v19
	v_cmp_le_u32_e64 s[2:3], s4, v19
	v_cndmask_b32_e64 v18, v19, v18, s[2:3]
	v_or_b32_e32 v26, 4, v10
	v_subrev_u32_e32 v19, s4, v18
	v_cmp_le_u32_e64 s[2:3], s4, v18
	v_subrev_u32_e32 v25, s4, v24
	v_cndmask_b32_e64 v18, v18, v19, s[2:3]
	v_cmp_le_u32_e64 s[2:3], s4, v24
	v_mul_hi_u32 v27, v26, v30
	v_cndmask_b32_e64 v24, v24, v25, s[2:3]
	v_mul_lo_u32 v27, v27, s4
	v_or_b32_e32 v28, 6, v10
	v_subrev_u32_e32 v25, s4, v24
	v_cmp_le_u32_e64 s[2:3], s4, v24
	v_sub_u32_e32 v26, v26, v27
	v_cndmask_b32_e64 v24, v24, v25, s[2:3]
	v_subrev_u32_e32 v27, s4, v26
	v_cmp_le_u32_e64 s[2:3], s4, v26
	v_mul_hi_u32 v30, v28, v30
	v_cndmask_b32_e64 v26, v26, v27, s[2:3]
	v_mul_lo_u32 v30, v30, s4
	v_subrev_u32_e32 v27, s4, v26
	v_cmp_le_u32_e64 s[2:3], s4, v26
	v_sub_u32_e32 v28, v28, v30
	v_cndmask_b32_e64 v26, v26, v27, s[2:3]
	v_subrev_u32_e32 v30, s4, v28
	v_cmp_le_u32_e64 s[2:3], s4, v28
	v_cndmask_b32_e64 v28, v28, v30, s[2:3]
	v_subrev_u32_e32 v30, s4, v28
	v_cmp_le_u32_e64 s[2:3], s4, v28
	v_cndmask_b32_e64 v28, v28, v30, s[2:3]
	s_add_i32 s2, s14, s13
	s_add_i32 s2, s2, s12
	s_lshl_b32 s3, s20, 3
	s_lshl_b32 s0, s0, 1
	v_lshlrev_b32_e32 v18, 1, v18
	v_lshlrev_b32_e32 v24, 1, v24
	;; [unrolled: 1-line block ×4, first 2 shown]
	s_sub_i32 s2, s2, s3
	s_and_b32 s0, s0, -4
	v_and_b32_e32 v19, -4, v18
	v_and_b32_e32 v25, -4, v24
	;; [unrolled: 1-line block ×4, first 2 shown]
	v_mul_lo_u32 v4, s2, v4
	v_add_u32_e32 v29, s0, v5
	v_add_u32_e32 v18, v5, v19
	;; [unrolled: 1-line block ×5, first 2 shown]
	v_lshl_add_u32 v4, v4, 7, v11
	v_add_u32_e32 v5, s21, v9
	s_mov_b32 s6, 0
	v_cmp_gt_i32_e64 s[0:1], s1, v8
	v_lshlrev_b32_e32 v17, 2, v17
	v_add_u32_e32 v19, v29, v19
	s_waitcnt vmcnt(1)
	v_lshrrev_b32_e32 v20, 16, v0
	v_lshrrev_b32_e32 v21, 16, v1
	s_waitcnt vmcnt(0)
	v_lshrrev_b32_e32 v22, 16, v2
	v_lshrrev_b32_e32 v23, 16, v3
	v_add_u32_e32 v25, v29, v25
	v_add_u32_e32 v27, v29, v27
	;; [unrolled: 1-line block ×3, first 2 shown]
	v_lshl_or_b32 v4, v8, 2, v4
	v_add3_u32 v8, v5, v10, 0
	s_mov_b64 s[4:5], 0
	s_mov_b32 s7, 0x800000
	v_mov_b32_e32 v9, s15
	s_branch .LBB21_10
.LBB21_9:                               ;   in Loop: Header=BB21_10 Depth=1
	s_or_b64 exec, exec, s[2:3]
	v_cvt_f16_f32_e32 v33, v5
	v_ashrrev_i32_e32 v5, 31, v4
	v_cvt_f16_f32_e32 v30, v30
	v_cvt_f16_f32_e32 v32, v11
	;; [unrolled: 1-line block ×3, first 2 shown]
	v_lshlrev_b64 v[10:11], 1, v[4:5]
	v_mov_b32_e32 v5, s17
	v_add_co_u32_e64 v10, s[2:3], s16, v10
	v_addc_co_u32_e64 v11, s[2:3], v5, v11, s[2:3]
	s_add_i32 s6, s6, 1
	v_cmp_ge_i32_e64 s[2:3], s6, v7
	v_pack_b32_f16 v31, v31, v33
	v_pack_b32_f16 v30, v30, v32
	v_add_u32_e32 v4, 0x80, v4
	s_or_b64 s[4:5], s[2:3], s[4:5]
	v_add_u32_e32 v8, 0x100, v8
	global_store_dwordx2 v[10:11], v[30:31], off
	s_andn2_b64 exec, exec, s[4:5]
	s_cbranch_execz .LBB21_12
.LBB21_10:                              ; =>This Inner Loop Header: Depth=1
	ds_read_b64 v[10:11], v8
	v_add_u32_e32 v32, s6, v6
	v_mov_b32_e32 v33, v9
	v_cmp_gt_i32_e64 s[2:3], s12, v32
	v_cndmask_b32_e64 v32, v2, v0, s[2:3]
	s_waitcnt lgkmcnt(0)
	v_cvt_f32_f16_sdwa v5, v10 dst_sel:DWORD dst_unused:UNUSED_PAD src0_sel:WORD_1
	v_cndmask_b32_e64 v34, v22, v20, s[2:3]
	v_cndmask_b32_e64 v35, v3, v1, s[2:3]
	;; [unrolled: 1-line block ×3, first 2 shown]
	v_mul_f32_e32 v30, v5, v5
	v_fma_mix_f32 v30, v10, v10, v30 op_sel_hi:[1,1,0]
	v_fma_mix_f32 v30, v11, v11, v30 op_sel_hi:[1,1,0]
	v_fma_mix_f32 v30, v11, v11, v30 op_sel:[1,1,0] op_sel_hi:[1,1,0]
	ds_bpermute_b32 v31, v12, v30
	v_cvt_f32_f16_e32 v32, v32
	v_cvt_f32_f16_e32 v34, v34
	;; [unrolled: 1-line block ×4, first 2 shown]
	s_waitcnt lgkmcnt(0)
	v_add_f32_e32 v30, v30, v31
	ds_bpermute_b32 v31, v13, v30
	v_cvt_f32_f16_e32 v10, v10
	s_waitcnt lgkmcnt(0)
	v_add_f32_e32 v30, v30, v31
	ds_bpermute_b32 v31, v14, v30
	s_waitcnt lgkmcnt(0)
	v_add_f32_e32 v30, v30, v31
	ds_bpermute_b32 v31, v15, v30
	;; [unrolled: 3-line block ×3, first 2 shown]
	s_waitcnt lgkmcnt(0)
	v_add_f32_e32 v30, v30, v31
	v_fmac_f32_e32 v33, 0x3c000000, v30
	v_mul_f32_e32 v30, 0x4b800000, v33
	v_cmp_gt_f32_e64 s[2:3], s7, v33
	v_cndmask_b32_e64 v30, v33, v30, s[2:3]
	v_rsq_f32_e32 v30, v30
	v_cvt_f32_f16_e32 v31, v11
	v_cvt_f32_f16_sdwa v33, v11 dst_sel:DWORD dst_unused:UNUSED_PAD src0_sel:WORD_1
	v_mul_f32_e32 v11, 0x45800000, v30
	v_cndmask_b32_e64 v11, v30, v11, s[2:3]
	v_mul_f32_e32 v30, v11, v32
	v_mul_f32_e32 v32, v11, v34
	;; [unrolled: 1-line block ×8, first 2 shown]
	s_and_saveexec_b64 s[2:3], vcc
	s_cbranch_execz .LBB21_9
; %bb.11:                               ;   in Loop: Header=BB21_10 Depth=1
	ds_bpermute_b32 v31, v17, v30
	ds_bpermute_b32 v32, v17, v11
	; wave barrier
	ds_read_b32 v33, v18
	ds_read_b32 v34, v19
	;; [unrolled: 1-line block ×8, first 2 shown]
	s_waitcnt lgkmcnt(9)
	v_cndmask_b32_e64 v31, v31, -v31, s[0:1]
	s_waitcnt lgkmcnt(6)
	v_mul_f32_e32 v31, v31, v34
	v_fmac_f32_e32 v31, v30, v33
	ds_bpermute_b32 v30, v17, v10
	ds_bpermute_b32 v33, v17, v5
	v_cndmask_b32_e64 v32, v32, -v32, s[0:1]
	s_waitcnt lgkmcnt(6)
	v_mul_f32_e32 v32, v32, v36
	v_fmac_f32_e32 v32, v11, v35
	s_waitcnt lgkmcnt(1)
	v_cndmask_b32_e64 v11, v30, -v30, s[0:1]
	v_mul_f32_e32 v34, v11, v38
	v_fmac_f32_e32 v34, v10, v37
	s_waitcnt lgkmcnt(0)
	v_cndmask_b32_e64 v10, v33, -v33, s[0:1]
	v_mul_f32_e32 v33, v10, v40
	v_fmac_f32_e32 v33, v5, v39
	v_mov_b32_e32 v30, v31
	v_mov_b32_e32 v11, v32
	;; [unrolled: 1-line block ×4, first 2 shown]
	; wave barrier
	s_branch .LBB21_9
.LBB21_12:
	s_endpgm
	.section	.rodata,"a",@progbits
	.p2align	6, 0x0
	.amdhsa_kernel _ZN12tensorrt_llm7kernels32fusedQKNormRopeKernelNTokenHeadsIN3c104HalfEfLi128ELb0ELi8EEEvPviiifPKvS6_S6_PKlii
		.amdhsa_group_segment_fixed_size 0
		.amdhsa_private_segment_fixed_size 0
		.amdhsa_kernarg_size 320
		.amdhsa_user_sgpr_count 6
		.amdhsa_user_sgpr_private_segment_buffer 1
		.amdhsa_user_sgpr_dispatch_ptr 0
		.amdhsa_user_sgpr_queue_ptr 0
		.amdhsa_user_sgpr_kernarg_segment_ptr 1
		.amdhsa_user_sgpr_dispatch_id 0
		.amdhsa_user_sgpr_flat_scratch_init 0
		.amdhsa_user_sgpr_kernarg_preload_length 0
		.amdhsa_user_sgpr_kernarg_preload_offset 0
		.amdhsa_user_sgpr_private_segment_size 0
		.amdhsa_uses_dynamic_stack 0
		.amdhsa_system_sgpr_private_segment_wavefront_offset 0
		.amdhsa_system_sgpr_workgroup_id_x 1
		.amdhsa_system_sgpr_workgroup_id_y 0
		.amdhsa_system_sgpr_workgroup_id_z 0
		.amdhsa_system_sgpr_workgroup_info 0
		.amdhsa_system_vgpr_workitem_id 0
		.amdhsa_next_free_vgpr 41
		.amdhsa_next_free_sgpr 24
		.amdhsa_accum_offset 44
		.amdhsa_reserve_vcc 1
		.amdhsa_reserve_flat_scratch 0
		.amdhsa_float_round_mode_32 0
		.amdhsa_float_round_mode_16_64 0
		.amdhsa_float_denorm_mode_32 3
		.amdhsa_float_denorm_mode_16_64 3
		.amdhsa_dx10_clamp 1
		.amdhsa_ieee_mode 1
		.amdhsa_fp16_overflow 0
		.amdhsa_tg_split 0
		.amdhsa_exception_fp_ieee_invalid_op 0
		.amdhsa_exception_fp_denorm_src 0
		.amdhsa_exception_fp_ieee_div_zero 0
		.amdhsa_exception_fp_ieee_overflow 0
		.amdhsa_exception_fp_ieee_underflow 0
		.amdhsa_exception_fp_ieee_inexact 0
		.amdhsa_exception_int_div_zero 0
	.end_amdhsa_kernel
	.section	.text._ZN12tensorrt_llm7kernels32fusedQKNormRopeKernelNTokenHeadsIN3c104HalfEfLi128ELb0ELi8EEEvPviiifPKvS6_S6_PKlii,"axG",@progbits,_ZN12tensorrt_llm7kernels32fusedQKNormRopeKernelNTokenHeadsIN3c104HalfEfLi128ELb0ELi8EEEvPviiifPKvS6_S6_PKlii,comdat
.Lfunc_end21:
	.size	_ZN12tensorrt_llm7kernels32fusedQKNormRopeKernelNTokenHeadsIN3c104HalfEfLi128ELb0ELi8EEEvPviiifPKvS6_S6_PKlii, .Lfunc_end21-_ZN12tensorrt_llm7kernels32fusedQKNormRopeKernelNTokenHeadsIN3c104HalfEfLi128ELb0ELi8EEEvPviiifPKvS6_S6_PKlii
                                        ; -- End function
	.section	.AMDGPU.csdata,"",@progbits
; Kernel info:
; codeLenInByte = 1996
; NumSgprs: 28
; NumVgprs: 41
; NumAgprs: 0
; TotalNumVgprs: 41
; ScratchSize: 0
; MemoryBound: 0
; FloatMode: 240
; IeeeMode: 1
; LDSByteSize: 0 bytes/workgroup (compile time only)
; SGPRBlocks: 3
; VGPRBlocks: 5
; NumSGPRsForWavesPerEU: 28
; NumVGPRsForWavesPerEU: 41
; AccumOffset: 44
; Occupancy: 8
; WaveLimiterHint : 0
; COMPUTE_PGM_RSRC2:SCRATCH_EN: 0
; COMPUTE_PGM_RSRC2:USER_SGPR: 6
; COMPUTE_PGM_RSRC2:TRAP_HANDLER: 0
; COMPUTE_PGM_RSRC2:TGID_X_EN: 1
; COMPUTE_PGM_RSRC2:TGID_Y_EN: 0
; COMPUTE_PGM_RSRC2:TGID_Z_EN: 0
; COMPUTE_PGM_RSRC2:TIDIG_COMP_CNT: 0
; COMPUTE_PGM_RSRC3_GFX90A:ACCUM_OFFSET: 10
; COMPUTE_PGM_RSRC3_GFX90A:TG_SPLIT: 0
	.section	.text._ZN12tensorrt_llm7kernels32fusedQKNormRopeKernelNTokenHeadsIN3c104HalfEfLi256ELb1ELi8EEEvPviiifPKvS6_S6_PKlii,"axG",@progbits,_ZN12tensorrt_llm7kernels32fusedQKNormRopeKernelNTokenHeadsIN3c104HalfEfLi256ELb1ELi8EEEvPviiifPKvS6_S6_PKlii,comdat
	.protected	_ZN12tensorrt_llm7kernels32fusedQKNormRopeKernelNTokenHeadsIN3c104HalfEfLi256ELb1ELi8EEEvPviiifPKvS6_S6_PKlii ; -- Begin function _ZN12tensorrt_llm7kernels32fusedQKNormRopeKernelNTokenHeadsIN3c104HalfEfLi256ELb1ELi8EEEvPviiifPKvS6_S6_PKlii
	.globl	_ZN12tensorrt_llm7kernels32fusedQKNormRopeKernelNTokenHeadsIN3c104HalfEfLi256ELb1ELi8EEEvPviiifPKvS6_S6_PKlii
	.p2align	8
	.type	_ZN12tensorrt_llm7kernels32fusedQKNormRopeKernelNTokenHeadsIN3c104HalfEfLi256ELb1ELi8EEEvPviiifPKvS6_S6_PKlii,@function
_ZN12tensorrt_llm7kernels32fusedQKNormRopeKernelNTokenHeadsIN3c104HalfEfLi256ELb1ELi8EEEvPviiifPKvS6_S6_PKlii: ; @_ZN12tensorrt_llm7kernels32fusedQKNormRopeKernelNTokenHeadsIN3c104HalfEfLi256ELb1ELi8EEEvPviiifPKvS6_S6_PKlii
; %bb.0:
	s_load_dwordx4 s[12:15], s[4:5], 0x8
	s_load_dwordx2 s[16:17], s[4:5], 0x38
	s_load_dword s1, s[4:5], 0x4c
	v_lshrrev_b32_e32 v1, 5, v0
	s_waitcnt lgkmcnt(0)
	s_add_i32 s0, s13, s12
	s_add_i32 s2, s0, 7
	s_ashr_i32 s3, s2, 31
	s_lshr_b32 s3, s3, 29
	s_add_i32 s2, s2, s3
	s_ashr_i32 s20, s2, 3
	s_abs_i32 s2, s20
	v_cvt_f32_u32_e32 v2, s2
	s_bfe_u32 s1, s1, 0xb0005
	s_mul_i32 s6, s6, s1
	s_sub_i32 s3, 0, s2
	v_rcp_iflag_f32_e32 v3, v2
	v_add_u32_e32 v2, s6, v1
	v_sub_u32_e32 v4, 0, v2
	v_max_i32_e32 v4, v2, v4
	v_mul_f32_e32 v3, 0x4f7ffffe, v3
	v_cvt_u32_f32_e32 v3, v3
	v_xor_b32_e32 v5, s20, v2
	v_ashrrev_i32_e32 v5, 31, v5
	v_mul_lo_u32 v6, s3, v3
	v_mul_hi_u32 v6, v3, v6
	v_add_u32_e32 v3, v3, v6
	v_mul_hi_u32 v3, v4, v3
	v_mul_lo_u32 v6, v3, s2
	v_sub_u32_e32 v4, v4, v6
	v_add_u32_e32 v6, 1, v3
	v_cmp_le_u32_e32 vcc, s2, v4
	v_cndmask_b32_e32 v3, v3, v6, vcc
	v_subrev_u32_e32 v6, s2, v4
	v_cndmask_b32_e32 v4, v4, v6, vcc
	v_add_u32_e32 v6, 1, v3
	v_cmp_le_u32_e32 vcc, s2, v4
	v_cndmask_b32_e32 v3, v3, v6, vcc
	v_xor_b32_e32 v3, v3, v5
	v_sub_u32_e32 v8, v3, v5
	v_cmp_gt_i32_e32 vcc, s16, v8
	s_and_saveexec_b64 s[2:3], vcc
	s_cbranch_execz .LBB22_12
; %bb.1:
	v_mul_lo_u32 v3, v8, s20
	v_sub_u32_e32 v3, v2, v3
	s_load_dwordx2 s[2:3], s[4:5], 0x0
	v_lshlrev_b32_e32 v18, 3, v3
	v_add_u32_e32 v3, 8, v18
	v_sub_u32_e32 v4, s0, v18
	v_cmp_lt_i32_e32 vcc, s0, v3
	v_and_b32_e32 v10, 31, v0
	v_cndmask_b32_e32 v19, 8, v4, vcc
	s_lshl_b32 s18, s17, 2
	s_mul_i32 s16, s18, s1
	v_lshlrev_b32_e32 v13, 12, v1
	v_cmp_lt_i32_e64 s[0:1], 0, v19
	v_lshlrev_b32_e32 v12, 4, v10
	v_lshlrev_b32_e32 v11, 11, v2
	s_and_saveexec_b64 s[6:7], s[0:1]
	s_cbranch_execz .LBB22_4
; %bb.2:
	s_add_i32 s8, s16, 0
	v_add3_u32 v4, s8, v13, v12
	s_add_i32 s8, s14, s13
	s_add_i32 s8, s8, s12
	s_lshl_b32 s9, s20, 3
	s_sub_i32 s8, s8, s9
	v_mul_lo_u32 v2, s8, v8
	v_lshl_add_u32 v2, v2, 8, v11
	s_mov_b32 s10, 0
	v_lshl_or_b32 v2, v10, 3, v2
	s_mov_b64 s[8:9], 0
	s_waitcnt lgkmcnt(0)
	v_mov_b32_e32 v5, s3
.LBB22_3:                               ; =>This Inner Loop Header: Depth=1
	v_ashrrev_i32_e32 v3, 31, v2
	v_lshlrev_b64 v[6:7], 1, v[2:3]
	v_add_co_u32_e32 v6, vcc, s2, v6
	v_addc_co_u32_e32 v7, vcc, v5, v7, vcc
	global_load_dwordx4 v[14:17], v[6:7], off
	s_add_i32 s10, s10, 1
	v_cmp_ge_i32_e32 vcc, s10, v19
	v_add_u32_e32 v2, 0x100, v2
	s_or_b64 s[8:9], vcc, s[8:9]
	s_waitcnt vmcnt(0)
	ds_write_b128 v4, v[14:17]
	v_add_u32_e32 v4, 0x200, v4
	s_andn2_b64 exec, exec, s[8:9]
	s_cbranch_execnz .LBB22_3
.LBB22_4:
	s_or_b64 exec, exec, s[6:7]
	s_add_i32 s18, s18, 15
	s_load_dwordx8 s[4:11], s[4:5], 0x18
	s_ashr_i32 s19, s18, 31
	s_lshr_b32 s19, s19, 28
	s_add_i32 s18, s18, s19
	s_ashr_i32 s21, s18, 4
	v_mul_lo_u32 v1, v1, s17
	v_cmp_gt_i32_e32 vcc, s21, v10
	v_lshlrev_b32_e32 v14, 2, v1
	s_and_saveexec_b64 s[18:19], vcc
	s_cbranch_execz .LBB22_7
; %bb.5:
	v_ashrrev_i32_e32 v9, 31, v8
	v_lshlrev_b64 v[2:3], 3, v[8:9]
	s_waitcnt lgkmcnt(0)
	v_mov_b32_e32 v1, s11
	v_add_co_u32_e32 v2, vcc, s10, v2
	v_addc_co_u32_e32 v3, vcc, v1, v3, vcc
	global_load_dwordx2 v[4:5], v[2:3], off
	s_ashr_i32 s22, s17, 31
	v_and_b32_e32 v0, 31, v0
	v_lshlrev_b32_e32 v6, 4, v0
	v_mov_b32_e32 v3, s9
	v_add3_u32 v2, v14, v12, 0
	s_mov_b64 s[10:11], 0
	s_waitcnt vmcnt(0)
	v_mul_lo_u32 v5, v5, s17
	v_mul_lo_u32 v7, v4, s22
	v_mad_u64_u32 v[0:1], s[22:23], v4, s17, 0
	v_add3_u32 v1, v1, v7, v5
	v_lshlrev_b64 v[0:1], 2, v[0:1]
	v_add_co_u32_e32 v0, vcc, v0, v6
	v_addc_co_u32_e32 v1, vcc, 0, v1, vcc
	v_add_co_u32_e32 v0, vcc, s8, v0
	v_addc_co_u32_e32 v1, vcc, v3, v1, vcc
	v_mov_b32_e32 v3, v10
.LBB22_6:                               ; =>This Inner Loop Header: Depth=1
	global_load_dwordx4 v[4:7], v[0:1], off
	v_add_co_u32_e32 v0, vcc, 0x200, v0
	v_add_u32_e32 v3, 32, v3
	v_addc_co_u32_e32 v1, vcc, 0, v1, vcc
	v_cmp_le_i32_e32 vcc, s21, v3
	s_or_b64 s[10:11], vcc, s[10:11]
	s_waitcnt vmcnt(0)
	ds_write_b128 v2, v[4:7]
	v_add_u32_e32 v2, 0x200, v2
	s_andn2_b64 exec, exec, s[10:11]
	s_cbranch_execnz .LBB22_6
.LBB22_7:
	s_or_b64 exec, exec, s[18:19]
	s_and_b64 exec, exec, s[0:1]
	s_cbranch_execz .LBB22_12
; %bb.8:
	s_waitcnt lgkmcnt(0)
	global_load_dwordx4 v[0:3], v12, s[4:5]
	global_load_dwordx4 v[4:7], v12, s[6:7]
	v_mbcnt_lo_u32_b32 v9, -1, 0
	v_add_u32_e32 v13, s16, v13
	v_mbcnt_hi_u32_b32 v9, -1, v9
	v_add3_u32 v20, 0, v14, v12
	v_add3_u32 v22, v13, v12, 0
	v_and_b32_e32 v12, 0x60, v9
	v_xor_b32_e32 v13, 16, v9
	v_add_u32_e32 v12, 32, v12
	v_xor_b32_e32 v14, 8, v9
	v_cmp_lt_i32_e32 vcc, v13, v12
	s_add_i32 s8, s14, s13
	v_xor_b32_e32 v15, 4, v9
	v_cndmask_b32_e32 v13, v9, v13, vcc
	v_cmp_lt_i32_e32 vcc, v14, v12
	s_lshr_b32 s0, s17, 31
	s_ashr_i32 s1, s17, 31
	s_lshl_b32 s9, s20, 3
	s_add_i32 s8, s8, s12
	v_xor_b32_e32 v16, 2, v9
	v_cndmask_b32_e32 v14, v9, v14, vcc
	v_cmp_lt_i32_e32 vcc, v15, v12
	s_add_i32 s0, s17, s0
	s_lshr_b32 s1, s1, 29
	v_xor_b32_e32 v17, 1, v9
	s_sub_i32 s8, s8, s9
	v_cndmask_b32_e32 v15, v9, v15, vcc
	v_cmp_lt_i32_e32 vcc, v16, v12
	s_lshl_b32 s0, s0, 1
	s_add_i32 s1, s17, s1
	v_mul_lo_u32 v8, s8, v8
	v_cndmask_b32_e32 v16, v9, v16, vcc
	v_cmp_lt_i32_e32 vcc, v17, v12
	s_and_b32 s0, s0, -4
	s_ashr_i32 s1, s1, 3
	v_cndmask_b32_e32 v9, v9, v17, vcc
	v_lshl_add_u32 v8, v8, 8, v11
	s_mov_b32 s6, 0
	s_mov_b64 s[4:5], 0
	v_mov_b32_e32 v21, s15
	s_mov_b32 s7, 0x800000
	v_cmp_gt_i32_e32 vcc, s1, v10
	v_add_u32_e32 v23, s0, v20
	v_lshlrev_b32_e32 v24, 2, v13
	v_lshlrev_b32_e32 v25, 2, v14
	v_lshlrev_b32_e32 v26, 2, v15
	v_lshlrev_b32_e32 v27, 2, v16
	v_lshlrev_b32_e32 v28, 2, v9
	v_lshl_or_b32 v8, v10, 3, v8
	s_waitcnt vmcnt(1)
	v_lshrrev_b32_e32 v29, 16, v0
	s_waitcnt vmcnt(0)
	v_lshrrev_b32_e32 v30, 16, v4
	v_lshrrev_b32_e32 v31, 16, v1
	;; [unrolled: 1-line block ×7, first 2 shown]
	s_branch .LBB22_10
.LBB22_9:                               ;   in Loop: Header=BB22_10 Depth=1
	s_or_b64 exec, exec, s[0:1]
	v_ashrrev_i32_e32 v9, 31, v8
	v_cvt_f16_f32_e32 v37, v10
	v_cvt_f16_f32_e32 v38, v11
	;; [unrolled: 1-line block ×8, first 2 shown]
	v_lshlrev_b64 v[10:11], 1, v[8:9]
	v_mov_b32_e32 v9, s3
	v_add_co_u32_e64 v14, s[0:1], s2, v10
	v_addc_co_u32_e64 v15, s[0:1], v9, v11, s[0:1]
	s_add_i32 s6, s6, 1
	v_cmp_ge_i32_e64 s[0:1], s6, v19
	v_pack_b32_f16 v13, v13, v16
	v_pack_b32_f16 v12, v12, v41
	;; [unrolled: 1-line block ×4, first 2 shown]
	v_add_u32_e32 v8, 0x100, v8
	s_or_b64 s[4:5], s[0:1], s[4:5]
	v_add_u32_e32 v22, 0x200, v22
	global_store_dwordx4 v[14:15], v[10:13], off
	s_andn2_b64 exec, exec, s[4:5]
	s_cbranch_execz .LBB22_12
.LBB22_10:                              ; =>This Inner Loop Header: Depth=1
	ds_read_b128 v[10:13], v22
	v_mov_b32_e32 v37, v21
	s_waitcnt lgkmcnt(0)
	v_cvt_f32_f16_sdwa v15, v10 dst_sel:DWORD dst_unused:UNUSED_PAD src0_sel:WORD_1
	v_cvt_f32_f16_e32 v14, v10
	v_cvt_f32_f16_sdwa v39, v11 dst_sel:DWORD dst_unused:UNUSED_PAD src0_sel:WORD_1
	v_cvt_f32_f16_e32 v38, v11
	;; [unrolled: 2-line block ×4, first 2 shown]
	v_pk_mul_f32 v[12:13], v[14:15], v[14:15]
	v_pk_mul_f32 v[42:43], v[38:39], v[38:39]
	v_add_f32_e32 v9, v12, v13
	v_add_f32_e32 v9, v9, v42
	v_pk_mul_f32 v[44:45], v[40:41], v[40:41]
	v_add_f32_e32 v9, v9, v43
	v_add_f32_e32 v9, v9, v44
	;; [unrolled: 3-line block ×3, first 2 shown]
	v_add_f32_e32 v9, v9, v11
	ds_bpermute_b32 v10, v24, v9
	v_add_u32_e32 v11, s6, v18
	v_cmp_gt_i32_e64 s[0:1], s12, v11
	v_cndmask_b32_e64 v11, v30, v29, s[0:1]
	v_cndmask_b32_e64 v12, v4, v0, s[0:1]
	s_waitcnt lgkmcnt(0)
	v_add_f32_e32 v9, v9, v10
	ds_bpermute_b32 v10, v25, v9
	v_cndmask_b32_e64 v13, v32, v31, s[0:1]
	v_cndmask_b32_e64 v42, v5, v1, s[0:1]
	;; [unrolled: 1-line block ×4, first 2 shown]
	s_waitcnt lgkmcnt(0)
	v_add_f32_e32 v9, v9, v10
	ds_bpermute_b32 v10, v26, v9
	v_cndmask_b32_e64 v45, v36, v35, s[0:1]
	v_cndmask_b32_e64 v47, v7, v3, s[0:1]
	v_cvt_f32_f16_e32 v11, v11
	v_cvt_f32_f16_e32 v13, v13
	s_waitcnt lgkmcnt(0)
	v_add_f32_e32 v9, v9, v10
	ds_bpermute_b32 v10, v27, v9
	v_cvt_f32_f16_e32 v43, v43
	v_cvt_f32_f16_e32 v45, v45
	s_waitcnt lgkmcnt(0)
	v_add_f32_e32 v9, v9, v10
	ds_bpermute_b32 v46, v28, v9
	v_cvt_f32_f16_e32 v10, v12
	v_cvt_f32_f16_e32 v12, v42
	v_cvt_f32_f16_e32 v42, v44
	v_cvt_f32_f16_e32 v44, v47
	s_waitcnt lgkmcnt(0)
	v_add_f32_e32 v9, v9, v46
	v_fmac_f32_e32 v37, 0x3b800000, v9
	v_mul_f32_e32 v9, 0x4b800000, v37
	v_cmp_gt_f32_e64 s[0:1], s7, v37
	v_cndmask_b32_e64 v9, v37, v9, s[0:1]
	v_rsq_f32_e32 v9, v9
	v_mul_f32_e32 v37, 0x45800000, v9
	v_cndmask_b32_e64 v46, v9, v37, s[0:1]
	v_pk_mul_f32 v[10:11], v[46:47], v[10:11] op_sel_hi:[0,1]
	v_pk_mul_f32 v[12:13], v[46:47], v[12:13] op_sel_hi:[0,1]
	v_pk_mul_f32 v[10:11], v[10:11], v[14:15]
	v_pk_mul_f32 v[12:13], v[12:13], v[38:39]
	v_pk_mul_f32 v[14:15], v[46:47], v[42:43] op_sel_hi:[0,1]
	v_pk_mul_f32 v[38:39], v[46:47], v[44:45] op_sel_hi:[0,1]
	v_pk_mul_f32 v[14:15], v[14:15], v[40:41]
	v_pk_mul_f32 v[16:17], v[38:39], v[16:17]
	s_and_saveexec_b64 s[0:1], vcc
	s_cbranch_execz .LBB22_9
; %bb.11:                               ;   in Loop: Header=BB22_10 Depth=1
	ds_read2_b32 v[38:39], v23 offset1:1
	ds_read2_b32 v[40:41], v20 offset1:1
	ds_read2_b32 v[42:43], v23 offset0:2 offset1:3
	ds_read2_b32 v[44:45], v20 offset0:2 offset1:3
	s_waitcnt lgkmcnt(3)
	v_pk_mul_f32 v[46:47], v[10:11], v[38:39] op_sel_hi:[1,0]
	v_pk_mul_f32 v[38:39], v[12:13], v[38:39] op_sel:[0,1]
	s_waitcnt lgkmcnt(2)
	v_pk_fma_f32 v[50:51], v[12:13], v[40:41], v[38:39] op_sel:[0,1,1] op_sel_hi:[1,1,0] neg_lo:[0,0,1] neg_hi:[0,0,1]
	v_pk_fma_f32 v[12:13], v[12:13], v[40:41], v[38:39] op_sel:[0,1,1] op_sel_hi:[1,1,0]
	s_waitcnt lgkmcnt(1)
	v_pk_mul_f32 v[38:39], v[14:15], v[42:43] op_sel_hi:[1,0]
	v_pk_mul_f32 v[48:49], v[10:11], v[40:41] op_sel_hi:[1,0]
	v_pk_fma_f32 v[10:11], v[10:11], v[40:41], v[46:47] op_sel:[0,0,1] op_sel_hi:[1,0,0]
	s_waitcnt lgkmcnt(0)
	v_pk_fma_f32 v[40:41], v[14:15], v[44:45], v[38:39] op_sel:[0,0,1] op_sel_hi:[1,0,0] neg_lo:[0,0,1] neg_hi:[0,0,1]
	v_pk_fma_f32 v[14:15], v[14:15], v[44:45], v[38:39] op_sel:[0,0,1] op_sel_hi:[1,0,0]
	v_mov_b32_e32 v44, v43
	v_pk_mul_f32 v[38:39], v[16:17], v[44:45]
	v_mul_f32_e32 v9, v17, v43
	v_mov_b32_e32 v10, v39
	v_fma_f32 v9, v16, v45, -v9
	v_pk_fma_f32 v[38:39], v[16:17], v[44:45], v[10:11]
	v_sub_f32_e32 v10, v48, v47
	v_mov_b32_e32 v12, v50
	v_mov_b32_e32 v14, v40
	;; [unrolled: 1-line block ×4, first 2 shown]
	s_branch .LBB22_9
.LBB22_12:
	s_endpgm
	.section	.rodata,"a",@progbits
	.p2align	6, 0x0
	.amdhsa_kernel _ZN12tensorrt_llm7kernels32fusedQKNormRopeKernelNTokenHeadsIN3c104HalfEfLi256ELb1ELi8EEEvPviiifPKvS6_S6_PKlii
		.amdhsa_group_segment_fixed_size 0
		.amdhsa_private_segment_fixed_size 0
		.amdhsa_kernarg_size 320
		.amdhsa_user_sgpr_count 6
		.amdhsa_user_sgpr_private_segment_buffer 1
		.amdhsa_user_sgpr_dispatch_ptr 0
		.amdhsa_user_sgpr_queue_ptr 0
		.amdhsa_user_sgpr_kernarg_segment_ptr 1
		.amdhsa_user_sgpr_dispatch_id 0
		.amdhsa_user_sgpr_flat_scratch_init 0
		.amdhsa_user_sgpr_kernarg_preload_length 0
		.amdhsa_user_sgpr_kernarg_preload_offset 0
		.amdhsa_user_sgpr_private_segment_size 0
		.amdhsa_uses_dynamic_stack 0
		.amdhsa_system_sgpr_private_segment_wavefront_offset 0
		.amdhsa_system_sgpr_workgroup_id_x 1
		.amdhsa_system_sgpr_workgroup_id_y 0
		.amdhsa_system_sgpr_workgroup_id_z 0
		.amdhsa_system_sgpr_workgroup_info 0
		.amdhsa_system_vgpr_workitem_id 0
		.amdhsa_next_free_vgpr 52
		.amdhsa_next_free_sgpr 24
		.amdhsa_accum_offset 52
		.amdhsa_reserve_vcc 1
		.amdhsa_reserve_flat_scratch 0
		.amdhsa_float_round_mode_32 0
		.amdhsa_float_round_mode_16_64 0
		.amdhsa_float_denorm_mode_32 3
		.amdhsa_float_denorm_mode_16_64 3
		.amdhsa_dx10_clamp 1
		.amdhsa_ieee_mode 1
		.amdhsa_fp16_overflow 0
		.amdhsa_tg_split 0
		.amdhsa_exception_fp_ieee_invalid_op 0
		.amdhsa_exception_fp_denorm_src 0
		.amdhsa_exception_fp_ieee_div_zero 0
		.amdhsa_exception_fp_ieee_overflow 0
		.amdhsa_exception_fp_ieee_underflow 0
		.amdhsa_exception_fp_ieee_inexact 0
		.amdhsa_exception_int_div_zero 0
	.end_amdhsa_kernel
	.section	.text._ZN12tensorrt_llm7kernels32fusedQKNormRopeKernelNTokenHeadsIN3c104HalfEfLi256ELb1ELi8EEEvPviiifPKvS6_S6_PKlii,"axG",@progbits,_ZN12tensorrt_llm7kernels32fusedQKNormRopeKernelNTokenHeadsIN3c104HalfEfLi256ELb1ELi8EEEvPviiifPKvS6_S6_PKlii,comdat
.Lfunc_end22:
	.size	_ZN12tensorrt_llm7kernels32fusedQKNormRopeKernelNTokenHeadsIN3c104HalfEfLi256ELb1ELi8EEEvPviiifPKvS6_S6_PKlii, .Lfunc_end22-_ZN12tensorrt_llm7kernels32fusedQKNormRopeKernelNTokenHeadsIN3c104HalfEfLi256ELb1ELi8EEEvPviiifPKvS6_S6_PKlii
                                        ; -- End function
	.section	.AMDGPU.csdata,"",@progbits
; Kernel info:
; codeLenInByte = 1748
; NumSgprs: 28
; NumVgprs: 52
; NumAgprs: 0
; TotalNumVgprs: 52
; ScratchSize: 0
; MemoryBound: 0
; FloatMode: 240
; IeeeMode: 1
; LDSByteSize: 0 bytes/workgroup (compile time only)
; SGPRBlocks: 3
; VGPRBlocks: 6
; NumSGPRsForWavesPerEU: 28
; NumVGPRsForWavesPerEU: 52
; AccumOffset: 52
; Occupancy: 8
; WaveLimiterHint : 0
; COMPUTE_PGM_RSRC2:SCRATCH_EN: 0
; COMPUTE_PGM_RSRC2:USER_SGPR: 6
; COMPUTE_PGM_RSRC2:TRAP_HANDLER: 0
; COMPUTE_PGM_RSRC2:TGID_X_EN: 1
; COMPUTE_PGM_RSRC2:TGID_Y_EN: 0
; COMPUTE_PGM_RSRC2:TGID_Z_EN: 0
; COMPUTE_PGM_RSRC2:TIDIG_COMP_CNT: 0
; COMPUTE_PGM_RSRC3_GFX90A:ACCUM_OFFSET: 12
; COMPUTE_PGM_RSRC3_GFX90A:TG_SPLIT: 0
	.section	.text._ZN12tensorrt_llm7kernels32fusedQKNormRopeKernelNTokenHeadsIN3c104HalfEfLi256ELb0ELi8EEEvPviiifPKvS6_S6_PKlii,"axG",@progbits,_ZN12tensorrt_llm7kernels32fusedQKNormRopeKernelNTokenHeadsIN3c104HalfEfLi256ELb0ELi8EEEvPviiifPKvS6_S6_PKlii,comdat
	.protected	_ZN12tensorrt_llm7kernels32fusedQKNormRopeKernelNTokenHeadsIN3c104HalfEfLi256ELb0ELi8EEEvPviiifPKvS6_S6_PKlii ; -- Begin function _ZN12tensorrt_llm7kernels32fusedQKNormRopeKernelNTokenHeadsIN3c104HalfEfLi256ELb0ELi8EEEvPviiifPKvS6_S6_PKlii
	.globl	_ZN12tensorrt_llm7kernels32fusedQKNormRopeKernelNTokenHeadsIN3c104HalfEfLi256ELb0ELi8EEEvPviiifPKvS6_S6_PKlii
	.p2align	8
	.type	_ZN12tensorrt_llm7kernels32fusedQKNormRopeKernelNTokenHeadsIN3c104HalfEfLi256ELb0ELi8EEEvPviiifPKvS6_S6_PKlii,@function
_ZN12tensorrt_llm7kernels32fusedQKNormRopeKernelNTokenHeadsIN3c104HalfEfLi256ELb0ELi8EEEvPviiifPKvS6_S6_PKlii: ; @_ZN12tensorrt_llm7kernels32fusedQKNormRopeKernelNTokenHeadsIN3c104HalfEfLi256ELb0ELi8EEEvPviiifPKvS6_S6_PKlii
; %bb.0:
	s_load_dwordx4 s[12:15], s[4:5], 0x8
	s_load_dwordx2 s[2:3], s[4:5], 0x38
	s_load_dword s1, s[4:5], 0x4c
	v_lshrrev_b32_e32 v1, 5, v0
	s_waitcnt lgkmcnt(0)
	s_add_i32 s0, s13, s12
	s_add_i32 s7, s0, 7
	s_ashr_i32 s8, s7, 31
	s_lshr_b32 s8, s8, 29
	s_add_i32 s7, s7, s8
	s_ashr_i32 s20, s7, 3
	s_abs_i32 s7, s20
	v_cvt_f32_u32_e32 v2, s7
	s_bfe_u32 s1, s1, 0xb0005
	s_mul_i32 s6, s6, s1
	v_rcp_iflag_f32_e32 v3, v2
	v_add_u32_e32 v2, s6, v1
	s_sub_i32 s6, 0, s7
	v_sub_u32_e32 v4, 0, v2
	v_mul_f32_e32 v3, 0x4f7ffffe, v3
	v_cvt_u32_f32_e32 v3, v3
	v_max_i32_e32 v4, v2, v4
	v_xor_b32_e32 v5, s20, v2
	v_ashrrev_i32_e32 v5, 31, v5
	v_mul_lo_u32 v6, s6, v3
	v_mul_hi_u32 v6, v3, v6
	v_add_u32_e32 v3, v3, v6
	v_mul_hi_u32 v3, v4, v3
	v_mul_lo_u32 v6, v3, s7
	v_sub_u32_e32 v4, v4, v6
	v_add_u32_e32 v6, 1, v3
	v_cmp_le_u32_e32 vcc, s7, v4
	v_cndmask_b32_e32 v3, v3, v6, vcc
	v_subrev_u32_e32 v6, s7, v4
	v_cndmask_b32_e32 v4, v4, v6, vcc
	v_add_u32_e32 v6, 1, v3
	v_cmp_le_u32_e32 vcc, s7, v4
	v_cndmask_b32_e32 v3, v3, v6, vcc
	v_xor_b32_e32 v3, v3, v5
	v_sub_u32_e32 v8, v3, v5
	v_cmp_gt_i32_e32 vcc, s2, v8
	s_and_saveexec_b64 s[6:7], vcc
	s_cbranch_execz .LBB23_12
; %bb.1:
	v_mul_lo_u32 v3, v8, s20
	v_sub_u32_e32 v3, v2, v3
	s_load_dwordx2 s[16:17], s[4:5], 0x0
	v_lshlrev_b32_e32 v10, 3, v3
	v_add_u32_e32 v3, 8, v10
	v_sub_u32_e32 v4, s0, v10
	v_cmp_lt_i32_e32 vcc, s0, v3
	v_and_b32_e32 v20, 31, v0
	v_cndmask_b32_e32 v11, 8, v4, vcc
	s_lshl_b32 s2, s3, 2
	s_mul_i32 s21, s2, s1
	v_lshlrev_b32_e32 v29, 12, v1
	v_cmp_lt_i32_e64 s[0:1], 0, v11
	v_lshlrev_b32_e32 v30, 4, v20
	v_lshlrev_b32_e32 v31, 11, v2
	s_and_saveexec_b64 s[6:7], s[0:1]
	s_cbranch_execz .LBB23_4
; %bb.2:
	s_add_i32 s8, s21, 0
	v_add3_u32 v4, s8, v29, v30
	s_add_i32 s8, s14, s13
	s_add_i32 s8, s8, s12
	s_lshl_b32 s9, s20, 3
	s_sub_i32 s8, s8, s9
	v_mul_lo_u32 v2, s8, v8
	v_lshl_add_u32 v2, v2, 8, v31
	s_mov_b32 s10, 0
	v_lshl_or_b32 v2, v20, 3, v2
	s_mov_b64 s[8:9], 0
	s_waitcnt lgkmcnt(0)
	v_mov_b32_e32 v5, s17
.LBB23_3:                               ; =>This Inner Loop Header: Depth=1
	v_ashrrev_i32_e32 v3, 31, v2
	v_lshlrev_b64 v[6:7], 1, v[2:3]
	v_add_co_u32_e32 v6, vcc, s16, v6
	v_addc_co_u32_e32 v7, vcc, v5, v7, vcc
	global_load_dwordx4 v[12:15], v[6:7], off
	s_add_i32 s10, s10, 1
	v_cmp_ge_i32_e32 vcc, s10, v11
	v_add_u32_e32 v2, 0x100, v2
	s_or_b64 s[8:9], vcc, s[8:9]
	s_waitcnt vmcnt(0)
	ds_write_b128 v4, v[12:15]
	v_add_u32_e32 v4, 0x200, v4
	s_andn2_b64 exec, exec, s[8:9]
	s_cbranch_execnz .LBB23_3
.LBB23_4:
	s_or_b64 exec, exec, s[6:7]
	s_add_i32 s2, s2, 15
	s_load_dwordx8 s[4:11], s[4:5], 0x18
	s_ashr_i32 s18, s2, 31
	s_lshr_b32 s18, s18, 28
	s_add_i32 s2, s2, s18
	s_ashr_i32 s2, s2, 4
	v_cmp_gt_i32_e32 vcc, s2, v20
	v_mul_lo_u32 v12, v1, s3
	s_and_saveexec_b64 s[18:19], vcc
	s_cbranch_execz .LBB23_7
; %bb.5:
	v_ashrrev_i32_e32 v9, 31, v8
	v_lshlrev_b64 v[2:3], 3, v[8:9]
	s_waitcnt lgkmcnt(0)
	v_mov_b32_e32 v1, s11
	v_add_co_u32_e32 v2, vcc, s10, v2
	v_addc_co_u32_e32 v3, vcc, v1, v3, vcc
	global_load_dwordx2 v[4:5], v[2:3], off
	s_ashr_i32 s22, s3, 31
	v_lshlrev_b32_e32 v1, 2, v12
	v_and_b32_e32 v0, 31, v0
	v_add3_u32 v2, v1, v30, 0
	v_lshlrev_b32_e32 v6, 4, v0
	v_mov_b32_e32 v3, s9
	s_mov_b64 s[10:11], 0
	s_waitcnt vmcnt(0)
	v_mul_lo_u32 v5, v5, s3
	v_mul_lo_u32 v7, v4, s22
	v_mad_u64_u32 v[0:1], s[22:23], v4, s3, 0
	v_add3_u32 v1, v1, v7, v5
	v_lshlrev_b64 v[0:1], 2, v[0:1]
	v_add_co_u32_e32 v0, vcc, v0, v6
	v_addc_co_u32_e32 v1, vcc, 0, v1, vcc
	v_add_co_u32_e32 v0, vcc, s8, v0
	v_addc_co_u32_e32 v1, vcc, v3, v1, vcc
	v_mov_b32_e32 v3, v20
.LBB23_6:                               ; =>This Inner Loop Header: Depth=1
	global_load_dwordx4 v[4:7], v[0:1], off
	v_add_co_u32_e32 v0, vcc, 0x200, v0
	v_add_u32_e32 v3, 32, v3
	v_addc_co_u32_e32 v1, vcc, 0, v1, vcc
	v_cmp_le_i32_e32 vcc, s2, v3
	s_or_b64 s[10:11], vcc, s[10:11]
	s_waitcnt vmcnt(0)
	ds_write_b128 v2, v[4:7]
	v_add_u32_e32 v2, 0x200, v2
	s_andn2_b64 exec, exec, s[10:11]
	s_cbranch_execnz .LBB23_6
.LBB23_7:
	s_or_b64 exec, exec, s[18:19]
	s_and_b64 exec, exec, s[0:1]
	s_cbranch_execz .LBB23_12
; %bb.8:
	s_waitcnt lgkmcnt(0)
	global_load_dwordx4 v[0:3], v30, s[4:5]
	global_load_dwordx4 v[4:7], v30, s[6:7]
	v_lshl_add_u32 v9, v12, 2, 0
	v_mbcnt_lo_u32_b32 v12, -1, 0
	s_abs_i32 s4, s3
	v_mbcnt_hi_u32_b32 v17, -1, v12
	v_cvt_f32_u32_e32 v14, s4
	v_and_b32_e32 v12, 0x60, v17
	v_xor_b32_e32 v13, 16, v17
	v_add_u32_e32 v12, 32, v12
	v_xor_b32_e32 v15, 8, v17
	v_cmp_lt_i32_e32 vcc, v13, v12
	v_xor_b32_e32 v16, 4, v17
	v_cndmask_b32_e32 v13, v17, v13, vcc
	v_cmp_lt_i32_e32 vcc, v15, v12
	v_rcp_iflag_f32_e32 v23, v14
	v_xor_b32_e32 v18, 2, v17
	v_cndmask_b32_e32 v15, v17, v15, vcc
	v_cmp_lt_i32_e32 vcc, v16, v12
	v_cndmask_b32_e32 v16, v17, v16, vcc
	v_cmp_lt_i32_e32 vcc, v18, v12
	v_xor_b32_e32 v19, 1, v17
	v_cndmask_b32_e32 v18, v17, v18, vcc
	v_cmp_lt_i32_e32 vcc, v19, v12
	v_lshlrev_b32_e32 v12, 2, v13
	v_lshlrev_b32_e32 v13, 2, v15
	;; [unrolled: 1-line block ×3, first 2 shown]
	v_mul_f32_e32 v18, 0x4f7ffffe, v23
	v_cvt_u32_f32_e32 v18, v18
	s_sub_i32 s5, 0, s4
	v_cndmask_b32_e32 v19, v17, v19, vcc
	s_ashr_i32 s1, s3, 31
	v_lshlrev_b32_e32 v14, 2, v16
	v_lshlrev_b32_e32 v16, 2, v19
	v_mul_lo_u32 v19, s5, v18
	s_lshr_b32 s2, s1, 29
	s_lshr_b32 s1, s1, 28
	v_mul_hi_u32 v19, v18, v19
	s_add_i32 s1, s3, s1
	v_add_u32_e32 v46, v18, v19
	s_add_i32 s2, s3, s2
	v_and_b32_e32 v21, 64, v17
	s_ashr_i32 s1, s1, 4
	v_mul_hi_u32 v18, v30, v46
	s_lshr_b32 s0, s3, 31
	s_ashr_i32 s2, s2, 3
	v_add_u32_e32 v21, 64, v21
	v_xor_b32_e32 v22, s1, v17
	v_mul_lo_u32 v18, v18, s4
	v_or_b32_e32 v32, 2, v30
	s_add_i32 s0, s3, s0
	v_cmp_gt_i32_e32 vcc, s2, v20
	v_cmp_lt_i32_e64 s[2:3], v22, v21
	v_sub_u32_e32 v18, v30, v18
	v_cndmask_b32_e64 v17, v17, v22, s[2:3]
	v_subrev_u32_e32 v19, s4, v18
	v_cmp_le_u32_e64 s[2:3], s4, v18
	v_mul_hi_u32 v33, v32, v46
	v_cndmask_b32_e64 v18, v18, v19, s[2:3]
	v_mul_lo_u32 v33, v33, s4
	v_or_b32_e32 v34, 4, v30
	v_subrev_u32_e32 v19, s4, v18
	v_cmp_le_u32_e64 s[2:3], s4, v18
	v_sub_u32_e32 v32, v32, v33
	v_cndmask_b32_e64 v27, v18, v19, s[2:3]
	v_subrev_u32_e32 v33, s4, v32
	v_cmp_le_u32_e64 s[2:3], s4, v32
	v_mul_hi_u32 v35, v34, v46
	v_cndmask_b32_e64 v32, v32, v33, s[2:3]
	v_mul_lo_u32 v35, v35, s4
	v_or_b32_e32 v36, 6, v30
	v_subrev_u32_e32 v33, s4, v32
	v_cmp_le_u32_e64 s[2:3], s4, v32
	;; [unrolled: 10-line block ×6, first 2 shown]
	v_sub_u32_e32 v42, v42, v43
	v_cndmask_b32_e64 v40, v40, v41, s[2:3]
	v_subrev_u32_e32 v43, s4, v42
	v_cmp_le_u32_e64 s[2:3], s4, v42
	v_mul_hi_u32 v46, v44, v46
	v_cndmask_b32_e64 v42, v42, v43, s[2:3]
	v_mul_lo_u32 v46, v46, s4
	v_subrev_u32_e32 v43, s4, v42
	v_cmp_le_u32_e64 s[2:3], s4, v42
	v_sub_u32_e32 v44, v44, v46
	v_cndmask_b32_e64 v42, v42, v43, s[2:3]
	v_subrev_u32_e32 v46, s4, v44
	v_cmp_le_u32_e64 s[2:3], s4, v44
	v_cndmask_b32_e64 v44, v44, v46, s[2:3]
	v_subrev_u32_e32 v46, s4, v44
	v_cmp_le_u32_e64 s[2:3], s4, v44
	v_cndmask_b32_e64 v44, v44, v46, s[2:3]
	s_add_i32 s2, s14, s13
	s_add_i32 s2, s2, s12
	s_lshl_b32 s3, s20, 3
	s_lshl_b32 s0, s0, 1
	v_lshlrev_b32_e32 v27, 1, v27
	v_lshlrev_b32_e32 v32, 1, v32
	;; [unrolled: 1-line block ×8, first 2 shown]
	s_sub_i32 s2, s2, s3
	s_and_b32 s0, s0, -4
	v_and_b32_e32 v28, -4, v27
	v_and_b32_e32 v33, -4, v32
	;; [unrolled: 1-line block ×8, first 2 shown]
	v_mul_lo_u32 v8, s2, v8
	v_add_u32_e32 v45, s0, v9
	v_add_u32_e32 v27, v9, v28
	;; [unrolled: 1-line block ×9, first 2 shown]
	v_lshl_add_u32 v8, v8, 8, v31
	v_add_u32_e32 v9, s21, v29
	s_mov_b32 s8, 0
	v_cmp_gt_i32_e64 s[0:1], s1, v20
	v_lshlrev_b32_e32 v17, 2, v17
	s_waitcnt vmcnt(1)
	v_lshrrev_b32_e32 v18, 16, v0
	v_lshrrev_b32_e32 v19, 16, v1
	;; [unrolled: 1-line block ×4, first 2 shown]
	s_waitcnt vmcnt(0)
	v_lshrrev_b32_e32 v23, 16, v4
	v_lshrrev_b32_e32 v24, 16, v5
	;; [unrolled: 1-line block ×4, first 2 shown]
	v_add_u32_e32 v28, v45, v28
	v_add_u32_e32 v33, v45, v33
	;; [unrolled: 1-line block ×8, first 2 shown]
	v_lshl_or_b32 v8, v20, 3, v8
	v_add3_u32 v20, v9, v30, 0
	s_mov_b64 s[6:7], 0
	s_mov_b32 s9, 0x800000
	s_branch .LBB23_10
.LBB23_9:                               ;   in Loop: Header=BB23_10 Depth=1
	s_or_b64 exec, exec, s[2:3]
	v_cvt_f16_f32_e32 v51, v48
	v_cvt_f16_f32_e32 v48, v9
	v_ashrrev_i32_e32 v9, 31, v8
	v_cvt_f16_f32_e32 v50, v49
	v_cvt_f16_f32_e32 v47, v47
	;; [unrolled: 1-line block ×6, first 2 shown]
	v_lshlrev_b64 v[30:31], 1, v[8:9]
	v_mov_b32_e32 v9, s17
	v_add_co_u32_e64 v30, s[2:3], s16, v30
	v_addc_co_u32_e64 v31, s[2:3], v9, v31, s[2:3]
	s_add_i32 s8, s8, 1
	v_cmp_ge_i32_e64 s[2:3], s8, v11
	v_pack_b32_f16 v49, v49, v29
	v_pack_b32_f16 v48, v48, v52
	;; [unrolled: 1-line block ×4, first 2 shown]
	v_add_u32_e32 v8, 0x100, v8
	s_or_b64 s[6:7], s[2:3], s[6:7]
	v_add_u32_e32 v20, 0x200, v20
	global_store_dwordx4 v[30:31], v[46:49], off
	s_andn2_b64 exec, exec, s[6:7]
	s_cbranch_execz .LBB23_12
.LBB23_10:                              ; =>This Inner Loop Header: Depth=1
	ds_read_b128 v[46:49], v20
	s_waitcnt lgkmcnt(0)
	v_cvt_f32_f16_sdwa v9, v46 dst_sel:DWORD dst_unused:UNUSED_PAD src0_sel:WORD_1
	v_cvt_f32_f16_sdwa v31, v47 dst_sel:DWORD dst_unused:UNUSED_PAD src0_sel:WORD_1
	v_cvt_f32_f16_e32 v30, v47
	v_cvt_f32_f16_sdwa v51, v48 dst_sel:DWORD dst_unused:UNUSED_PAD src0_sel:WORD_1
	v_cvt_f32_f16_e32 v50, v48
	v_mul_f32_e32 v29, v9, v9
	v_cvt_f32_f16_sdwa v53, v49 dst_sel:DWORD dst_unused:UNUSED_PAD src0_sel:WORD_1
	v_cvt_f32_f16_e32 v52, v49
	v_pk_mul_f32 v[48:49], v[30:31], v[30:31]
	v_fma_mix_f32 v29, v46, v46, v29 op_sel_hi:[1,1,0]
	v_add_f32_e32 v29, v29, v48
	v_add_f32_e32 v29, v29, v49
	v_pk_mul_f32 v[48:49], v[50:51], v[50:51]
	v_add_f32_e32 v29, v29, v48
	v_add_f32_e32 v29, v29, v49
	v_pk_mul_f32 v[48:49], v[52:53], v[52:53]
	v_add_f32_e32 v29, v29, v48
	v_add_f32_e32 v29, v29, v49
	ds_bpermute_b32 v47, v12, v29
	v_mov_b32_e32 v49, s15
	v_add_u32_e32 v48, s8, v10
	v_cmp_gt_i32_e64 s[2:3], s12, v48
	v_cndmask_b32_e64 v48, v4, v0, s[2:3]
	s_waitcnt lgkmcnt(0)
	v_add_f32_e32 v29, v29, v47
	ds_bpermute_b32 v47, v13, v29
	v_cndmask_b32_e64 v54, v23, v18, s[2:3]
	v_cndmask_b32_e64 v56, v24, v19, s[2:3]
	v_cvt_f32_f16_e32 v48, v48
	v_cndmask_b32_e64 v55, v5, v1, s[2:3]
	s_waitcnt lgkmcnt(0)
	v_add_f32_e32 v29, v29, v47
	ds_bpermute_b32 v47, v14, v29
	v_cndmask_b32_e64 v57, v6, v2, s[2:3]
	v_cvt_f32_f16_e32 v54, v54
	v_cvt_f32_f16_e32 v55, v55
	;; [unrolled: 1-line block ×3, first 2 shown]
	s_waitcnt lgkmcnt(0)
	v_add_f32_e32 v29, v29, v47
	ds_bpermute_b32 v47, v15, v29
	v_cndmask_b32_e64 v58, v25, v21, s[2:3]
	s_waitcnt lgkmcnt(0)
	v_add_f32_e32 v29, v29, v47
	ds_bpermute_b32 v47, v16, v29
	s_waitcnt lgkmcnt(0)
	v_add_f32_e32 v29, v29, v47
	v_fmac_f32_e32 v49, 0x3b800000, v29
	v_mul_f32_e32 v29, 0x4b800000, v49
	v_cmp_gt_f32_e64 s[4:5], s9, v49
	v_cndmask_b32_e64 v29, v49, v29, s[4:5]
	v_rsq_f32_e32 v29, v29
	v_cvt_f32_f16_e32 v47, v56
	v_cvt_f32_f16_e32 v56, v57
	v_mul_f32_e32 v49, 0x45800000, v29
	v_cndmask_b32_e64 v29, v29, v49, s[4:5]
	v_mul_f32_e32 v48, v29, v48
	v_mul_f32_e32 v54, v29, v54
	;; [unrolled: 1-line block ×8, first 2 shown]
	v_cndmask_b32_e64 v31, v7, v3, s[2:3]
	v_mul_f32_e32 v47, v55, v30
	v_cvt_f32_f16_e32 v30, v58
	v_mul_f32_e32 v9, v9, v50
	v_cvt_f32_f16_e32 v50, v31
	v_cndmask_b32_e64 v31, v26, v22, s[2:3]
	v_cvt_f32_f16_e32 v54, v31
	v_mul_f32_e32 v30, v29, v30
	v_mul_f32_e32 v31, v30, v51
	;; [unrolled: 1-line block ×6, first 2 shown]
	s_and_saveexec_b64 s[2:3], vcc
	s_cbranch_execz .LBB23_9
; %bb.11:                               ;   in Loop: Header=BB23_10 Depth=1
	ds_bpermute_b32 v50, v17, v49
	ds_bpermute_b32 v51, v17, v48
	; wave barrier
	ds_read_b32 v52, v27
	ds_read_b32 v53, v28
	;; [unrolled: 1-line block ×8, first 2 shown]
	s_waitcnt lgkmcnt(9)
	v_cndmask_b32_e64 v50, v50, -v50, s[0:1]
	s_waitcnt lgkmcnt(6)
	v_mul_f32_e32 v50, v50, v53
	v_fmac_f32_e32 v50, v49, v52
	ds_bpermute_b32 v49, v17, v47
	v_cndmask_b32_e64 v51, v51, -v51, s[0:1]
	s_waitcnt lgkmcnt(5)
	v_mul_f32_e32 v51, v51, v55
	v_fmac_f32_e32 v51, v48, v54
	ds_bpermute_b32 v48, v17, v46
	s_waitcnt lgkmcnt(1)
	v_cndmask_b32_e64 v49, v49, -v49, s[0:1]
	v_mul_f32_e32 v52, v49, v57
	ds_bpermute_b32 v49, v17, v9
	v_fmac_f32_e32 v52, v47, v56
	s_waitcnt lgkmcnt(1)
	v_cndmask_b32_e64 v47, v48, -v48, s[0:1]
	v_mul_f32_e32 v53, v47, v59
	ds_bpermute_b32 v47, v17, v31
	v_fmac_f32_e32 v53, v46, v58
	s_waitcnt lgkmcnt(1)
	v_cndmask_b32_e64 v46, v49, -v49, s[0:1]
	ds_read_b32 v48, v38
	ds_read_b32 v49, v39
	;; [unrolled: 1-line block ×8, first 2 shown]
	s_waitcnt lgkmcnt(6)
	v_mul_f32_e32 v60, v46, v49
	v_fmac_f32_e32 v60, v9, v48
	ds_bpermute_b32 v9, v17, v30
	v_cndmask_b32_e64 v46, v47, -v47, s[0:1]
	s_waitcnt lgkmcnt(5)
	v_mul_f32_e32 v55, v46, v55
	ds_bpermute_b32 v46, v17, v29
	v_fmac_f32_e32 v55, v31, v54
	s_waitcnt lgkmcnt(1)
	v_cndmask_b32_e64 v9, v9, -v9, s[0:1]
	v_mul_f32_e32 v54, v9, v57
	v_fmac_f32_e32 v54, v30, v56
	s_waitcnt lgkmcnt(0)
	v_cndmask_b32_e64 v9, v46, -v46, s[0:1]
	v_mul_f32_e32 v56, v9, v59
	v_fmac_f32_e32 v56, v29, v58
	v_mov_b32_e32 v49, v50
	v_mov_b32_e32 v48, v51
	;; [unrolled: 1-line block ×8, first 2 shown]
	; wave barrier
	s_branch .LBB23_9
.LBB23_12:
	s_endpgm
	.section	.rodata,"a",@progbits
	.p2align	6, 0x0
	.amdhsa_kernel _ZN12tensorrt_llm7kernels32fusedQKNormRopeKernelNTokenHeadsIN3c104HalfEfLi256ELb0ELi8EEEvPviiifPKvS6_S6_PKlii
		.amdhsa_group_segment_fixed_size 0
		.amdhsa_private_segment_fixed_size 0
		.amdhsa_kernarg_size 320
		.amdhsa_user_sgpr_count 6
		.amdhsa_user_sgpr_private_segment_buffer 1
		.amdhsa_user_sgpr_dispatch_ptr 0
		.amdhsa_user_sgpr_queue_ptr 0
		.amdhsa_user_sgpr_kernarg_segment_ptr 1
		.amdhsa_user_sgpr_dispatch_id 0
		.amdhsa_user_sgpr_flat_scratch_init 0
		.amdhsa_user_sgpr_kernarg_preload_length 0
		.amdhsa_user_sgpr_kernarg_preload_offset 0
		.amdhsa_user_sgpr_private_segment_size 0
		.amdhsa_uses_dynamic_stack 0
		.amdhsa_system_sgpr_private_segment_wavefront_offset 0
		.amdhsa_system_sgpr_workgroup_id_x 1
		.amdhsa_system_sgpr_workgroup_id_y 0
		.amdhsa_system_sgpr_workgroup_id_z 0
		.amdhsa_system_sgpr_workgroup_info 0
		.amdhsa_system_vgpr_workitem_id 0
		.amdhsa_next_free_vgpr 61
		.amdhsa_next_free_sgpr 24
		.amdhsa_accum_offset 64
		.amdhsa_reserve_vcc 1
		.amdhsa_reserve_flat_scratch 0
		.amdhsa_float_round_mode_32 0
		.amdhsa_float_round_mode_16_64 0
		.amdhsa_float_denorm_mode_32 3
		.amdhsa_float_denorm_mode_16_64 3
		.amdhsa_dx10_clamp 1
		.amdhsa_ieee_mode 1
		.amdhsa_fp16_overflow 0
		.amdhsa_tg_split 0
		.amdhsa_exception_fp_ieee_invalid_op 0
		.amdhsa_exception_fp_denorm_src 0
		.amdhsa_exception_fp_ieee_div_zero 0
		.amdhsa_exception_fp_ieee_overflow 0
		.amdhsa_exception_fp_ieee_underflow 0
		.amdhsa_exception_fp_ieee_inexact 0
		.amdhsa_exception_int_div_zero 0
	.end_amdhsa_kernel
	.section	.text._ZN12tensorrt_llm7kernels32fusedQKNormRopeKernelNTokenHeadsIN3c104HalfEfLi256ELb0ELi8EEEvPviiifPKvS6_S6_PKlii,"axG",@progbits,_ZN12tensorrt_llm7kernels32fusedQKNormRopeKernelNTokenHeadsIN3c104HalfEfLi256ELb0ELi8EEEvPviiifPKvS6_S6_PKlii,comdat
.Lfunc_end23:
	.size	_ZN12tensorrt_llm7kernels32fusedQKNormRopeKernelNTokenHeadsIN3c104HalfEfLi256ELb0ELi8EEEvPviiifPKvS6_S6_PKlii, .Lfunc_end23-_ZN12tensorrt_llm7kernels32fusedQKNormRopeKernelNTokenHeadsIN3c104HalfEfLi256ELb0ELi8EEEvPviiifPKvS6_S6_PKlii
                                        ; -- End function
	.section	.AMDGPU.csdata,"",@progbits
; Kernel info:
; codeLenInByte = 2696
; NumSgprs: 28
; NumVgprs: 61
; NumAgprs: 0
; TotalNumVgprs: 61
; ScratchSize: 0
; MemoryBound: 0
; FloatMode: 240
; IeeeMode: 1
; LDSByteSize: 0 bytes/workgroup (compile time only)
; SGPRBlocks: 3
; VGPRBlocks: 7
; NumSGPRsForWavesPerEU: 28
; NumVGPRsForWavesPerEU: 61
; AccumOffset: 64
; Occupancy: 8
; WaveLimiterHint : 0
; COMPUTE_PGM_RSRC2:SCRATCH_EN: 0
; COMPUTE_PGM_RSRC2:USER_SGPR: 6
; COMPUTE_PGM_RSRC2:TRAP_HANDLER: 0
; COMPUTE_PGM_RSRC2:TGID_X_EN: 1
; COMPUTE_PGM_RSRC2:TGID_Y_EN: 0
; COMPUTE_PGM_RSRC2:TGID_Z_EN: 0
; COMPUTE_PGM_RSRC2:TIDIG_COMP_CNT: 0
; COMPUTE_PGM_RSRC3_GFX90A:ACCUM_OFFSET: 15
; COMPUTE_PGM_RSRC3_GFX90A:TG_SPLIT: 0
	.section	.text._ZN12tensorrt_llm7kernels21fusedQKNormRopeKernelIN3c104HalfES3_Li64ELb1EEEvPviiifPKvS6_S6_PKlii,"axG",@progbits,_ZN12tensorrt_llm7kernels21fusedQKNormRopeKernelIN3c104HalfES3_Li64ELb1EEEvPviiifPKvS6_S6_PKlii,comdat
	.protected	_ZN12tensorrt_llm7kernels21fusedQKNormRopeKernelIN3c104HalfES3_Li64ELb1EEEvPviiifPKvS6_S6_PKlii ; -- Begin function _ZN12tensorrt_llm7kernels21fusedQKNormRopeKernelIN3c104HalfES3_Li64ELb1EEEvPviiifPKvS6_S6_PKlii
	.globl	_ZN12tensorrt_llm7kernels21fusedQKNormRopeKernelIN3c104HalfES3_Li64ELb1EEEvPviiifPKvS6_S6_PKlii
	.p2align	8
	.type	_ZN12tensorrt_llm7kernels21fusedQKNormRopeKernelIN3c104HalfES3_Li64ELb1EEEvPviiifPKvS6_S6_PKlii,@function
_ZN12tensorrt_llm7kernels21fusedQKNormRopeKernelIN3c104HalfES3_Li64ELb1EEEvPviiifPKvS6_S6_PKlii: ; @_ZN12tensorrt_llm7kernels21fusedQKNormRopeKernelIN3c104HalfES3_Li64ELb1EEEvPviiifPKvS6_S6_PKlii
; %bb.0:
	s_load_dwordx4 s[8:11], s[4:5], 0x8
	s_load_dwordx2 s[12:13], s[4:5], 0x38
	s_load_dword s1, s[4:5], 0x4c
	v_lshrrev_b32_e32 v2, 5, v0
	s_waitcnt lgkmcnt(0)
	s_add_i32 s0, s9, s8
	s_abs_i32 s2, s0
	v_cvt_f32_u32_e32 v1, s2
	s_bfe_u32 s1, s1, 0xb0005
	s_mul_i32 s6, s6, s1
	s_sub_i32 s1, 0, s2
	v_rcp_iflag_f32_e32 v3, v1
	v_add_u32_e32 v1, s6, v2
	v_sub_u32_e32 v4, 0, v1
	v_max_i32_e32 v4, v1, v4
	v_mul_f32_e32 v3, 0x4f7ffffe, v3
	v_cvt_u32_f32_e32 v3, v3
	v_xor_b32_e32 v2, s0, v1
	v_ashrrev_i32_e32 v2, 31, v2
	v_mul_lo_u32 v5, s1, v3
	v_mul_hi_u32 v5, v3, v5
	v_add_u32_e32 v3, v3, v5
	v_mul_hi_u32 v3, v4, v3
	v_mul_lo_u32 v5, v3, s2
	v_sub_u32_e32 v4, v4, v5
	v_add_u32_e32 v5, 1, v3
	v_cmp_le_u32_e32 vcc, s2, v4
	v_cndmask_b32_e32 v3, v3, v5, vcc
	v_subrev_u32_e32 v5, s2, v4
	v_cndmask_b32_e32 v4, v4, v5, vcc
	v_add_u32_e32 v5, 1, v3
	v_cmp_le_u32_e32 vcc, s2, v4
	v_cndmask_b32_e32 v3, v3, v5, vcc
	v_xor_b32_e32 v3, v3, v2
	v_sub_u32_e32 v2, v3, v2
	v_cmp_gt_i32_e32 vcc, s12, v2
	s_and_saveexec_b64 s[2:3], vcc
	s_cbranch_execz .LBB24_4
; %bb.1:
	v_and_b32_e32 v3, 31, v0
	v_mul_lo_u32 v0, v2, s0
	v_sub_u32_e32 v0, v1, v0
	v_mov_b32_e32 v1, s8
	v_cmp_gt_i32_e32 vcc, s8, v0
	v_cndmask_b32_e64 v1, v1, 0, vcc
	s_add_i32 s0, s0, s10
	s_load_dwordx2 s[2:3], s[4:5], 0x0
	v_sub_u32_e32 v0, v0, v1
	v_mul_lo_u32 v4, v2, s0
	v_add3_u32 v0, v4, v1, v0
	v_lshlrev_b32_e32 v6, 1, v3
	v_lshl_or_b32 v0, v0, 6, v6
	v_ashrrev_i32_e32 v1, 31, v0
	v_lshlrev_b64 v[0:1], 1, v[0:1]
	s_waitcnt lgkmcnt(0)
	v_mov_b32_e32 v4, s3
	v_add_co_u32_e64 v0, s[0:1], s2, v0
	v_addc_co_u32_e64 v1, s[0:1], v4, v1, s[0:1]
	global_load_dword v7, v[0:1], off
	s_load_dwordx8 s[0:7], s[4:5], 0x18
	v_lshlrev_b32_e32 v4, 2, v3
	s_waitcnt lgkmcnt(0)
	v_mov_b32_e32 v5, s3
	v_mov_b32_e32 v8, s1
	v_mov_b32_e32 v9, s2
	v_mov_b32_e32 v10, s0
	v_cndmask_b32_e32 v5, v5, v8, vcc
	v_cndmask_b32_e32 v8, v9, v10, vcc
	v_add_co_u32_e32 v4, vcc, v8, v4
	v_addc_co_u32_e32 v5, vcc, 0, v5, vcc
	global_load_dword v10, v[4:5], off
	v_mbcnt_lo_u32_b32 v4, -1, 0
	v_mbcnt_hi_u32_b32 v11, -1, v4
	v_and_b32_e32 v4, 0x60, v11
	v_add_u32_e32 v12, 32, v4
	v_xor_b32_e32 v8, 16, v11
	v_cmp_lt_i32_e32 vcc, v8, v12
	s_mov_b32 s0, 0x800000
	s_lshr_b32 s2, s13, 31
	s_add_i32 s2, s13, s2
	s_mov_b32 s1, 0
	s_waitcnt vmcnt(1)
	v_cvt_f32_f16_e32 v4, v7
	v_cvt_f32_f16_sdwa v5, v7 dst_sel:DWORD dst_unused:UNUSED_PAD src0_sel:WORD_1
	v_cndmask_b32_e32 v7, v11, v8, vcc
	v_lshlrev_b32_e32 v7, 2, v7
	v_pk_mul_f32 v[8:9], v[4:5], v[4:5]
	v_add_f32_e32 v8, v9, v8
	ds_bpermute_b32 v7, v7, v8
	v_xor_b32_e32 v9, 8, v11
	v_cmp_lt_i32_e32 vcc, v9, v12
	v_cndmask_b32_e32 v9, v11, v9, vcc
	v_lshlrev_b32_e32 v9, 2, v9
	s_waitcnt lgkmcnt(0)
	v_add_f32_e32 v7, v8, v7
	ds_bpermute_b32 v8, v9, v7
	v_xor_b32_e32 v9, 4, v11
	v_cmp_lt_i32_e32 vcc, v9, v12
	v_cndmask_b32_e32 v9, v11, v9, vcc
	v_lshlrev_b32_e32 v9, 2, v9
	s_waitcnt lgkmcnt(0)
	;; [unrolled: 7-line block ×4, first 2 shown]
	v_add_f32_e32 v7, v7, v8
	ds_bpermute_b32 v8, v9, v7
	v_mov_b32_e32 v9, s11
	s_waitcnt lgkmcnt(0)
	v_add_f32_e32 v7, v7, v8
	v_fmac_f32_e32 v9, 0x3c800000, v7
	v_mul_f32_e32 v7, 0x4b800000, v9
	v_cmp_gt_f32_e32 vcc, s0, v9
	v_cndmask_b32_e32 v7, v9, v7, vcc
	v_rsq_f32_e32 v7, v7
	s_waitcnt vmcnt(0)
	v_cvt_f32_f16_e32 v8, v10
	v_cvt_f32_f16_sdwa v9, v10 dst_sel:DWORD dst_unused:UNUSED_PAD src0_sel:WORD_1
	s_ashr_i32 s0, s2, 1
	v_mul_f32_e32 v10, 0x45800000, v7
	v_cndmask_b32_e32 v10, v7, v10, vcc
	v_pk_mul_f32 v[8:9], v[10:11], v[8:9] op_sel_hi:[0,1]
	v_pk_mul_f32 v[4:5], v[8:9], v[4:5]
	v_cmp_gt_i32_e32 vcc, s0, v3
	s_and_saveexec_b64 s[2:3], vcc
	s_cbranch_execz .LBB24_3
; %bb.2:
	v_ashrrev_i32_e32 v3, 31, v2
	v_lshlrev_b64 v[2:3], 3, v[2:3]
	v_mov_b32_e32 v7, s7
	v_add_co_u32_e32 v2, vcc, s6, v2
	v_addc_co_u32_e32 v3, vcc, v7, v3, vcc
	global_load_dwordx2 v[2:3], v[2:3], off
	s_ashr_i32 s6, s13, 31
	v_mov_b32_e32 v7, s5
	s_lshl_b64 s[0:1], s[0:1], 1
	v_mov_b32_e32 v8, s1
	s_waitcnt vmcnt(0)
	v_mul_lo_u32 v9, v3, s13
	v_mul_lo_u32 v10, v2, s6
	v_mad_u64_u32 v[2:3], s[6:7], v2, s13, 0
	v_add3_u32 v3, v3, v10, v9
	v_lshlrev_b64 v[2:3], 1, v[2:3]
	v_add_co_u32_e32 v2, vcc, s4, v2
	v_addc_co_u32_e32 v3, vcc, v7, v3, vcc
	v_add_co_u32_e32 v2, vcc, v2, v6
	v_addc_co_u32_e32 v3, vcc, 0, v3, vcc
	;; [unrolled: 2-line block ×3, first 2 shown]
	global_load_ushort v8, v[2:3], off
	global_load_ushort v9, v[6:7], off
	s_waitcnt vmcnt(1)
	v_cvt_f32_f16_e32 v3, v8
	s_waitcnt vmcnt(0)
	v_cvt_f32_f16_e32 v2, v9
	v_mul_f32_e32 v8, v4, v3
	v_pk_mul_f32 v[6:7], v[4:5], v[2:3]
	v_mov_b32_e32 v7, v6
	v_pk_fma_f32 v[2:3], v[4:5], v[2:3], v[6:7]
	v_fma_mix_f32 v4, -v5, v9, v8 op_sel_hi:[0,1,0]
	v_mov_b32_e32 v5, v3
.LBB24_3:
	s_or_b64 exec, exec, s[2:3]
	v_cvt_f16_f32_e32 v2, v4
	v_cvt_f16_f32_e32 v3, v5
	v_pack_b32_f16 v2, v2, v3
	global_store_dword v[0:1], v2, off
.LBB24_4:
	s_endpgm
	.section	.rodata,"a",@progbits
	.p2align	6, 0x0
	.amdhsa_kernel _ZN12tensorrt_llm7kernels21fusedQKNormRopeKernelIN3c104HalfES3_Li64ELb1EEEvPviiifPKvS6_S6_PKlii
		.amdhsa_group_segment_fixed_size 0
		.amdhsa_private_segment_fixed_size 0
		.amdhsa_kernarg_size 320
		.amdhsa_user_sgpr_count 6
		.amdhsa_user_sgpr_private_segment_buffer 1
		.amdhsa_user_sgpr_dispatch_ptr 0
		.amdhsa_user_sgpr_queue_ptr 0
		.amdhsa_user_sgpr_kernarg_segment_ptr 1
		.amdhsa_user_sgpr_dispatch_id 0
		.amdhsa_user_sgpr_flat_scratch_init 0
		.amdhsa_user_sgpr_kernarg_preload_length 0
		.amdhsa_user_sgpr_kernarg_preload_offset 0
		.amdhsa_user_sgpr_private_segment_size 0
		.amdhsa_uses_dynamic_stack 0
		.amdhsa_system_sgpr_private_segment_wavefront_offset 0
		.amdhsa_system_sgpr_workgroup_id_x 1
		.amdhsa_system_sgpr_workgroup_id_y 0
		.amdhsa_system_sgpr_workgroup_id_z 0
		.amdhsa_system_sgpr_workgroup_info 0
		.amdhsa_system_vgpr_workitem_id 0
		.amdhsa_next_free_vgpr 13
		.amdhsa_next_free_sgpr 14
		.amdhsa_accum_offset 16
		.amdhsa_reserve_vcc 1
		.amdhsa_reserve_flat_scratch 0
		.amdhsa_float_round_mode_32 0
		.amdhsa_float_round_mode_16_64 0
		.amdhsa_float_denorm_mode_32 3
		.amdhsa_float_denorm_mode_16_64 3
		.amdhsa_dx10_clamp 1
		.amdhsa_ieee_mode 1
		.amdhsa_fp16_overflow 0
		.amdhsa_tg_split 0
		.amdhsa_exception_fp_ieee_invalid_op 0
		.amdhsa_exception_fp_denorm_src 0
		.amdhsa_exception_fp_ieee_div_zero 0
		.amdhsa_exception_fp_ieee_overflow 0
		.amdhsa_exception_fp_ieee_underflow 0
		.amdhsa_exception_fp_ieee_inexact 0
		.amdhsa_exception_int_div_zero 0
	.end_amdhsa_kernel
	.section	.text._ZN12tensorrt_llm7kernels21fusedQKNormRopeKernelIN3c104HalfES3_Li64ELb1EEEvPviiifPKvS6_S6_PKlii,"axG",@progbits,_ZN12tensorrt_llm7kernels21fusedQKNormRopeKernelIN3c104HalfES3_Li64ELb1EEEvPviiifPKvS6_S6_PKlii,comdat
.Lfunc_end24:
	.size	_ZN12tensorrt_llm7kernels21fusedQKNormRopeKernelIN3c104HalfES3_Li64ELb1EEEvPviiifPKvS6_S6_PKlii, .Lfunc_end24-_ZN12tensorrt_llm7kernels21fusedQKNormRopeKernelIN3c104HalfES3_Li64ELb1EEEvPviiifPKvS6_S6_PKlii
                                        ; -- End function
	.section	.AMDGPU.csdata,"",@progbits
; Kernel info:
; codeLenInByte = 908
; NumSgprs: 18
; NumVgprs: 13
; NumAgprs: 0
; TotalNumVgprs: 13
; ScratchSize: 0
; MemoryBound: 0
; FloatMode: 240
; IeeeMode: 1
; LDSByteSize: 0 bytes/workgroup (compile time only)
; SGPRBlocks: 2
; VGPRBlocks: 1
; NumSGPRsForWavesPerEU: 18
; NumVGPRsForWavesPerEU: 13
; AccumOffset: 16
; Occupancy: 8
; WaveLimiterHint : 1
; COMPUTE_PGM_RSRC2:SCRATCH_EN: 0
; COMPUTE_PGM_RSRC2:USER_SGPR: 6
; COMPUTE_PGM_RSRC2:TRAP_HANDLER: 0
; COMPUTE_PGM_RSRC2:TGID_X_EN: 1
; COMPUTE_PGM_RSRC2:TGID_Y_EN: 0
; COMPUTE_PGM_RSRC2:TGID_Z_EN: 0
; COMPUTE_PGM_RSRC2:TIDIG_COMP_CNT: 0
; COMPUTE_PGM_RSRC3_GFX90A:ACCUM_OFFSET: 3
; COMPUTE_PGM_RSRC3_GFX90A:TG_SPLIT: 0
	.section	.text._ZN12tensorrt_llm7kernels21fusedQKNormRopeKernelIN3c104HalfES3_Li64ELb0EEEvPviiifPKvS6_S6_PKlii,"axG",@progbits,_ZN12tensorrt_llm7kernels21fusedQKNormRopeKernelIN3c104HalfES3_Li64ELb0EEEvPviiifPKvS6_S6_PKlii,comdat
	.protected	_ZN12tensorrt_llm7kernels21fusedQKNormRopeKernelIN3c104HalfES3_Li64ELb0EEEvPviiifPKvS6_S6_PKlii ; -- Begin function _ZN12tensorrt_llm7kernels21fusedQKNormRopeKernelIN3c104HalfES3_Li64ELb0EEEvPviiifPKvS6_S6_PKlii
	.globl	_ZN12tensorrt_llm7kernels21fusedQKNormRopeKernelIN3c104HalfES3_Li64ELb0EEEvPviiifPKvS6_S6_PKlii
	.p2align	8
	.type	_ZN12tensorrt_llm7kernels21fusedQKNormRopeKernelIN3c104HalfES3_Li64ELb0EEEvPviiifPKvS6_S6_PKlii,@function
_ZN12tensorrt_llm7kernels21fusedQKNormRopeKernelIN3c104HalfES3_Li64ELb0EEEvPviiifPKvS6_S6_PKlii: ; @_ZN12tensorrt_llm7kernels21fusedQKNormRopeKernelIN3c104HalfES3_Li64ELb0EEEvPviiifPKvS6_S6_PKlii
; %bb.0:
	s_load_dwordx4 s[8:11], s[4:5], 0x8
	s_load_dwordx2 s[12:13], s[4:5], 0x38
	s_load_dword s1, s[4:5], 0x4c
	v_lshrrev_b32_e32 v2, 5, v0
	s_waitcnt lgkmcnt(0)
	s_add_i32 s0, s9, s8
	s_abs_i32 s2, s0
	v_cvt_f32_u32_e32 v1, s2
	s_bfe_u32 s1, s1, 0xb0005
	s_mul_i32 s6, s6, s1
	s_sub_i32 s1, 0, s2
	v_rcp_iflag_f32_e32 v3, v1
	v_add_u32_e32 v1, s6, v2
	v_sub_u32_e32 v4, 0, v1
	v_max_i32_e32 v4, v1, v4
	v_mul_f32_e32 v3, 0x4f7ffffe, v3
	v_cvt_u32_f32_e32 v3, v3
	v_xor_b32_e32 v2, s0, v1
	v_ashrrev_i32_e32 v2, 31, v2
	v_mul_lo_u32 v5, s1, v3
	v_mul_hi_u32 v5, v3, v5
	v_add_u32_e32 v3, v3, v5
	v_mul_hi_u32 v3, v4, v3
	v_mul_lo_u32 v5, v3, s2
	v_sub_u32_e32 v4, v4, v5
	v_add_u32_e32 v5, 1, v3
	v_cmp_le_u32_e32 vcc, s2, v4
	v_cndmask_b32_e32 v3, v3, v5, vcc
	v_subrev_u32_e32 v5, s2, v4
	v_cndmask_b32_e32 v4, v4, v5, vcc
	v_add_u32_e32 v5, 1, v3
	v_cmp_le_u32_e32 vcc, s2, v4
	v_cndmask_b32_e32 v3, v3, v5, vcc
	v_xor_b32_e32 v3, v3, v2
	v_sub_u32_e32 v2, v3, v2
	v_cmp_gt_i32_e32 vcc, s12, v2
	s_and_saveexec_b64 s[2:3], vcc
	s_cbranch_execz .LBB25_4
; %bb.1:
	v_and_b32_e32 v4, 31, v0
	v_mul_lo_u32 v0, v2, s0
	v_sub_u32_e32 v0, v1, v0
	v_mov_b32_e32 v1, s8
	v_cmp_gt_i32_e32 vcc, s8, v0
	v_cndmask_b32_e64 v1, v1, 0, vcc
	s_add_i32 s0, s0, s10
	s_load_dwordx2 s[2:3], s[4:5], 0x0
	v_sub_u32_e32 v0, v0, v1
	v_mul_lo_u32 v3, v2, s0
	v_add3_u32 v0, v3, v1, v0
	v_lshlrev_b32_e32 v1, 1, v4
	v_lshl_or_b32 v0, v0, 6, v1
	v_ashrrev_i32_e32 v1, 31, v0
	v_lshlrev_b64 v[0:1], 1, v[0:1]
	s_waitcnt lgkmcnt(0)
	v_mov_b32_e32 v3, s3
	v_add_co_u32_e64 v0, s[0:1], s2, v0
	v_addc_co_u32_e64 v1, s[0:1], v3, v1, s[0:1]
	global_load_dword v3, v[0:1], off
	s_load_dwordx8 s[0:7], s[4:5], 0x18
	v_lshlrev_b32_e32 v8, 2, v4
	s_waitcnt lgkmcnt(0)
	v_mov_b32_e32 v5, s3
	v_mov_b32_e32 v6, s1
	;; [unrolled: 1-line block ×4, first 2 shown]
	v_cndmask_b32_e32 v5, v5, v6, vcc
	v_cndmask_b32_e32 v6, v7, v9, vcc
	v_add_co_u32_e32 v6, vcc, v6, v8
	v_addc_co_u32_e32 v7, vcc, 0, v5, vcc
	global_load_dword v9, v[6:7], off
	v_mbcnt_lo_u32_b32 v5, -1, 0
	v_mbcnt_hi_u32_b32 v5, -1, v5
	v_and_b32_e32 v6, 0x60, v5
	v_xor_b32_e32 v7, 16, v5
	v_add_u32_e32 v12, 32, v6
	v_cmp_lt_i32_e32 vcc, v7, v12
	s_mov_b32 s0, 0x800000
	s_lshr_b32 s2, s13, 31
	s_add_i32 s2, s13, s2
	s_mov_b32 s1, 0
	s_waitcnt vmcnt(1)
	v_cvt_f32_f16_e32 v11, v3
	v_cvt_f32_f16_sdwa v10, v3 dst_sel:DWORD dst_unused:UNUSED_PAD src0_sel:WORD_1
	v_cndmask_b32_e32 v3, v5, v7, vcc
	v_lshlrev_b32_e32 v3, 2, v3
	v_pk_mul_f32 v[6:7], v[10:11], v[10:11]
	v_add_f32_e32 v6, v6, v7
	ds_bpermute_b32 v3, v3, v6
	v_xor_b32_e32 v7, 8, v5
	v_cmp_lt_i32_e32 vcc, v7, v12
	v_cndmask_b32_e32 v7, v5, v7, vcc
	v_lshlrev_b32_e32 v7, 2, v7
	s_waitcnt lgkmcnt(0)
	v_add_f32_e32 v3, v6, v3
	ds_bpermute_b32 v6, v7, v3
	v_xor_b32_e32 v7, 4, v5
	v_cmp_lt_i32_e32 vcc, v7, v12
	v_cndmask_b32_e32 v7, v5, v7, vcc
	v_lshlrev_b32_e32 v7, 2, v7
	s_waitcnt lgkmcnt(0)
	;; [unrolled: 7-line block ×4, first 2 shown]
	v_add_f32_e32 v3, v3, v6
	ds_bpermute_b32 v6, v7, v3
	v_mov_b32_e32 v7, s11
	s_waitcnt lgkmcnt(0)
	v_add_f32_e32 v3, v3, v6
	v_fmac_f32_e32 v7, 0x3c800000, v3
	v_mul_f32_e32 v3, 0x4b800000, v7
	v_cmp_gt_f32_e32 vcc, s0, v7
	v_cndmask_b32_e32 v3, v7, v3, vcc
	v_rsq_f32_e32 v3, v3
	s_waitcnt vmcnt(0)
	v_cvt_f32_f16_e32 v6, v9
	v_cvt_f32_f16_sdwa v7, v9 dst_sel:DWORD dst_unused:UNUSED_PAD src0_sel:WORD_1
	s_ashr_i32 s0, s2, 1
	v_mul_f32_e32 v9, 0x45800000, v3
	v_cndmask_b32_e32 v3, v3, v9, vcc
	v_mul_f32_e32 v6, v3, v6
	v_mul_f32_e32 v3, v3, v7
	;; [unrolled: 1-line block ×4, first 2 shown]
	v_cmp_gt_i32_e32 vcc, s0, v4
	s_and_saveexec_b64 s[2:3], vcc
	s_cbranch_execz .LBB25_3
; %bb.2:
	v_ashrrev_i32_e32 v3, 31, v2
	v_lshlrev_b64 v[2:3], 3, v[2:3]
	v_mov_b32_e32 v9, s7
	v_add_co_u32_e32 v2, vcc, s6, v2
	v_addc_co_u32_e32 v3, vcc, v9, v3, vcc
	global_load_dwordx2 v[2:3], v[2:3], off
	s_abs_i32 s8, s13
	v_cvt_f32_u32_e32 v9, s8
	s_lshl_b64 s[6:7], s[0:1], 1
	s_sub_i32 s1, 0, s8
	v_or_b32_e32 v11, 2, v8
	v_rcp_iflag_f32_e32 v9, v9
	s_ashr_i32 s9, s13, 31
	v_mov_b32_e32 v10, s5
	v_mov_b32_e32 v12, s7
	v_mul_f32_e32 v9, 0x4f7ffffe, v9
	v_cvt_u32_f32_e32 v9, v9
	; wave barrier
	s_lshr_b32 s0, s0, 1
	v_mul_lo_u32 v13, s1, v9
	v_mul_hi_u32 v13, v9, v13
	v_add_u32_e32 v9, v9, v13
	v_mul_hi_u32 v13, v8, v9
	v_mul_hi_u32 v9, v11, v9
	v_mul_lo_u32 v13, v13, s8
	v_mul_lo_u32 v9, v9, s8
	v_sub_u32_e32 v8, v8, v13
	v_sub_u32_e32 v9, v11, v9
	v_subrev_u32_e32 v11, s8, v8
	v_cmp_le_u32_e32 vcc, s8, v8
	v_subrev_u32_e32 v13, s8, v9
	v_cndmask_b32_e32 v8, v8, v11, vcc
	v_cmp_le_u32_e32 vcc, s8, v9
	v_cndmask_b32_e32 v9, v9, v13, vcc
	v_subrev_u32_e32 v11, s8, v8
	v_cmp_le_u32_e32 vcc, s8, v8
	v_subrev_u32_e32 v13, s8, v9
	v_cndmask_b32_e32 v8, v8, v11, vcc
	v_cmp_le_u32_e32 vcc, s8, v9
	v_cndmask_b32_e32 v9, v9, v13, vcc
	v_and_b32_e32 v13, -2, v9
	v_and_b32_e32 v8, -2, v8
	s_waitcnt vmcnt(0)
	v_mul_lo_u32 v9, v3, s13
	v_mul_lo_u32 v11, v2, s9
	v_mad_u64_u32 v[2:3], s[8:9], v2, s13, 0
	v_add3_u32 v3, v3, v11, v9
	v_lshlrev_b64 v[2:3], 1, v[2:3]
	v_add_co_u32_e32 v14, vcc, s4, v2
	v_addc_co_u32_e32 v15, vcc, v10, v3, vcc
	v_add_co_u32_e32 v10, vcc, s6, v14
	v_addc_co_u32_e32 v11, vcc, v15, v12, vcc
	;; [unrolled: 2-line block ×5, first 2 shown]
	global_load_ushort v12, v[8:9], off
	global_load_ushort v16, v[10:11], off
	;; [unrolled: 1-line block ×3, first 2 shown]
	v_add_co_u32_e32 v2, vcc, v14, v13
	v_addc_co_u32_e32 v3, vcc, 0, v15, vcc
	global_load_ushort v2, v[2:3], off
	v_and_b32_e32 v3, 64, v5
	v_xor_b32_e32 v8, s0, v5
	v_add_u32_e32 v3, 64, v3
	v_cmp_lt_i32_e32 vcc, v8, v3
	v_cndmask_b32_e32 v3, v5, v8, vcc
	v_lshlrev_b32_e32 v3, 2, v3
	ds_bpermute_b32 v5, v3, v6
	ds_bpermute_b32 v3, v3, v7
	v_cmp_gt_u32_e32 vcc, s0, v4
	; wave barrier
	s_waitcnt lgkmcnt(1)
	v_cndmask_b32_e64 v4, v5, -v5, vcc
	s_waitcnt lgkmcnt(0)
	v_cndmask_b32_e64 v3, v3, -v3, vcc
	s_waitcnt vmcnt(3)
	v_cvt_f32_f16_e32 v5, v12
	s_waitcnt vmcnt(2)
	v_cvt_f32_f16_e32 v8, v16
	v_mul_f32_e32 v4, v4, v5
	v_mul_f32_e32 v3, v3, v8
	s_waitcnt vmcnt(1)
	v_fma_mix_f32 v6, v6, v17, v4 op_sel_hi:[0,1,0]
	s_waitcnt vmcnt(0)
	v_fma_mix_f32 v7, v7, v2, v3 op_sel_hi:[0,1,0]
.LBB25_3:
	s_or_b64 exec, exec, s[2:3]
	v_cvt_f16_f32_e32 v2, v6
	v_cvt_f16_f32_e32 v3, v7
	v_pack_b32_f16 v2, v2, v3
	global_store_dword v[0:1], v2, off
.LBB25_4:
	s_endpgm
	.section	.rodata,"a",@progbits
	.p2align	6, 0x0
	.amdhsa_kernel _ZN12tensorrt_llm7kernels21fusedQKNormRopeKernelIN3c104HalfES3_Li64ELb0EEEvPviiifPKvS6_S6_PKlii
		.amdhsa_group_segment_fixed_size 0
		.amdhsa_private_segment_fixed_size 0
		.amdhsa_kernarg_size 320
		.amdhsa_user_sgpr_count 6
		.amdhsa_user_sgpr_private_segment_buffer 1
		.amdhsa_user_sgpr_dispatch_ptr 0
		.amdhsa_user_sgpr_queue_ptr 0
		.amdhsa_user_sgpr_kernarg_segment_ptr 1
		.amdhsa_user_sgpr_dispatch_id 0
		.amdhsa_user_sgpr_flat_scratch_init 0
		.amdhsa_user_sgpr_kernarg_preload_length 0
		.amdhsa_user_sgpr_kernarg_preload_offset 0
		.amdhsa_user_sgpr_private_segment_size 0
		.amdhsa_uses_dynamic_stack 0
		.amdhsa_system_sgpr_private_segment_wavefront_offset 0
		.amdhsa_system_sgpr_workgroup_id_x 1
		.amdhsa_system_sgpr_workgroup_id_y 0
		.amdhsa_system_sgpr_workgroup_id_z 0
		.amdhsa_system_sgpr_workgroup_info 0
		.amdhsa_system_vgpr_workitem_id 0
		.amdhsa_next_free_vgpr 18
		.amdhsa_next_free_sgpr 14
		.amdhsa_accum_offset 20
		.amdhsa_reserve_vcc 1
		.amdhsa_reserve_flat_scratch 0
		.amdhsa_float_round_mode_32 0
		.amdhsa_float_round_mode_16_64 0
		.amdhsa_float_denorm_mode_32 3
		.amdhsa_float_denorm_mode_16_64 3
		.amdhsa_dx10_clamp 1
		.amdhsa_ieee_mode 1
		.amdhsa_fp16_overflow 0
		.amdhsa_tg_split 0
		.amdhsa_exception_fp_ieee_invalid_op 0
		.amdhsa_exception_fp_denorm_src 0
		.amdhsa_exception_fp_ieee_div_zero 0
		.amdhsa_exception_fp_ieee_overflow 0
		.amdhsa_exception_fp_ieee_underflow 0
		.amdhsa_exception_fp_ieee_inexact 0
		.amdhsa_exception_int_div_zero 0
	.end_amdhsa_kernel
	.section	.text._ZN12tensorrt_llm7kernels21fusedQKNormRopeKernelIN3c104HalfES3_Li64ELb0EEEvPviiifPKvS6_S6_PKlii,"axG",@progbits,_ZN12tensorrt_llm7kernels21fusedQKNormRopeKernelIN3c104HalfES3_Li64ELb0EEEvPviiifPKvS6_S6_PKlii,comdat
.Lfunc_end25:
	.size	_ZN12tensorrt_llm7kernels21fusedQKNormRopeKernelIN3c104HalfES3_Li64ELb0EEEvPviiifPKvS6_S6_PKlii, .Lfunc_end25-_ZN12tensorrt_llm7kernels21fusedQKNormRopeKernelIN3c104HalfES3_Li64ELb0EEEvPviiifPKvS6_S6_PKlii
                                        ; -- End function
	.section	.AMDGPU.csdata,"",@progbits
; Kernel info:
; codeLenInByte = 1164
; NumSgprs: 18
; NumVgprs: 18
; NumAgprs: 0
; TotalNumVgprs: 18
; ScratchSize: 0
; MemoryBound: 0
; FloatMode: 240
; IeeeMode: 1
; LDSByteSize: 0 bytes/workgroup (compile time only)
; SGPRBlocks: 2
; VGPRBlocks: 2
; NumSGPRsForWavesPerEU: 18
; NumVGPRsForWavesPerEU: 18
; AccumOffset: 20
; Occupancy: 8
; WaveLimiterHint : 1
; COMPUTE_PGM_RSRC2:SCRATCH_EN: 0
; COMPUTE_PGM_RSRC2:USER_SGPR: 6
; COMPUTE_PGM_RSRC2:TRAP_HANDLER: 0
; COMPUTE_PGM_RSRC2:TGID_X_EN: 1
; COMPUTE_PGM_RSRC2:TGID_Y_EN: 0
; COMPUTE_PGM_RSRC2:TGID_Z_EN: 0
; COMPUTE_PGM_RSRC2:TIDIG_COMP_CNT: 0
; COMPUTE_PGM_RSRC3_GFX90A:ACCUM_OFFSET: 4
; COMPUTE_PGM_RSRC3_GFX90A:TG_SPLIT: 0
	.section	.text._ZN12tensorrt_llm7kernels21fusedQKNormRopeKernelIN3c104HalfES3_Li128ELb1EEEvPviiifPKvS6_S6_PKlii,"axG",@progbits,_ZN12tensorrt_llm7kernels21fusedQKNormRopeKernelIN3c104HalfES3_Li128ELb1EEEvPviiifPKvS6_S6_PKlii,comdat
	.protected	_ZN12tensorrt_llm7kernels21fusedQKNormRopeKernelIN3c104HalfES3_Li128ELb1EEEvPviiifPKvS6_S6_PKlii ; -- Begin function _ZN12tensorrt_llm7kernels21fusedQKNormRopeKernelIN3c104HalfES3_Li128ELb1EEEvPviiifPKvS6_S6_PKlii
	.globl	_ZN12tensorrt_llm7kernels21fusedQKNormRopeKernelIN3c104HalfES3_Li128ELb1EEEvPviiifPKvS6_S6_PKlii
	.p2align	8
	.type	_ZN12tensorrt_llm7kernels21fusedQKNormRopeKernelIN3c104HalfES3_Li128ELb1EEEvPviiifPKvS6_S6_PKlii,@function
_ZN12tensorrt_llm7kernels21fusedQKNormRopeKernelIN3c104HalfES3_Li128ELb1EEEvPviiifPKvS6_S6_PKlii: ; @_ZN12tensorrt_llm7kernels21fusedQKNormRopeKernelIN3c104HalfES3_Li128ELb1EEEvPviiifPKvS6_S6_PKlii
; %bb.0:
	s_load_dwordx4 s[8:11], s[4:5], 0x8
	s_load_dwordx2 s[12:13], s[4:5], 0x38
	s_load_dword s1, s[4:5], 0x4c
	v_lshrrev_b32_e32 v2, 5, v0
	s_waitcnt lgkmcnt(0)
	s_add_i32 s0, s9, s8
	s_abs_i32 s2, s0
	v_cvt_f32_u32_e32 v1, s2
	s_bfe_u32 s1, s1, 0xb0005
	s_mul_i32 s6, s6, s1
	s_sub_i32 s1, 0, s2
	v_rcp_iflag_f32_e32 v3, v1
	v_add_u32_e32 v1, s6, v2
	v_sub_u32_e32 v4, 0, v1
	v_max_i32_e32 v4, v1, v4
	v_mul_f32_e32 v3, 0x4f7ffffe, v3
	v_cvt_u32_f32_e32 v3, v3
	v_xor_b32_e32 v2, s0, v1
	v_ashrrev_i32_e32 v2, 31, v2
	v_mul_lo_u32 v5, s1, v3
	v_mul_hi_u32 v5, v3, v5
	v_add_u32_e32 v3, v3, v5
	v_mul_hi_u32 v3, v4, v3
	v_mul_lo_u32 v5, v3, s2
	v_sub_u32_e32 v4, v4, v5
	v_add_u32_e32 v5, 1, v3
	v_cmp_le_u32_e32 vcc, s2, v4
	v_cndmask_b32_e32 v3, v3, v5, vcc
	v_subrev_u32_e32 v5, s2, v4
	v_cndmask_b32_e32 v4, v4, v5, vcc
	v_add_u32_e32 v5, 1, v3
	v_cmp_le_u32_e32 vcc, s2, v4
	v_cndmask_b32_e32 v3, v3, v5, vcc
	v_xor_b32_e32 v3, v3, v2
	v_sub_u32_e32 v2, v3, v2
	v_cmp_gt_i32_e32 vcc, s12, v2
	s_and_saveexec_b64 s[2:3], vcc
	s_cbranch_execz .LBB26_4
; %bb.1:
	v_and_b32_e32 v3, 31, v0
	v_mul_lo_u32 v0, v2, s0
	v_sub_u32_e32 v0, v1, v0
	v_mov_b32_e32 v1, s8
	v_cmp_gt_i32_e32 vcc, s8, v0
	v_cndmask_b32_e64 v1, v1, 0, vcc
	s_add_i32 s0, s0, s10
	s_load_dwordx2 s[2:3], s[4:5], 0x0
	v_sub_u32_e32 v0, v0, v1
	v_mul_lo_u32 v4, v2, s0
	v_add3_u32 v0, v4, v1, v0
	v_lshlrev_b32_e32 v8, 2, v3
	v_lshl_or_b32 v0, v0, 7, v8
	v_ashrrev_i32_e32 v1, 31, v0
	v_lshlrev_b64 v[0:1], 1, v[0:1]
	s_waitcnt lgkmcnt(0)
	v_mov_b32_e32 v4, s3
	v_add_co_u32_e64 v0, s[0:1], s2, v0
	v_addc_co_u32_e64 v1, s[0:1], v4, v1, s[0:1]
	global_load_dwordx2 v[4:5], v[0:1], off
	s_load_dwordx8 s[0:7], s[4:5], 0x18
	v_lshlrev_b32_e32 v6, 3, v3
	v_mov_b32_e32 v16, s11
	s_waitcnt lgkmcnt(0)
	v_mov_b32_e32 v7, s3
	v_mov_b32_e32 v9, s1
	;; [unrolled: 1-line block ×4, first 2 shown]
	v_cndmask_b32_e32 v7, v7, v9, vcc
	v_cndmask_b32_e32 v9, v10, v11, vcc
	v_add_co_u32_e32 v6, vcc, v9, v6
	v_addc_co_u32_e32 v7, vcc, 0, v7, vcc
	global_load_dwordx2 v[6:7], v[6:7], off
	v_mbcnt_lo_u32_b32 v9, -1, 0
	v_mbcnt_hi_u32_b32 v9, -1, v9
	v_and_b32_e32 v10, 0x60, v9
	v_add_u32_e32 v17, 32, v10
	v_xor_b32_e32 v14, 16, v9
	v_cmp_lt_i32_e32 vcc, v14, v17
	s_mov_b32 s0, 0x800000
	s_ashr_i32 s2, s13, 31
	s_lshr_b32 s1, s2, 30
	s_add_i32 s1, s13, s1
	s_ashr_i32 s1, s1, 2
	s_waitcnt vmcnt(1)
	v_cvt_f32_f16_e32 v12, v4
	v_cvt_f32_f16_sdwa v13, v4 dst_sel:DWORD dst_unused:UNUSED_PAD src0_sel:WORD_1
	v_cvt_f32_f16_e32 v10, v5
	v_cvt_f32_f16_sdwa v11, v5 dst_sel:DWORD dst_unused:UNUSED_PAD src0_sel:WORD_1
	v_cndmask_b32_e32 v4, v9, v14, vcc
	v_pk_mul_f32 v[14:15], v[12:13], v[12:13]
	v_lshlrev_b32_e32 v18, 2, v4
	v_pk_mul_f32 v[4:5], v[10:11], v[10:11]
	v_add_f32_e32 v14, v14, v15
	v_add_f32_e32 v4, v14, v4
	;; [unrolled: 1-line block ×3, first 2 shown]
	ds_bpermute_b32 v5, v18, v4
	v_xor_b32_e32 v14, 8, v9
	v_cmp_lt_i32_e32 vcc, v14, v17
	v_cndmask_b32_e32 v14, v9, v14, vcc
	v_lshlrev_b32_e32 v14, 2, v14
	s_waitcnt lgkmcnt(0)
	v_add_f32_e32 v4, v4, v5
	ds_bpermute_b32 v5, v14, v4
	v_xor_b32_e32 v14, 4, v9
	v_cmp_lt_i32_e32 vcc, v14, v17
	v_cndmask_b32_e32 v14, v9, v14, vcc
	v_lshlrev_b32_e32 v14, 2, v14
	s_waitcnt lgkmcnt(0)
	v_add_f32_e32 v4, v4, v5
	;; [unrolled: 7-line block ×4, first 2 shown]
	ds_bpermute_b32 v9, v9, v5
	s_waitcnt vmcnt(0)
	v_cvt_f32_f16_e32 v4, v6
	s_waitcnt lgkmcnt(0)
	v_add_f32_e32 v5, v5, v9
	v_fmac_f32_e32 v16, 0x3c000000, v5
	v_mul_f32_e32 v5, 0x4b800000, v16
	v_cmp_gt_f32_e32 vcc, s0, v16
	v_cndmask_b32_e32 v5, v16, v5, vcc
	v_rsq_f32_e32 v9, v5
	v_cvt_f32_f16_sdwa v5, v6 dst_sel:DWORD dst_unused:UNUSED_PAD src0_sel:WORD_1
	v_cvt_f32_f16_e32 v6, v7
	v_cvt_f32_f16_sdwa v7, v7 dst_sel:DWORD dst_unused:UNUSED_PAD src0_sel:WORD_1
	v_mul_f32_e32 v14, 0x45800000, v9
	v_cndmask_b32_e32 v14, v9, v14, vcc
	v_pk_mul_f32 v[4:5], v[14:15], v[4:5] op_sel_hi:[0,1]
	v_pk_mul_f32 v[6:7], v[14:15], v[6:7] op_sel_hi:[0,1]
	v_pk_mul_f32 v[4:5], v[4:5], v[12:13]
	v_pk_mul_f32 v[6:7], v[6:7], v[10:11]
	v_cmp_gt_i32_e32 vcc, s1, v3
	s_and_saveexec_b64 s[0:1], vcc
	s_cbranch_execz .LBB26_3
; %bb.2:
	v_ashrrev_i32_e32 v3, 31, v2
	v_lshlrev_b64 v[2:3], 3, v[2:3]
	v_mov_b32_e32 v9, s7
	v_add_co_u32_e32 v2, vcc, s6, v2
	v_addc_co_u32_e32 v3, vcc, v9, v3, vcc
	global_load_dwordx2 v[2:3], v[2:3], off
	s_lshr_b32 s3, s13, 31
	s_add_i32 s3, s13, s3
	s_ashr_i32 s6, s3, 1
	v_mov_b32_e32 v9, s5
	s_ashr_i32 s7, s6, 31
	s_lshl_b64 s[6:7], s[6:7], 1
	v_mov_b32_e32 v10, s7
	s_waitcnt vmcnt(0)
	v_mul_lo_u32 v11, v3, s13
	v_mul_lo_u32 v12, v2, s2
	v_mad_u64_u32 v[2:3], s[2:3], v2, s13, 0
	v_add3_u32 v3, v3, v12, v11
	v_lshlrev_b64 v[2:3], 1, v[2:3]
	v_add_co_u32_e32 v2, vcc, s4, v2
	v_addc_co_u32_e32 v3, vcc, v9, v3, vcc
	v_add_co_u32_e32 v2, vcc, v2, v8
	v_addc_co_u32_e32 v3, vcc, 0, v3, vcc
	global_load_dword v9, v[2:3], off
	v_add_co_u32_e32 v2, vcc, s6, v2
	v_addc_co_u32_e32 v3, vcc, v3, v10, vcc
	global_load_dword v3, v[2:3], off
	v_mov_b32_e32 v2, v7
	s_waitcnt vmcnt(1)
	v_cvt_f32_f16_e32 v8, v9
	v_cvt_f32_f16_sdwa v11, v9 dst_sel:DWORD dst_unused:UNUSED_PAD src0_sel:WORD_1
	v_pk_mul_f32 v[14:15], v[4:5], v[8:9] op_sel_hi:[1,0]
	s_waitcnt vmcnt(0)
	v_cvt_f32_f16_e32 v12, v3
	v_cvt_f32_f16_sdwa v10, v3 dst_sel:DWORD dst_unused:UNUSED_PAD src0_sel:WORD_1
	v_mov_b32_e32 v16, v11
	v_pk_mul_f32 v[12:13], v[4:5], v[12:13] op_sel_hi:[1,0]
	v_pk_mul_f32 v[18:19], v[6:7], v[10:11]
	v_pk_fma_f32 v[4:5], v[4:5], v[8:9], v[12:13] op_sel:[0,0,1] op_sel_hi:[1,0,0]
	v_pk_mul_f32 v[2:3], v[2:3], v[10:11]
	v_mov_b32_e32 v4, v19
	v_pk_fma_f32 v[2:3], v[6:7], v[16:17], v[2:3] op_sel_hi:[1,0,1] neg_lo:[0,0,1] neg_hi:[0,0,1]
	v_pk_fma_f32 v[8:9], v[6:7], v[10:11], v[4:5]
	v_sub_f32_e32 v4, v14, v13
	v_mov_b32_e32 v6, v2
	v_mov_b32_e32 v7, v8
.LBB26_3:
	s_or_b64 exec, exec, s[0:1]
	v_cvt_f16_f32_e32 v2, v4
	v_cvt_f16_f32_e32 v3, v6
	;; [unrolled: 1-line block ×4, first 2 shown]
	v_pack_b32_f16 v3, v3, v4
	v_pack_b32_f16 v2, v2, v5
	global_store_dwordx2 v[0:1], v[2:3], off
.LBB26_4:
	s_endpgm
	.section	.rodata,"a",@progbits
	.p2align	6, 0x0
	.amdhsa_kernel _ZN12tensorrt_llm7kernels21fusedQKNormRopeKernelIN3c104HalfES3_Li128ELb1EEEvPviiifPKvS6_S6_PKlii
		.amdhsa_group_segment_fixed_size 0
		.amdhsa_private_segment_fixed_size 0
		.amdhsa_kernarg_size 320
		.amdhsa_user_sgpr_count 6
		.amdhsa_user_sgpr_private_segment_buffer 1
		.amdhsa_user_sgpr_dispatch_ptr 0
		.amdhsa_user_sgpr_queue_ptr 0
		.amdhsa_user_sgpr_kernarg_segment_ptr 1
		.amdhsa_user_sgpr_dispatch_id 0
		.amdhsa_user_sgpr_flat_scratch_init 0
		.amdhsa_user_sgpr_kernarg_preload_length 0
		.amdhsa_user_sgpr_kernarg_preload_offset 0
		.amdhsa_user_sgpr_private_segment_size 0
		.amdhsa_uses_dynamic_stack 0
		.amdhsa_system_sgpr_private_segment_wavefront_offset 0
		.amdhsa_system_sgpr_workgroup_id_x 1
		.amdhsa_system_sgpr_workgroup_id_y 0
		.amdhsa_system_sgpr_workgroup_id_z 0
		.amdhsa_system_sgpr_workgroup_info 0
		.amdhsa_system_vgpr_workitem_id 0
		.amdhsa_next_free_vgpr 20
		.amdhsa_next_free_sgpr 14
		.amdhsa_accum_offset 20
		.amdhsa_reserve_vcc 1
		.amdhsa_reserve_flat_scratch 0
		.amdhsa_float_round_mode_32 0
		.amdhsa_float_round_mode_16_64 0
		.amdhsa_float_denorm_mode_32 3
		.amdhsa_float_denorm_mode_16_64 3
		.amdhsa_dx10_clamp 1
		.amdhsa_ieee_mode 1
		.amdhsa_fp16_overflow 0
		.amdhsa_tg_split 0
		.amdhsa_exception_fp_ieee_invalid_op 0
		.amdhsa_exception_fp_denorm_src 0
		.amdhsa_exception_fp_ieee_div_zero 0
		.amdhsa_exception_fp_ieee_overflow 0
		.amdhsa_exception_fp_ieee_underflow 0
		.amdhsa_exception_fp_ieee_inexact 0
		.amdhsa_exception_int_div_zero 0
	.end_amdhsa_kernel
	.section	.text._ZN12tensorrt_llm7kernels21fusedQKNormRopeKernelIN3c104HalfES3_Li128ELb1EEEvPviiifPKvS6_S6_PKlii,"axG",@progbits,_ZN12tensorrt_llm7kernels21fusedQKNormRopeKernelIN3c104HalfES3_Li128ELb1EEEvPviiifPKvS6_S6_PKlii,comdat
.Lfunc_end26:
	.size	_ZN12tensorrt_llm7kernels21fusedQKNormRopeKernelIN3c104HalfES3_Li128ELb1EEEvPviiifPKvS6_S6_PKlii, .Lfunc_end26-_ZN12tensorrt_llm7kernels21fusedQKNormRopeKernelIN3c104HalfES3_Li128ELb1EEEvPviiifPKvS6_S6_PKlii
                                        ; -- End function
	.section	.AMDGPU.csdata,"",@progbits
; Kernel info:
; codeLenInByte = 1052
; NumSgprs: 18
; NumVgprs: 20
; NumAgprs: 0
; TotalNumVgprs: 20
; ScratchSize: 0
; MemoryBound: 0
; FloatMode: 240
; IeeeMode: 1
; LDSByteSize: 0 bytes/workgroup (compile time only)
; SGPRBlocks: 2
; VGPRBlocks: 2
; NumSGPRsForWavesPerEU: 18
; NumVGPRsForWavesPerEU: 20
; AccumOffset: 20
; Occupancy: 8
; WaveLimiterHint : 1
; COMPUTE_PGM_RSRC2:SCRATCH_EN: 0
; COMPUTE_PGM_RSRC2:USER_SGPR: 6
; COMPUTE_PGM_RSRC2:TRAP_HANDLER: 0
; COMPUTE_PGM_RSRC2:TGID_X_EN: 1
; COMPUTE_PGM_RSRC2:TGID_Y_EN: 0
; COMPUTE_PGM_RSRC2:TGID_Z_EN: 0
; COMPUTE_PGM_RSRC2:TIDIG_COMP_CNT: 0
; COMPUTE_PGM_RSRC3_GFX90A:ACCUM_OFFSET: 4
; COMPUTE_PGM_RSRC3_GFX90A:TG_SPLIT: 0
	.section	.text._ZN12tensorrt_llm7kernels21fusedQKNormRopeKernelIN3c104HalfES3_Li128ELb0EEEvPviiifPKvS6_S6_PKlii,"axG",@progbits,_ZN12tensorrt_llm7kernels21fusedQKNormRopeKernelIN3c104HalfES3_Li128ELb0EEEvPviiifPKvS6_S6_PKlii,comdat
	.protected	_ZN12tensorrt_llm7kernels21fusedQKNormRopeKernelIN3c104HalfES3_Li128ELb0EEEvPviiifPKvS6_S6_PKlii ; -- Begin function _ZN12tensorrt_llm7kernels21fusedQKNormRopeKernelIN3c104HalfES3_Li128ELb0EEEvPviiifPKvS6_S6_PKlii
	.globl	_ZN12tensorrt_llm7kernels21fusedQKNormRopeKernelIN3c104HalfES3_Li128ELb0EEEvPviiifPKvS6_S6_PKlii
	.p2align	8
	.type	_ZN12tensorrt_llm7kernels21fusedQKNormRopeKernelIN3c104HalfES3_Li128ELb0EEEvPviiifPKvS6_S6_PKlii,@function
_ZN12tensorrt_llm7kernels21fusedQKNormRopeKernelIN3c104HalfES3_Li128ELb0EEEvPviiifPKvS6_S6_PKlii: ; @_ZN12tensorrt_llm7kernels21fusedQKNormRopeKernelIN3c104HalfES3_Li128ELb0EEEvPviiifPKvS6_S6_PKlii
; %bb.0:
	s_load_dwordx4 s[8:11], s[4:5], 0x8
	s_load_dwordx2 s[12:13], s[4:5], 0x38
	s_load_dword s1, s[4:5], 0x4c
	v_lshrrev_b32_e32 v2, 5, v0
	s_waitcnt lgkmcnt(0)
	s_add_i32 s0, s9, s8
	s_abs_i32 s2, s0
	v_cvt_f32_u32_e32 v1, s2
	s_bfe_u32 s1, s1, 0xb0005
	s_mul_i32 s6, s6, s1
	s_sub_i32 s1, 0, s2
	v_rcp_iflag_f32_e32 v3, v1
	v_add_u32_e32 v1, s6, v2
	v_sub_u32_e32 v4, 0, v1
	v_max_i32_e32 v4, v1, v4
	v_mul_f32_e32 v3, 0x4f7ffffe, v3
	v_cvt_u32_f32_e32 v3, v3
	v_xor_b32_e32 v2, s0, v1
	v_ashrrev_i32_e32 v2, 31, v2
	v_mul_lo_u32 v5, s1, v3
	v_mul_hi_u32 v5, v3, v5
	v_add_u32_e32 v3, v3, v5
	v_mul_hi_u32 v3, v4, v3
	v_mul_lo_u32 v5, v3, s2
	v_sub_u32_e32 v4, v4, v5
	v_add_u32_e32 v5, 1, v3
	v_cmp_le_u32_e32 vcc, s2, v4
	v_cndmask_b32_e32 v3, v3, v5, vcc
	v_subrev_u32_e32 v5, s2, v4
	v_cndmask_b32_e32 v4, v4, v5, vcc
	v_add_u32_e32 v5, 1, v3
	v_cmp_le_u32_e32 vcc, s2, v4
	v_cndmask_b32_e32 v3, v3, v5, vcc
	v_xor_b32_e32 v3, v3, v2
	v_sub_u32_e32 v2, v3, v2
	v_cmp_gt_i32_e32 vcc, s12, v2
	s_and_saveexec_b64 s[2:3], vcc
	s_cbranch_execz .LBB27_4
; %bb.1:
	v_and_b32_e32 v6, 31, v0
	v_mul_lo_u32 v0, v2, s0
	v_sub_u32_e32 v0, v1, v0
	v_mov_b32_e32 v1, s8
	v_cmp_gt_i32_e32 vcc, s8, v0
	v_cndmask_b32_e64 v1, v1, 0, vcc
	s_add_i32 s0, s0, s10
	s_load_dwordx2 s[2:3], s[4:5], 0x0
	v_sub_u32_e32 v0, v0, v1
	v_mul_lo_u32 v3, v2, s0
	v_add3_u32 v0, v3, v1, v0
	v_lshlrev_b32_e32 v1, 2, v6
	v_lshl_or_b32 v0, v0, 7, v1
	v_ashrrev_i32_e32 v1, 31, v0
	v_lshlrev_b64 v[0:1], 1, v[0:1]
	s_waitcnt lgkmcnt(0)
	v_mov_b32_e32 v3, s3
	v_add_co_u32_e64 v0, s[0:1], s2, v0
	v_addc_co_u32_e64 v1, s[0:1], v3, v1, s[0:1]
	global_load_dwordx2 v[4:5], v[0:1], off
	s_load_dwordx8 s[0:7], s[4:5], 0x18
	v_lshlrev_b32_e32 v8, 3, v6
	s_waitcnt lgkmcnt(0)
	v_mov_b32_e32 v3, s3
	v_mov_b32_e32 v7, s1
	;; [unrolled: 1-line block ×4, first 2 shown]
	v_cndmask_b32_e32 v3, v3, v7, vcc
	v_cndmask_b32_e32 v7, v9, v10, vcc
	v_add_co_u32_e32 v10, vcc, v7, v8
	v_addc_co_u32_e32 v11, vcc, 0, v3, vcc
	global_load_dwordx2 v[10:11], v[10:11], off
	v_mbcnt_lo_u32_b32 v3, -1, 0
	v_mbcnt_hi_u32_b32 v7, -1, v3
	v_and_b32_e32 v3, 0x60, v7
	v_xor_b32_e32 v12, 16, v7
	v_add_u32_e32 v3, 32, v3
	v_cmp_lt_i32_e32 vcc, v12, v3
	v_cndmask_b32_e32 v12, v7, v12, vcc
	v_lshlrev_b32_e32 v12, 2, v12
	v_xor_b32_e32 v13, 8, v7
	v_cmp_lt_i32_e32 vcc, v13, v3
	v_cndmask_b32_e32 v13, v7, v13, vcc
	v_lshlrev_b32_e32 v13, 2, v13
	v_xor_b32_e32 v14, 4, v7
	;; [unrolled: 4-line block ×3, first 2 shown]
	v_cmp_lt_i32_e32 vcc, v17, v3
	v_mov_b32_e32 v9, s11
	s_mov_b32 s0, 0x800000
	s_ashr_i32 s2, s13, 31
	s_lshr_b32 s1, s2, 30
	s_add_i32 s1, s13, s1
	s_ashr_i32 s1, s1, 2
	s_waitcnt vmcnt(1)
	v_cvt_f32_f16_sdwa v15, v4 dst_sel:DWORD dst_unused:UNUSED_PAD src0_sel:WORD_1
	v_mul_f32_e32 v16, v15, v15
	v_fma_mix_f32 v16, v4, v4, v16 op_sel_hi:[1,1,0]
	v_fma_mix_f32 v16, v5, v5, v16 op_sel_hi:[1,1,0]
	v_fma_mix_f32 v16, v5, v5, v16 op_sel:[1,1,0] op_sel_hi:[1,1,0]
	ds_bpermute_b32 v12, v12, v16
	v_cvt_f32_f16_e32 v4, v4
	s_waitcnt lgkmcnt(0)
	v_add_f32_e32 v12, v16, v12
	ds_bpermute_b32 v13, v13, v12
	v_xor_b32_e32 v16, 1, v7
	s_waitcnt lgkmcnt(0)
	v_add_f32_e32 v12, v12, v13
	ds_bpermute_b32 v13, v14, v12
	v_cndmask_b32_e32 v14, v7, v17, vcc
	v_lshlrev_b32_e32 v14, 2, v14
	v_cmp_lt_i32_e32 vcc, v16, v3
	v_cndmask_b32_e32 v3, v7, v16, vcc
	s_waitcnt lgkmcnt(0)
	v_add_f32_e32 v12, v12, v13
	ds_bpermute_b32 v13, v14, v12
	v_lshlrev_b32_e32 v3, 2, v3
	s_waitcnt vmcnt(0)
	v_cvt_f32_f16_e32 v14, v11
	v_cvt_f32_f16_sdwa v11, v11 dst_sel:DWORD dst_unused:UNUSED_PAD src0_sel:WORD_1
	s_waitcnt lgkmcnt(0)
	v_add_f32_e32 v12, v12, v13
	ds_bpermute_b32 v3, v3, v12
	v_cvt_f32_f16_e32 v13, v10
	v_cvt_f32_f16_sdwa v10, v10 dst_sel:DWORD dst_unused:UNUSED_PAD src0_sel:WORD_1
	s_waitcnt lgkmcnt(0)
	v_add_f32_e32 v3, v12, v3
	v_fmac_f32_e32 v9, 0x3c000000, v3
	v_mul_f32_e32 v3, 0x4b800000, v9
	v_cmp_gt_f32_e32 vcc, s0, v9
	v_cndmask_b32_e32 v3, v9, v3, vcc
	v_rsq_f32_e32 v3, v3
	v_cvt_f32_f16_e32 v9, v5
	v_cvt_f32_f16_sdwa v12, v5 dst_sel:DWORD dst_unused:UNUSED_PAD src0_sel:WORD_1
	v_mul_f32_e32 v5, 0x45800000, v3
	v_cndmask_b32_e32 v3, v3, v5, vcc
	v_mul_f32_e32 v5, v3, v13
	v_mul_f32_e32 v10, v3, v10
	;; [unrolled: 1-line block ×8, first 2 shown]
	v_cmp_gt_i32_e32 vcc, s1, v6
	s_and_saveexec_b64 s[0:1], vcc
	s_cbranch_execz .LBB27_3
; %bb.2:
	v_ashrrev_i32_e32 v3, 31, v2
	v_lshlrev_b64 v[2:3], 3, v[2:3]
	v_mov_b32_e32 v11, s7
	v_add_co_u32_e32 v2, vcc, s6, v2
	v_addc_co_u32_e32 v3, vcc, v11, v3, vcc
	global_load_dwordx2 v[2:3], v[2:3], off
	v_mov_b32_e32 v11, s5
	s_abs_i32 s5, s13
	v_cvt_f32_u32_e32 v13, s5
	s_sub_i32 s8, 0, s5
	v_or_b32_e32 v12, 2, v8
	v_or_b32_e32 v14, 4, v8
	v_rcp_iflag_f32_e32 v13, v13
	s_lshr_b32 s3, s13, 31
	s_add_i32 s3, s13, s3
	s_ashr_i32 s6, s3, 1
	v_mul_f32_e32 v13, 0x4f7ffffe, v13
	v_cvt_u32_f32_e32 v13, v13
	s_ashr_i32 s7, s6, 31
	s_lshl_b64 s[6:7], s[6:7], 1
	v_mov_b32_e32 v15, s7
	v_mul_lo_u32 v16, s8, v13
	v_mul_hi_u32 v16, v13, v16
	v_add_u32_e32 v18, v13, v16
	v_mul_hi_u32 v13, v8, v18
	v_mul_hi_u32 v16, v12, v18
	v_mul_lo_u32 v13, v13, s5
	v_mul_hi_u32 v17, v14, v18
	v_mul_lo_u32 v16, v16, s5
	v_sub_u32_e32 v13, v8, v13
	v_mul_lo_u32 v17, v17, s5
	v_sub_u32_e32 v12, v12, v16
	v_subrev_u32_e32 v16, s5, v13
	v_cmp_le_u32_e32 vcc, s5, v13
	v_sub_u32_e32 v14, v14, v17
	v_subrev_u32_e32 v17, s5, v12
	v_cndmask_b32_e32 v13, v13, v16, vcc
	v_cmp_le_u32_e32 vcc, s5, v12
	v_subrev_u32_e32 v19, s5, v14
	v_cndmask_b32_e32 v12, v12, v17, vcc
	v_cmp_le_u32_e32 vcc, s5, v14
	v_cndmask_b32_e32 v19, v14, v19, vcc
	v_subrev_u32_e32 v14, s5, v13
	v_cmp_le_u32_e32 vcc, s5, v13
	v_subrev_u32_e32 v16, s5, v12
	v_cndmask_b32_e32 v13, v13, v14, vcc
	v_cmp_le_u32_e32 vcc, s5, v12
	v_cndmask_b32_e32 v12, v12, v16, vcc
	v_and_b32_e32 v14, -2, v13
	v_and_b32_e32 v16, -2, v12
	v_subrev_u32_e32 v20, s5, v19
	; wave barrier
	s_waitcnt vmcnt(0)
	v_mul_lo_u32 v12, v3, s13
	v_mul_lo_u32 v13, v2, s2
	v_mad_u64_u32 v[2:3], s[8:9], v2, s13, 0
	v_add3_u32 v3, v3, v13, v12
	v_lshlrev_b64 v[2:3], 1, v[2:3]
	v_add_co_u32_e32 v21, vcc, s4, v2
	v_addc_co_u32_e32 v11, vcc, v11, v3, vcc
	v_add_co_u32_e32 v22, vcc, s6, v21
	v_addc_co_u32_e32 v23, vcc, v11, v15, vcc
	;; [unrolled: 2-line block ×6, first 2 shown]
	v_cmp_le_u32_e32 vcc, s5, v19
	global_load_ushort v24, v[2:3], off
	global_load_ushort v25, v[14:15], off
	;; [unrolled: 1-line block ×4, first 2 shown]
	v_cndmask_b32_e32 v2, v19, v20, vcc
	v_and_b32_e32 v12, -2, v2
	v_add_co_u32_e32 v2, vcc, v22, v12
	v_addc_co_u32_e32 v3, vcc, 0, v23, vcc
	global_load_ushort v13, v[2:3], off
	v_or_b32_e32 v2, 6, v8
	v_mul_hi_u32 v3, v2, v18
	v_mul_lo_u32 v3, v3, s5
	v_sub_u32_e32 v2, v2, v3
	v_subrev_u32_e32 v3, s5, v2
	v_cmp_le_u32_e32 vcc, s5, v2
	v_cndmask_b32_e32 v2, v2, v3, vcc
	v_subrev_u32_e32 v3, s5, v2
	v_cmp_le_u32_e32 vcc, s5, v2
	v_cndmask_b32_e32 v2, v2, v3, vcc
	v_and_b32_e32 v8, -2, v2
	v_add_co_u32_e32 v2, vcc, v22, v8
	v_addc_co_u32_e32 v3, vcc, 0, v23, vcc
	global_load_ushort v14, v[2:3], off
	v_add_co_u32_e32 v2, vcc, v21, v12
	v_addc_co_u32_e32 v3, vcc, 0, v11, vcc
	global_load_ushort v12, v[2:3], off
	;; [unrolled: 3-line block ×3, first 2 shown]
	s_lshr_b32 s2, s2, 29
	s_add_i32 s2, s13, s2
	v_and_b32_e32 v3, 64, v7
	s_ashr_i32 s2, s2, 3
	v_add_u32_e32 v3, 64, v3
	v_xor_b32_e32 v8, s2, v7
	v_cmp_lt_i32_e32 vcc, v8, v3
	v_cndmask_b32_e32 v3, v7, v8, vcc
	v_lshlrev_b32_e32 v3, 2, v3
	ds_bpermute_b32 v7, v3, v5
	ds_bpermute_b32 v8, v3, v4
	ds_bpermute_b32 v11, v3, v9
	ds_bpermute_b32 v3, v3, v10
	v_cmp_gt_i32_e32 vcc, s2, v6
	s_waitcnt lgkmcnt(3)
	v_cndmask_b32_e64 v6, v7, -v7, vcc
	s_waitcnt lgkmcnt(2)
	v_cndmask_b32_e64 v7, v8, -v8, vcc
	;; [unrolled: 2-line block ×4, first 2 shown]
	; wave barrier
	s_waitcnt vmcnt(6)
	v_cvt_f32_f16_e32 v11, v25
	s_waitcnt vmcnt(4)
	v_cvt_f32_f16_e32 v15, v27
	v_mul_f32_e32 v6, v6, v11
	v_fma_mix_f32 v5, v5, v24, v6 op_sel_hi:[0,1,0]
	v_mul_f32_e32 v7, v7, v15
	v_fma_mix_f32 v4, v4, v26, v7 op_sel_hi:[0,1,0]
	s_waitcnt vmcnt(3)
	v_cvt_f32_f16_e32 v13, v13
	v_mul_f32_e32 v8, v8, v13
	s_waitcnt vmcnt(2)
	v_cvt_f32_f16_e32 v14, v14
	v_mul_f32_e32 v3, v3, v14
	s_waitcnt vmcnt(1)
	v_fma_mix_f32 v9, v9, v12, v8 op_sel_hi:[0,1,0]
	s_waitcnt vmcnt(0)
	v_fma_mix_f32 v10, v10, v2, v3 op_sel_hi:[0,1,0]
.LBB27_3:
	s_or_b64 exec, exec, s[0:1]
	v_cvt_f16_f32_e32 v2, v5
	v_cvt_f16_f32_e32 v3, v9
	;; [unrolled: 1-line block ×4, first 2 shown]
	v_pack_b32_f16 v3, v3, v5
	v_pack_b32_f16 v2, v2, v4
	global_store_dwordx2 v[0:1], v[2:3], off
.LBB27_4:
	s_endpgm
	.section	.rodata,"a",@progbits
	.p2align	6, 0x0
	.amdhsa_kernel _ZN12tensorrt_llm7kernels21fusedQKNormRopeKernelIN3c104HalfES3_Li128ELb0EEEvPviiifPKvS6_S6_PKlii
		.amdhsa_group_segment_fixed_size 0
		.amdhsa_private_segment_fixed_size 0
		.amdhsa_kernarg_size 320
		.amdhsa_user_sgpr_count 6
		.amdhsa_user_sgpr_private_segment_buffer 1
		.amdhsa_user_sgpr_dispatch_ptr 0
		.amdhsa_user_sgpr_queue_ptr 0
		.amdhsa_user_sgpr_kernarg_segment_ptr 1
		.amdhsa_user_sgpr_dispatch_id 0
		.amdhsa_user_sgpr_flat_scratch_init 0
		.amdhsa_user_sgpr_kernarg_preload_length 0
		.amdhsa_user_sgpr_kernarg_preload_offset 0
		.amdhsa_user_sgpr_private_segment_size 0
		.amdhsa_uses_dynamic_stack 0
		.amdhsa_system_sgpr_private_segment_wavefront_offset 0
		.amdhsa_system_sgpr_workgroup_id_x 1
		.amdhsa_system_sgpr_workgroup_id_y 0
		.amdhsa_system_sgpr_workgroup_id_z 0
		.amdhsa_system_sgpr_workgroup_info 0
		.amdhsa_system_vgpr_workitem_id 0
		.amdhsa_next_free_vgpr 28
		.amdhsa_next_free_sgpr 14
		.amdhsa_accum_offset 28
		.amdhsa_reserve_vcc 1
		.amdhsa_reserve_flat_scratch 0
		.amdhsa_float_round_mode_32 0
		.amdhsa_float_round_mode_16_64 0
		.amdhsa_float_denorm_mode_32 3
		.amdhsa_float_denorm_mode_16_64 3
		.amdhsa_dx10_clamp 1
		.amdhsa_ieee_mode 1
		.amdhsa_fp16_overflow 0
		.amdhsa_tg_split 0
		.amdhsa_exception_fp_ieee_invalid_op 0
		.amdhsa_exception_fp_denorm_src 0
		.amdhsa_exception_fp_ieee_div_zero 0
		.amdhsa_exception_fp_ieee_overflow 0
		.amdhsa_exception_fp_ieee_underflow 0
		.amdhsa_exception_fp_ieee_inexact 0
		.amdhsa_exception_int_div_zero 0
	.end_amdhsa_kernel
	.section	.text._ZN12tensorrt_llm7kernels21fusedQKNormRopeKernelIN3c104HalfES3_Li128ELb0EEEvPviiifPKvS6_S6_PKlii,"axG",@progbits,_ZN12tensorrt_llm7kernels21fusedQKNormRopeKernelIN3c104HalfES3_Li128ELb0EEEvPviiifPKvS6_S6_PKlii,comdat
.Lfunc_end27:
	.size	_ZN12tensorrt_llm7kernels21fusedQKNormRopeKernelIN3c104HalfES3_Li128ELb0EEEvPviiifPKvS6_S6_PKlii, .Lfunc_end27-_ZN12tensorrt_llm7kernels21fusedQKNormRopeKernelIN3c104HalfES3_Li128ELb0EEEvPviiifPKvS6_S6_PKlii
                                        ; -- End function
	.section	.AMDGPU.csdata,"",@progbits
; Kernel info:
; codeLenInByte = 1504
; NumSgprs: 18
; NumVgprs: 28
; NumAgprs: 0
; TotalNumVgprs: 28
; ScratchSize: 0
; MemoryBound: 0
; FloatMode: 240
; IeeeMode: 1
; LDSByteSize: 0 bytes/workgroup (compile time only)
; SGPRBlocks: 2
; VGPRBlocks: 3
; NumSGPRsForWavesPerEU: 18
; NumVGPRsForWavesPerEU: 28
; AccumOffset: 28
; Occupancy: 8
; WaveLimiterHint : 1
; COMPUTE_PGM_RSRC2:SCRATCH_EN: 0
; COMPUTE_PGM_RSRC2:USER_SGPR: 6
; COMPUTE_PGM_RSRC2:TRAP_HANDLER: 0
; COMPUTE_PGM_RSRC2:TGID_X_EN: 1
; COMPUTE_PGM_RSRC2:TGID_Y_EN: 0
; COMPUTE_PGM_RSRC2:TGID_Z_EN: 0
; COMPUTE_PGM_RSRC2:TIDIG_COMP_CNT: 0
; COMPUTE_PGM_RSRC3_GFX90A:ACCUM_OFFSET: 6
; COMPUTE_PGM_RSRC3_GFX90A:TG_SPLIT: 0
	.section	.text._ZN12tensorrt_llm7kernels21fusedQKNormRopeKernelIN3c104HalfES3_Li256ELb1EEEvPviiifPKvS6_S6_PKlii,"axG",@progbits,_ZN12tensorrt_llm7kernels21fusedQKNormRopeKernelIN3c104HalfES3_Li256ELb1EEEvPviiifPKvS6_S6_PKlii,comdat
	.protected	_ZN12tensorrt_llm7kernels21fusedQKNormRopeKernelIN3c104HalfES3_Li256ELb1EEEvPviiifPKvS6_S6_PKlii ; -- Begin function _ZN12tensorrt_llm7kernels21fusedQKNormRopeKernelIN3c104HalfES3_Li256ELb1EEEvPviiifPKvS6_S6_PKlii
	.globl	_ZN12tensorrt_llm7kernels21fusedQKNormRopeKernelIN3c104HalfES3_Li256ELb1EEEvPviiifPKvS6_S6_PKlii
	.p2align	8
	.type	_ZN12tensorrt_llm7kernels21fusedQKNormRopeKernelIN3c104HalfES3_Li256ELb1EEEvPviiifPKvS6_S6_PKlii,@function
_ZN12tensorrt_llm7kernels21fusedQKNormRopeKernelIN3c104HalfES3_Li256ELb1EEEvPviiifPKvS6_S6_PKlii: ; @_ZN12tensorrt_llm7kernels21fusedQKNormRopeKernelIN3c104HalfES3_Li256ELb1EEEvPviiifPKvS6_S6_PKlii
; %bb.0:
	s_load_dwordx4 s[8:11], s[4:5], 0x8
	s_load_dwordx2 s[12:13], s[4:5], 0x38
	s_load_dword s1, s[4:5], 0x4c
	v_lshrrev_b32_e32 v2, 5, v0
	s_waitcnt lgkmcnt(0)
	s_add_i32 s0, s9, s8
	s_abs_i32 s2, s0
	v_cvt_f32_u32_e32 v1, s2
	s_bfe_u32 s1, s1, 0xb0005
	s_mul_i32 s6, s6, s1
	s_sub_i32 s1, 0, s2
	v_rcp_iflag_f32_e32 v3, v1
	v_add_u32_e32 v1, s6, v2
	v_sub_u32_e32 v4, 0, v1
	v_max_i32_e32 v4, v1, v4
	v_mul_f32_e32 v3, 0x4f7ffffe, v3
	v_cvt_u32_f32_e32 v3, v3
	v_xor_b32_e32 v2, s0, v1
	v_ashrrev_i32_e32 v2, 31, v2
	v_mul_lo_u32 v5, s1, v3
	v_mul_hi_u32 v5, v3, v5
	v_add_u32_e32 v3, v3, v5
	v_mul_hi_u32 v3, v4, v3
	v_mul_lo_u32 v5, v3, s2
	v_sub_u32_e32 v4, v4, v5
	v_add_u32_e32 v5, 1, v3
	v_cmp_le_u32_e32 vcc, s2, v4
	v_cndmask_b32_e32 v3, v3, v5, vcc
	v_subrev_u32_e32 v5, s2, v4
	v_cndmask_b32_e32 v4, v4, v5, vcc
	v_add_u32_e32 v5, 1, v3
	v_cmp_le_u32_e32 vcc, s2, v4
	v_cndmask_b32_e32 v3, v3, v5, vcc
	v_xor_b32_e32 v3, v3, v2
	v_sub_u32_e32 v10, v3, v2
	v_cmp_gt_i32_e32 vcc, s12, v10
	s_and_saveexec_b64 s[2:3], vcc
	s_cbranch_execz .LBB28_4
; %bb.1:
	v_and_b32_e32 v11, 31, v0
	v_mul_lo_u32 v0, v10, s0
	v_sub_u32_e32 v0, v1, v0
	v_mov_b32_e32 v1, s8
	v_cmp_gt_i32_e32 vcc, s8, v0
	v_cndmask_b32_e64 v1, v1, 0, vcc
	s_add_i32 s0, s0, s10
	s_load_dwordx2 s[2:3], s[4:5], 0x0
	v_sub_u32_e32 v0, v0, v1
	v_mul_lo_u32 v2, v10, s0
	v_add3_u32 v0, v2, v1, v0
	v_lshlrev_b32_e32 v12, 3, v11
	v_lshl_or_b32 v0, v0, 8, v12
	v_ashrrev_i32_e32 v1, 31, v0
	v_lshlrev_b64 v[0:1], 1, v[0:1]
	s_waitcnt lgkmcnt(0)
	v_mov_b32_e32 v2, s3
	v_add_co_u32_e64 v8, s[0:1], s2, v0
	v_addc_co_u32_e64 v9, s[0:1], v2, v1, s[0:1]
	global_load_dwordx4 v[4:7], v[8:9], off
	s_load_dwordx8 s[0:7], s[4:5], 0x18
	v_lshlrev_b32_e32 v0, 4, v11
	v_mov_b32_e32 v26, s11
	s_waitcnt lgkmcnt(0)
	v_mov_b32_e32 v1, s3
	v_mov_b32_e32 v2, s1
	;; [unrolled: 1-line block ×4, first 2 shown]
	v_cndmask_b32_e32 v1, v1, v2, vcc
	v_cndmask_b32_e32 v2, v3, v13, vcc
	v_add_co_u32_e32 v0, vcc, v2, v0
	v_addc_co_u32_e32 v1, vcc, 0, v1, vcc
	global_load_dwordx4 v[0:3], v[0:1], off
	v_mbcnt_lo_u32_b32 v13, -1, 0
	v_mbcnt_hi_u32_b32 v13, -1, v13
	v_and_b32_e32 v14, 0x60, v13
	v_xor_b32_e32 v15, 16, v13
	v_add_u32_e32 v30, 32, v14
	v_cmp_lt_i32_e32 vcc, v15, v30
	v_cndmask_b32_e32 v14, v13, v15, vcc
	v_lshlrev_b32_e32 v31, 2, v14
	v_xor_b32_e32 v27, 8, v13
	v_cmp_lt_i32_e32 vcc, v27, v30
	v_xor_b32_e32 v28, 4, v13
	v_xor_b32_e32 v29, 2, v13
	s_mov_b32 s0, 0x800000
	s_ashr_i32 s2, s13, 31
	s_lshr_b32 s1, s2, 29
	s_add_i32 s1, s13, s1
	s_ashr_i32 s1, s1, 3
	s_waitcnt vmcnt(1)
	v_cvt_f32_f16_e32 v16, v4
	v_cvt_f32_f16_sdwa v17, v4 dst_sel:DWORD dst_unused:UNUSED_PAD src0_sel:WORD_1
	v_cvt_f32_f16_e32 v4, v5
	v_cvt_f32_f16_sdwa v5, v5 dst_sel:DWORD dst_unused:UNUSED_PAD src0_sel:WORD_1
	;; [unrolled: 2-line block ×3, first 2 shown]
	v_pk_mul_f32 v[20:21], v[16:17], v[16:17]
	v_cvt_f32_f16_e32 v14, v7
	v_cvt_f32_f16_sdwa v15, v7 dst_sel:DWORD dst_unused:UNUSED_PAD src0_sel:WORD_1
	v_pk_mul_f32 v[22:23], v[4:5], v[4:5]
	v_add_f32_e32 v20, v20, v21
	v_add_f32_e32 v20, v20, v22
	v_pk_mul_f32 v[24:25], v[18:19], v[18:19]
	v_add_f32_e32 v20, v20, v23
	v_add_f32_e32 v20, v20, v24
	;; [unrolled: 3-line block ×3, first 2 shown]
	v_add_f32_e32 v6, v6, v7
	ds_bpermute_b32 v7, v31, v6
	v_cndmask_b32_e32 v21, v13, v27, vcc
	v_lshlrev_b32_e32 v21, 2, v21
	v_cmp_lt_i32_e32 vcc, v28, v30
	v_xor_b32_e32 v20, 1, v13
	s_waitcnt lgkmcnt(0)
	v_add_f32_e32 v6, v6, v7
	ds_bpermute_b32 v7, v21, v6
	v_cndmask_b32_e32 v21, v13, v28, vcc
	v_lshlrev_b32_e32 v21, 2, v21
	v_cmp_lt_i32_e32 vcc, v29, v30
	s_waitcnt lgkmcnt(0)
	v_add_f32_e32 v6, v6, v7
	ds_bpermute_b32 v7, v21, v6
	v_cndmask_b32_e32 v21, v13, v29, vcc
	v_lshlrev_b32_e32 v21, 2, v21
	v_cmp_lt_i32_e32 vcc, v20, v30
	s_waitcnt lgkmcnt(0)
	v_add_f32_e32 v7, v6, v7
	ds_bpermute_b32 v21, v21, v7
	v_cndmask_b32_e32 v6, v13, v20, vcc
	v_lshlrev_b32_e32 v13, 2, v6
	s_waitcnt vmcnt(0)
	v_cvt_f32_f16_e32 v6, v0
	v_cvt_f32_f16_e32 v20, v2
	s_waitcnt lgkmcnt(0)
	v_add_f32_e32 v21, v7, v21
	ds_bpermute_b32 v13, v13, v21
	v_cvt_f32_f16_sdwa v7, v0 dst_sel:DWORD dst_unused:UNUSED_PAD src0_sel:WORD_1
	v_cvt_f32_f16_e32 v0, v1
	v_cvt_f32_f16_sdwa v1, v1 dst_sel:DWORD dst_unused:UNUSED_PAD src0_sel:WORD_1
	s_waitcnt lgkmcnt(0)
	v_add_f32_e32 v13, v21, v13
	v_fmac_f32_e32 v26, 0x3b800000, v13
	v_mul_f32_e32 v13, 0x4b800000, v26
	v_cmp_gt_f32_e32 vcc, s0, v26
	v_cndmask_b32_e32 v13, v26, v13, vcc
	v_rsq_f32_e32 v13, v13
	v_cvt_f32_f16_sdwa v21, v2 dst_sel:DWORD dst_unused:UNUSED_PAD src0_sel:WORD_1
	v_cvt_f32_f16_e32 v2, v3
	v_cvt_f32_f16_sdwa v3, v3 dst_sel:DWORD dst_unused:UNUSED_PAD src0_sel:WORD_1
	v_mul_f32_e32 v22, 0x45800000, v13
	v_cndmask_b32_e32 v22, v13, v22, vcc
	v_pk_mul_f32 v[6:7], v[22:23], v[6:7] op_sel_hi:[0,1]
	v_pk_mul_f32 v[24:25], v[22:23], v[0:1] op_sel_hi:[0,1]
	;; [unrolled: 1-line block ×4, first 2 shown]
	v_pk_mul_f32 v[0:1], v[6:7], v[16:17]
	v_pk_mul_f32 v[2:3], v[24:25], v[4:5]
	;; [unrolled: 1-line block ×4, first 2 shown]
	v_cmp_gt_i32_e32 vcc, s1, v11
	s_and_saveexec_b64 s[0:1], vcc
	s_cbranch_execz .LBB28_3
; %bb.2:
	v_ashrrev_i32_e32 v11, 31, v10
	v_lshlrev_b64 v[10:11], 3, v[10:11]
	v_mov_b32_e32 v13, s7
	v_add_co_u32_e32 v10, vcc, s6, v10
	v_addc_co_u32_e32 v11, vcc, v13, v11, vcc
	global_load_dwordx2 v[10:11], v[10:11], off
	s_lshr_b32 s3, s13, 31
	s_add_i32 s3, s13, s3
	s_ashr_i32 s6, s3, 1
	v_mov_b32_e32 v13, s5
	s_ashr_i32 s7, s6, 31
	s_lshl_b64 s[6:7], s[6:7], 1
	v_mov_b32_e32 v14, s7
	s_waitcnt vmcnt(0)
	v_mul_lo_u32 v15, v11, s13
	v_mul_lo_u32 v16, v10, s2
	v_mad_u64_u32 v[10:11], s[2:3], v10, s13, 0
	v_add3_u32 v11, v11, v16, v15
	v_lshlrev_b64 v[10:11], 1, v[10:11]
	v_add_co_u32_e32 v10, vcc, s4, v10
	v_addc_co_u32_e32 v11, vcc, v13, v11, vcc
	v_add_co_u32_e32 v10, vcc, v10, v12
	v_addc_co_u32_e32 v11, vcc, 0, v11, vcc
	global_load_dwordx2 v[12:13], v[10:11], off
	v_add_co_u32_e32 v10, vcc, s6, v10
	v_addc_co_u32_e32 v11, vcc, v11, v14, vcc
	global_load_dwordx2 v[10:11], v[10:11], off
	v_mov_b32_e32 v14, v7
	s_waitcnt vmcnt(1)
	v_cvt_f32_f16_e32 v16, v12
	v_cvt_f32_f16_sdwa v21, v13 dst_sel:DWORD dst_unused:UNUSED_PAD src0_sel:WORD_1
	v_cvt_f32_f16_sdwa v12, v12 dst_sel:DWORD dst_unused:UNUSED_PAD src0_sel:WORD_1
	v_cvt_f32_f16_e32 v18, v13
	v_pk_mul_f32 v[26:27], v[0:1], v[16:17] op_sel_hi:[1,0]
	s_waitcnt vmcnt(0)
	v_cvt_f32_f16_e32 v22, v10
	v_cvt_f32_f16_sdwa v20, v11 dst_sel:DWORD dst_unused:UNUSED_PAD src0_sel:WORD_1
	v_cvt_f32_f16_sdwa v10, v10 dst_sel:DWORD dst_unused:UNUSED_PAD src0_sel:WORD_1
	v_cvt_f32_f16_e32 v24, v11
	v_pk_mul_f32 v[22:23], v[0:1], v[22:23] op_sel_hi:[1,0]
	v_pk_mul_f32 v[30:31], v[6:7], v[20:21]
	v_pk_fma_f32 v[0:1], v[0:1], v[16:17], v[22:23] op_sel:[0,0,1] op_sel_hi:[1,0,0]
	v_mov_b32_e32 v28, v21
	v_pk_mul_f32 v[10:11], v[2:3], v[10:11] op_sel_hi:[1,0]
	v_pk_mul_f32 v[24:25], v[4:5], v[24:25] op_sel_hi:[1,0]
	v_pk_mul_f32 v[14:15], v[14:15], v[20:21]
	v_mov_b32_e32 v0, v31
	v_pk_fma_f32 v[16:17], v[2:3], v[12:13], v[10:11] op_sel:[0,0,1] op_sel_hi:[1,0,0] neg_lo:[0,0,1] neg_hi:[0,0,1]
	v_pk_fma_f32 v[2:3], v[2:3], v[12:13], v[10:11] op_sel:[0,0,1] op_sel_hi:[1,0,0]
	v_pk_fma_f32 v[10:11], v[4:5], v[18:19], v[24:25] op_sel:[0,0,1] op_sel_hi:[1,0,0] neg_lo:[0,0,1] neg_hi:[0,0,1]
	v_pk_fma_f32 v[4:5], v[4:5], v[18:19], v[24:25] op_sel:[0,0,1] op_sel_hi:[1,0,0]
	v_pk_fma_f32 v[12:13], v[6:7], v[28:29], v[14:15] op_sel_hi:[1,0,1] neg_lo:[0,0,1] neg_hi:[0,0,1]
	v_pk_fma_f32 v[14:15], v[6:7], v[20:21], v[0:1]
	v_sub_f32_e32 v0, v26, v23
	v_mov_b32_e32 v2, v16
	v_mov_b32_e32 v4, v10
	;; [unrolled: 1-line block ×4, first 2 shown]
.LBB28_3:
	s_or_b64 exec, exec, s[0:1]
	v_cvt_f16_f32_e32 v0, v0
	v_cvt_f16_f32_e32 v10, v2
	;; [unrolled: 1-line block ×8, first 2 shown]
	v_pack_b32_f16 v3, v4, v6
	v_pack_b32_f16 v2, v2, v5
	v_pack_b32_f16 v1, v10, v7
	v_pack_b32_f16 v0, v0, v11
	global_store_dwordx4 v[8:9], v[0:3], off
.LBB28_4:
	s_endpgm
	.section	.rodata,"a",@progbits
	.p2align	6, 0x0
	.amdhsa_kernel _ZN12tensorrt_llm7kernels21fusedQKNormRopeKernelIN3c104HalfES3_Li256ELb1EEEvPviiifPKvS6_S6_PKlii
		.amdhsa_group_segment_fixed_size 0
		.amdhsa_private_segment_fixed_size 0
		.amdhsa_kernarg_size 320
		.amdhsa_user_sgpr_count 6
		.amdhsa_user_sgpr_private_segment_buffer 1
		.amdhsa_user_sgpr_dispatch_ptr 0
		.amdhsa_user_sgpr_queue_ptr 0
		.amdhsa_user_sgpr_kernarg_segment_ptr 1
		.amdhsa_user_sgpr_dispatch_id 0
		.amdhsa_user_sgpr_flat_scratch_init 0
		.amdhsa_user_sgpr_kernarg_preload_length 0
		.amdhsa_user_sgpr_kernarg_preload_offset 0
		.amdhsa_user_sgpr_private_segment_size 0
		.amdhsa_uses_dynamic_stack 0
		.amdhsa_system_sgpr_private_segment_wavefront_offset 0
		.amdhsa_system_sgpr_workgroup_id_x 1
		.amdhsa_system_sgpr_workgroup_id_y 0
		.amdhsa_system_sgpr_workgroup_id_z 0
		.amdhsa_system_sgpr_workgroup_info 0
		.amdhsa_system_vgpr_workitem_id 0
		.amdhsa_next_free_vgpr 32
		.amdhsa_next_free_sgpr 14
		.amdhsa_accum_offset 32
		.amdhsa_reserve_vcc 1
		.amdhsa_reserve_flat_scratch 0
		.amdhsa_float_round_mode_32 0
		.amdhsa_float_round_mode_16_64 0
		.amdhsa_float_denorm_mode_32 3
		.amdhsa_float_denorm_mode_16_64 3
		.amdhsa_dx10_clamp 1
		.amdhsa_ieee_mode 1
		.amdhsa_fp16_overflow 0
		.amdhsa_tg_split 0
		.amdhsa_exception_fp_ieee_invalid_op 0
		.amdhsa_exception_fp_denorm_src 0
		.amdhsa_exception_fp_ieee_div_zero 0
		.amdhsa_exception_fp_ieee_overflow 0
		.amdhsa_exception_fp_ieee_underflow 0
		.amdhsa_exception_fp_ieee_inexact 0
		.amdhsa_exception_int_div_zero 0
	.end_amdhsa_kernel
	.section	.text._ZN12tensorrt_llm7kernels21fusedQKNormRopeKernelIN3c104HalfES3_Li256ELb1EEEvPviiifPKvS6_S6_PKlii,"axG",@progbits,_ZN12tensorrt_llm7kernels21fusedQKNormRopeKernelIN3c104HalfES3_Li256ELb1EEEvPviiifPKvS6_S6_PKlii,comdat
.Lfunc_end28:
	.size	_ZN12tensorrt_llm7kernels21fusedQKNormRopeKernelIN3c104HalfES3_Li256ELb1EEEvPviiifPKvS6_S6_PKlii, .Lfunc_end28-_ZN12tensorrt_llm7kernels21fusedQKNormRopeKernelIN3c104HalfES3_Li256ELb1EEEvPviiifPKvS6_S6_PKlii
                                        ; -- End function
	.section	.AMDGPU.csdata,"",@progbits
; Kernel info:
; codeLenInByte = 1276
; NumSgprs: 18
; NumVgprs: 32
; NumAgprs: 0
; TotalNumVgprs: 32
; ScratchSize: 0
; MemoryBound: 0
; FloatMode: 240
; IeeeMode: 1
; LDSByteSize: 0 bytes/workgroup (compile time only)
; SGPRBlocks: 2
; VGPRBlocks: 3
; NumSGPRsForWavesPerEU: 18
; NumVGPRsForWavesPerEU: 32
; AccumOffset: 32
; Occupancy: 8
; WaveLimiterHint : 1
; COMPUTE_PGM_RSRC2:SCRATCH_EN: 0
; COMPUTE_PGM_RSRC2:USER_SGPR: 6
; COMPUTE_PGM_RSRC2:TRAP_HANDLER: 0
; COMPUTE_PGM_RSRC2:TGID_X_EN: 1
; COMPUTE_PGM_RSRC2:TGID_Y_EN: 0
; COMPUTE_PGM_RSRC2:TGID_Z_EN: 0
; COMPUTE_PGM_RSRC2:TIDIG_COMP_CNT: 0
; COMPUTE_PGM_RSRC3_GFX90A:ACCUM_OFFSET: 7
; COMPUTE_PGM_RSRC3_GFX90A:TG_SPLIT: 0
	.section	.text._ZN12tensorrt_llm7kernels21fusedQKNormRopeKernelIN3c104HalfES3_Li256ELb0EEEvPviiifPKvS6_S6_PKlii,"axG",@progbits,_ZN12tensorrt_llm7kernels21fusedQKNormRopeKernelIN3c104HalfES3_Li256ELb0EEEvPviiifPKvS6_S6_PKlii,comdat
	.protected	_ZN12tensorrt_llm7kernels21fusedQKNormRopeKernelIN3c104HalfES3_Li256ELb0EEEvPviiifPKvS6_S6_PKlii ; -- Begin function _ZN12tensorrt_llm7kernels21fusedQKNormRopeKernelIN3c104HalfES3_Li256ELb0EEEvPviiifPKvS6_S6_PKlii
	.globl	_ZN12tensorrt_llm7kernels21fusedQKNormRopeKernelIN3c104HalfES3_Li256ELb0EEEvPviiifPKvS6_S6_PKlii
	.p2align	8
	.type	_ZN12tensorrt_llm7kernels21fusedQKNormRopeKernelIN3c104HalfES3_Li256ELb0EEEvPviiifPKvS6_S6_PKlii,@function
_ZN12tensorrt_llm7kernels21fusedQKNormRopeKernelIN3c104HalfES3_Li256ELb0EEEvPviiifPKvS6_S6_PKlii: ; @_ZN12tensorrt_llm7kernels21fusedQKNormRopeKernelIN3c104HalfES3_Li256ELb0EEEvPviiifPKvS6_S6_PKlii
; %bb.0:
	s_load_dwordx4 s[8:11], s[4:5], 0x8
	s_load_dwordx2 s[12:13], s[4:5], 0x38
	s_load_dword s1, s[4:5], 0x4c
	v_lshrrev_b32_e32 v2, 5, v0
	s_waitcnt lgkmcnt(0)
	s_add_i32 s0, s9, s8
	s_abs_i32 s2, s0
	v_cvt_f32_u32_e32 v1, s2
	s_bfe_u32 s1, s1, 0xb0005
	s_mul_i32 s6, s6, s1
	s_sub_i32 s1, 0, s2
	v_rcp_iflag_f32_e32 v3, v1
	v_add_u32_e32 v1, s6, v2
	v_sub_u32_e32 v4, 0, v1
	v_max_i32_e32 v4, v1, v4
	v_mul_f32_e32 v3, 0x4f7ffffe, v3
	v_cvt_u32_f32_e32 v3, v3
	v_xor_b32_e32 v2, s0, v1
	v_ashrrev_i32_e32 v2, 31, v2
	v_mul_lo_u32 v5, s1, v3
	v_mul_hi_u32 v5, v3, v5
	v_add_u32_e32 v3, v3, v5
	v_mul_hi_u32 v3, v4, v3
	v_mul_lo_u32 v5, v3, s2
	v_sub_u32_e32 v4, v4, v5
	v_add_u32_e32 v5, 1, v3
	v_cmp_le_u32_e32 vcc, s2, v4
	v_cndmask_b32_e32 v3, v3, v5, vcc
	v_subrev_u32_e32 v5, s2, v4
	v_cndmask_b32_e32 v4, v4, v5, vcc
	v_add_u32_e32 v5, 1, v3
	v_cmp_le_u32_e32 vcc, s2, v4
	v_cndmask_b32_e32 v3, v3, v5, vcc
	v_xor_b32_e32 v3, v3, v2
	v_sub_u32_e32 v6, v3, v2
	v_cmp_gt_i32_e32 vcc, s12, v6
	s_and_saveexec_b64 s[2:3], vcc
	s_cbranch_execz .LBB29_4
; %bb.1:
	v_and_b32_e32 v8, 31, v0
	v_mul_lo_u32 v0, v6, s0
	v_sub_u32_e32 v0, v1, v0
	v_mov_b32_e32 v1, s8
	v_cmp_gt_i32_e32 vcc, s8, v0
	v_cndmask_b32_e64 v1, v1, 0, vcc
	s_add_i32 s0, s0, s10
	s_load_dwordx2 s[2:3], s[4:5], 0x0
	v_sub_u32_e32 v0, v0, v1
	v_mul_lo_u32 v2, v6, s0
	v_add3_u32 v0, v2, v1, v0
	v_lshlrev_b32_e32 v1, 3, v8
	v_lshl_or_b32 v0, v0, 8, v1
	v_ashrrev_i32_e32 v1, 31, v0
	v_lshlrev_b64 v[0:1], 1, v[0:1]
	s_waitcnt lgkmcnt(0)
	v_mov_b32_e32 v2, s3
	v_add_co_u32_e64 v4, s[0:1], s2, v0
	v_addc_co_u32_e64 v5, s[0:1], v2, v1, s[0:1]
	global_load_dwordx4 v[0:3], v[4:5], off
	s_load_dwordx8 s[0:7], s[4:5], 0x18
	v_lshlrev_b32_e32 v9, 4, v8
	s_waitcnt lgkmcnt(0)
	v_mov_b32_e32 v7, s3
	v_mov_b32_e32 v10, s1
	v_mov_b32_e32 v11, s2
	v_mov_b32_e32 v12, s0
	v_cndmask_b32_e32 v7, v7, v10, vcc
	v_cndmask_b32_e32 v10, v11, v12, vcc
	v_add_co_u32_e32 v10, vcc, v10, v9
	v_addc_co_u32_e32 v11, vcc, 0, v7, vcc
	global_load_dwordx4 v[12:15], v[10:11], off
	v_mbcnt_lo_u32_b32 v7, -1, 0
	v_mbcnt_hi_u32_b32 v10, -1, v7
	v_and_b32_e32 v7, 0x60, v10
	v_xor_b32_e32 v16, 16, v10
	v_add_u32_e32 v7, 32, v7
	v_cmp_lt_i32_e32 vcc, v16, v7
	v_cndmask_b32_e32 v16, v10, v16, vcc
	v_lshlrev_b32_e32 v29, 2, v16
	v_xor_b32_e32 v26, 8, v10
	v_cmp_lt_i32_e32 vcc, v26, v7
	v_xor_b32_e32 v27, 4, v10
	v_xor_b32_e32 v28, 2, v10
	v_mov_b32_e32 v11, s11
	s_mov_b32 s0, 0x800000
	s_ashr_i32 s2, s13, 31
	s_lshr_b32 s1, s2, 29
	s_add_i32 s1, s13, s1
	s_ashr_i32 s1, s1, 3
	s_waitcnt vmcnt(1)
	v_cvt_f32_f16_sdwa v30, v0 dst_sel:DWORD dst_unused:UNUSED_PAD src0_sel:WORD_1
	v_cvt_f32_f16_e32 v16, v1
	v_cvt_f32_f16_sdwa v17, v1 dst_sel:DWORD dst_unused:UNUSED_PAD src0_sel:WORD_1
	v_cvt_f32_f16_e32 v18, v2
	v_cvt_f32_f16_sdwa v19, v2 dst_sel:DWORD dst_unused:UNUSED_PAD src0_sel:WORD_1
	v_mul_f32_e32 v1, v30, v30
	v_cvt_f32_f16_e32 v20, v3
	v_cvt_f32_f16_sdwa v21, v3 dst_sel:DWORD dst_unused:UNUSED_PAD src0_sel:WORD_1
	v_pk_mul_f32 v[2:3], v[16:17], v[16:17]
	v_fma_mix_f32 v1, v0, v0, v1 op_sel_hi:[1,1,0]
	v_add_f32_e32 v1, v1, v2
	v_pk_mul_f32 v[22:23], v[18:19], v[18:19]
	v_add_f32_e32 v1, v1, v3
	v_add_f32_e32 v1, v1, v22
	v_pk_mul_f32 v[24:25], v[20:21], v[20:21]
	v_add_f32_e32 v1, v1, v23
	v_add_f32_e32 v1, v1, v24
	;; [unrolled: 1-line block ×3, first 2 shown]
	ds_bpermute_b32 v2, v29, v1
	v_cndmask_b32_e32 v22, v10, v26, vcc
	v_lshlrev_b32_e32 v22, 2, v22
	v_cmp_lt_i32_e32 vcc, v27, v7
	v_xor_b32_e32 v3, 1, v10
	s_waitcnt lgkmcnt(0)
	v_add_f32_e32 v1, v1, v2
	ds_bpermute_b32 v2, v22, v1
	v_cndmask_b32_e32 v22, v10, v27, vcc
	v_lshlrev_b32_e32 v22, 2, v22
	v_cmp_lt_i32_e32 vcc, v28, v7
	v_cvt_f32_f16_e32 v0, v0
	s_waitcnt lgkmcnt(0)
	v_add_f32_e32 v1, v1, v2
	ds_bpermute_b32 v2, v22, v1
	v_cndmask_b32_e32 v22, v10, v28, vcc
	v_lshlrev_b32_e32 v22, 2, v22
	v_cmp_lt_i32_e32 vcc, v3, v7
	v_cndmask_b32_e32 v3, v10, v3, vcc
	s_waitcnt lgkmcnt(0)
	v_add_f32_e32 v1, v1, v2
	ds_bpermute_b32 v2, v22, v1
	v_lshlrev_b32_e32 v3, 2, v3
	s_waitcnt vmcnt(0)
	v_cvt_f32_f16_e32 v7, v12
	v_cvt_f32_f16_sdwa v12, v12 dst_sel:DWORD dst_unused:UNUSED_PAD src0_sel:WORD_1
	v_cvt_f32_f16_e32 v22, v14
	s_waitcnt lgkmcnt(0)
	v_add_f32_e32 v1, v1, v2
	ds_bpermute_b32 v2, v3, v1
	v_cvt_f32_f16_e32 v3, v13
	v_cvt_f32_f16_sdwa v13, v13 dst_sel:DWORD dst_unused:UNUSED_PAD src0_sel:WORD_1
	v_cvt_f32_f16_sdwa v14, v14 dst_sel:DWORD dst_unused:UNUSED_PAD src0_sel:WORD_1
	s_waitcnt lgkmcnt(0)
	v_add_f32_e32 v1, v1, v2
	v_fmac_f32_e32 v11, 0x3b800000, v1
	v_mul_f32_e32 v1, 0x4b800000, v11
	v_cmp_gt_f32_e32 vcc, s0, v11
	v_cndmask_b32_e32 v1, v11, v1, vcc
	v_rsq_f32_e32 v1, v1
	v_cvt_f32_f16_e32 v2, v15
	v_cvt_f32_f16_sdwa v11, v15 dst_sel:DWORD dst_unused:UNUSED_PAD src0_sel:WORD_1
	v_mul_f32_e32 v15, 0x45800000, v1
	v_cndmask_b32_e32 v1, v1, v15, vcc
	v_mul_f32_e32 v7, v1, v7
	v_mul_f32_e32 v15, v1, v12
	;; [unrolled: 1-line block ×16, first 2 shown]
	v_cmp_gt_i32_e32 vcc, s1, v8
	s_and_saveexec_b64 s[0:1], vcc
	s_cbranch_execz .LBB29_3
; %bb.2:
	v_ashrrev_i32_e32 v7, 31, v6
	v_lshlrev_b64 v[0:1], 3, v[6:7]
	v_mov_b32_e32 v6, s7
	v_add_co_u32_e32 v0, vcc, s6, v0
	v_addc_co_u32_e32 v1, vcc, v6, v1, vcc
	global_load_dwordx2 v[0:1], v[0:1], off
	s_abs_i32 s3, s13
	v_cvt_f32_u32_e32 v17, s3
	s_sub_i32 s8, 0, s3
	v_or_b32_e32 v7, 2, v9
	v_or_b32_e32 v18, 4, v9
	v_rcp_iflag_f32_e32 v17, v17
	v_mov_b32_e32 v6, s5
	s_lshr_b32 s5, s13, 31
	s_add_i32 s5, s13, s5
	v_mul_f32_e32 v17, 0x4f7ffffe, v17
	v_cvt_u32_f32_e32 v17, v17
	s_ashr_i32 s6, s5, 1
	s_ashr_i32 s7, s6, 31
	s_lshl_b64 s[6:7], s[6:7], 1
	v_mul_lo_u32 v20, s8, v17
	v_mul_hi_u32 v20, v17, v20
	v_add_u32_e32 v17, v17, v20
	v_mul_hi_u32 v20, v9, v17
	v_mul_hi_u32 v21, v7, v17
	v_mul_lo_u32 v20, v20, s3
	v_mul_hi_u32 v22, v18, v17
	v_mul_lo_u32 v21, v21, s3
	v_sub_u32_e32 v20, v9, v20
	v_mul_lo_u32 v22, v22, s3
	v_sub_u32_e32 v7, v7, v21
	v_subrev_u32_e32 v21, s3, v20
	v_cmp_le_u32_e32 vcc, s3, v20
	v_sub_u32_e32 v18, v18, v22
	v_subrev_u32_e32 v22, s3, v7
	v_cndmask_b32_e32 v20, v20, v21, vcc
	v_cmp_le_u32_e32 vcc, s3, v7
	v_subrev_u32_e32 v23, s3, v18
	v_cndmask_b32_e32 v7, v7, v22, vcc
	v_cmp_le_u32_e32 vcc, s3, v18
	v_cndmask_b32_e32 v18, v18, v23, vcc
	v_subrev_u32_e32 v21, s3, v20
	v_cmp_le_u32_e32 vcc, s3, v20
	v_subrev_u32_e32 v22, s3, v7
	v_cndmask_b32_e32 v20, v20, v21, vcc
	v_cmp_le_u32_e32 vcc, s3, v7
	v_subrev_u32_e32 v23, s3, v18
	v_cndmask_b32_e32 v7, v7, v22, vcc
	v_cmp_le_u32_e32 vcc, s3, v18
	v_cndmask_b32_e32 v18, v18, v23, vcc
	v_and_b32_e32 v21, -2, v7
	v_and_b32_e32 v24, -2, v18
	v_mov_b32_e32 v19, s7
	v_and_b32_e32 v20, -2, v20
	v_or_b32_e32 v26, 6, v9
	v_mul_hi_u32 v27, v26, v17
	v_mul_lo_u32 v27, v27, s3
	v_sub_u32_e32 v26, v26, v27
	v_subrev_u32_e32 v27, s3, v26
	; wave barrier
	s_waitcnt vmcnt(0)
	v_mul_lo_u32 v7, v1, s13
	v_mul_lo_u32 v18, v0, s2
	v_mad_u64_u32 v[0:1], s[8:9], v0, s13, 0
	v_add3_u32 v1, v1, v18, v7
	v_lshlrev_b64 v[0:1], 1, v[0:1]
	v_add_co_u32_e32 v30, vcc, s4, v0
	v_addc_co_u32_e32 v31, vcc, v6, v1, vcc
	v_add_co_u32_e32 v32, vcc, s6, v30
	v_addc_co_u32_e32 v33, vcc, v31, v19, vcc
	;; [unrolled: 2-line block ×8, first 2 shown]
	v_cmp_le_u32_e32 vcc, s3, v26
	v_cndmask_b32_e32 v26, v26, v27, vcc
	v_subrev_u32_e32 v27, s3, v26
	v_cmp_le_u32_e32 vcc, s3, v26
	v_cndmask_b32_e32 v26, v26, v27, vcc
	v_and_b32_e32 v28, -2, v26
	v_add_co_u32_e32 v26, vcc, v30, v28
	v_addc_co_u32_e32 v27, vcc, 0, v31, vcc
	v_add_co_u32_e32 v28, vcc, v32, v28
	v_addc_co_u32_e32 v29, vcc, 0, v33, vcc
	global_load_ushort v34, v[0:1], off
	global_load_ushort v35, v[18:19], off
	global_load_ushort v36, v[6:7], off
	global_load_ushort v37, v[20:21], off
	global_load_ushort v38, v[22:23], off
	global_load_ushort v39, v[24:25], off
	global_load_ushort v40, v[26:27], off
	global_load_ushort v41, v[28:29], off
	v_or_b32_e32 v0, 8, v9
	v_mul_hi_u32 v1, v0, v17
	v_mul_lo_u32 v1, v1, s3
	v_sub_u32_e32 v0, v0, v1
	v_subrev_u32_e32 v1, s3, v0
	v_cmp_le_u32_e32 vcc, s3, v0
	v_cndmask_b32_e32 v0, v0, v1, vcc
	v_subrev_u32_e32 v1, s3, v0
	v_cmp_le_u32_e32 vcc, s3, v0
	v_cndmask_b32_e32 v0, v0, v1, vcc
	v_and_b32_e32 v6, -2, v0
	v_add_co_u32_e32 v0, vcc, v30, v6
	v_or_b32_e32 v18, 10, v9
	v_addc_co_u32_e32 v1, vcc, 0, v31, vcc
	v_mul_hi_u32 v19, v18, v17
	v_add_co_u32_e32 v6, vcc, v32, v6
	v_mul_lo_u32 v19, v19, s3
	v_addc_co_u32_e32 v7, vcc, 0, v33, vcc
	v_sub_u32_e32 v18, v18, v19
	v_subrev_u32_e32 v19, s3, v18
	v_cmp_le_u32_e32 vcc, s3, v18
	v_cndmask_b32_e32 v18, v18, v19, vcc
	v_subrev_u32_e32 v19, s3, v18
	v_cmp_le_u32_e32 vcc, s3, v18
	v_cndmask_b32_e32 v18, v18, v19, vcc
	v_and_b32_e32 v20, -2, v18
	v_add_co_u32_e32 v18, vcc, v30, v20
	v_or_b32_e32 v22, 12, v9
	v_addc_co_u32_e32 v19, vcc, 0, v31, vcc
	v_mul_hi_u32 v23, v22, v17
	v_add_co_u32_e32 v20, vcc, v32, v20
	v_mul_lo_u32 v23, v23, s3
	v_addc_co_u32_e32 v21, vcc, 0, v33, vcc
	v_sub_u32_e32 v22, v22, v23
	v_subrev_u32_e32 v23, s3, v22
	v_cmp_le_u32_e32 vcc, s3, v22
	v_cndmask_b32_e32 v22, v22, v23, vcc
	v_subrev_u32_e32 v23, s3, v22
	v_cmp_le_u32_e32 vcc, s3, v22
	v_cndmask_b32_e32 v22, v22, v23, vcc
	v_and_b32_e32 v24, -2, v22
	v_add_co_u32_e32 v22, vcc, v30, v24
	v_addc_co_u32_e32 v23, vcc, 0, v31, vcc
	v_add_co_u32_e32 v24, vcc, v32, v24
	v_addc_co_u32_e32 v25, vcc, 0, v33, vcc
	global_load_ushort v26, v[0:1], off
	global_load_ushort v27, v[6:7], off
	;; [unrolled: 1-line block ×6, first 2 shown]
	v_or_b32_e32 v0, 14, v9
	v_mul_hi_u32 v1, v0, v17
	v_mul_lo_u32 v1, v1, s3
	v_sub_u32_e32 v0, v0, v1
	v_subrev_u32_e32 v1, s3, v0
	v_cmp_le_u32_e32 vcc, s3, v0
	v_cndmask_b32_e32 v0, v0, v1, vcc
	v_subrev_u32_e32 v1, s3, v0
	v_cmp_le_u32_e32 vcc, s3, v0
	v_cndmask_b32_e32 v0, v0, v1, vcc
	v_and_b32_e32 v6, -2, v0
	v_add_co_u32_e32 v0, vcc, v32, v6
	v_addc_co_u32_e32 v1, vcc, 0, v33, vcc
	global_load_ushort v7, v[0:1], off
	v_add_co_u32_e32 v0, vcc, v30, v6
	v_addc_co_u32_e32 v1, vcc, 0, v31, vcc
	global_load_ushort v0, v[0:1], off
	s_lshr_b32 s2, s2, 28
	s_add_i32 s2, s13, s2
	s_ashr_i32 s2, s2, 4
	v_and_b32_e32 v6, 64, v10
	v_xor_b32_e32 v1, s2, v10
	v_add_u32_e32 v6, 64, v6
	v_cmp_lt_i32_e32 vcc, v1, v6
	v_cndmask_b32_e32 v1, v10, v1, vcc
	v_lshlrev_b32_e32 v1, 2, v1
	ds_bpermute_b32 v6, v1, v12
	s_waitcnt vmcnt(14)
	v_cvt_f32_f16_e32 v9, v35
	ds_bpermute_b32 v10, v1, v2
	v_cmp_gt_i32_e32 vcc, s2, v8
	s_waitcnt vmcnt(12)
	v_cvt_f32_f16_e32 v8, v37
	s_waitcnt lgkmcnt(1)
	v_cndmask_b32_e64 v6, v6, -v6, vcc
	v_mul_f32_e32 v6, v6, v9
	ds_bpermute_b32 v9, v1, v13
	v_fma_mix_f32 v12, v12, v34, v6 op_sel_hi:[0,1,0]
	s_waitcnt lgkmcnt(1)
	v_cndmask_b32_e64 v6, v10, -v10, vcc
	v_mul_f32_e32 v6, v6, v8
	s_waitcnt vmcnt(10)
	v_cvt_f32_f16_e32 v8, v39
	v_fma_mix_f32 v2, v2, v36, v6 op_sel_hi:[0,1,0]
	ds_bpermute_b32 v6, v1, v3
	s_waitcnt lgkmcnt(1)
	v_cndmask_b32_e64 v9, v9, -v9, vcc
	v_mul_f32_e32 v8, v9, v8
	s_waitcnt vmcnt(8)
	v_cvt_f32_f16_e32 v9, v41
	v_fma_mix_f32 v13, v13, v38, v8 op_sel_hi:[0,1,0]
	ds_bpermute_b32 v8, v1, v14
	s_waitcnt lgkmcnt(1)
	v_cndmask_b32_e64 v6, v6, -v6, vcc
	v_mul_f32_e32 v6, v6, v9
	v_fma_mix_f32 v3, v3, v40, v6 op_sel_hi:[0,1,0]
	ds_bpermute_b32 v6, v1, v11
	s_waitcnt lgkmcnt(1)
	v_cndmask_b32_e64 v8, v8, -v8, vcc
	; wave barrier
	s_waitcnt lgkmcnt(0)
	v_cndmask_b32_e64 v6, v6, -v6, vcc
	s_waitcnt vmcnt(6)
	v_cvt_f32_f16_e32 v9, v27
	v_mul_f32_e32 v8, v8, v9
	s_waitcnt vmcnt(4)
	v_cvt_f32_f16_e32 v9, v29
	v_fma_mix_f32 v14, v14, v26, v8 op_sel_hi:[0,1,0]
	ds_bpermute_b32 v8, v1, v15
	ds_bpermute_b32 v1, v1, v16
	v_mul_f32_e32 v6, v6, v9
	v_fma_mix_f32 v11, v11, v28, v6 op_sel_hi:[0,1,0]
	s_waitcnt vmcnt(2)
	v_cvt_f32_f16_e32 v6, v43
	s_waitcnt lgkmcnt(1)
	v_cndmask_b32_e64 v8, v8, -v8, vcc
	s_waitcnt lgkmcnt(0)
	v_cndmask_b32_e64 v1, v1, -v1, vcc
	v_mul_f32_e32 v6, v8, v6
	v_fma_mix_f32 v15, v15, v42, v6 op_sel_hi:[0,1,0]
	s_waitcnt vmcnt(1)
	v_cvt_f32_f16_e32 v7, v7
	v_mul_f32_e32 v1, v1, v7
	s_waitcnt vmcnt(0)
	v_fma_mix_f32 v16, v16, v0, v1 op_sel_hi:[0,1,0]
.LBB29_3:
	s_or_b64 exec, exec, s[0:1]
	v_cvt_f16_f32_e32 v0, v12
	v_cvt_f16_f32_e32 v1, v13
	;; [unrolled: 1-line block ×8, first 2 shown]
	v_pack_b32_f16 v3, v7, v8
	v_pack_b32_f16 v2, v6, v9
	;; [unrolled: 1-line block ×4, first 2 shown]
	global_store_dwordx4 v[4:5], v[0:3], off
.LBB29_4:
	s_endpgm
	.section	.rodata,"a",@progbits
	.p2align	6, 0x0
	.amdhsa_kernel _ZN12tensorrt_llm7kernels21fusedQKNormRopeKernelIN3c104HalfES3_Li256ELb0EEEvPviiifPKvS6_S6_PKlii
		.amdhsa_group_segment_fixed_size 0
		.amdhsa_private_segment_fixed_size 0
		.amdhsa_kernarg_size 320
		.amdhsa_user_sgpr_count 6
		.amdhsa_user_sgpr_private_segment_buffer 1
		.amdhsa_user_sgpr_dispatch_ptr 0
		.amdhsa_user_sgpr_queue_ptr 0
		.amdhsa_user_sgpr_kernarg_segment_ptr 1
		.amdhsa_user_sgpr_dispatch_id 0
		.amdhsa_user_sgpr_flat_scratch_init 0
		.amdhsa_user_sgpr_kernarg_preload_length 0
		.amdhsa_user_sgpr_kernarg_preload_offset 0
		.amdhsa_user_sgpr_private_segment_size 0
		.amdhsa_uses_dynamic_stack 0
		.amdhsa_system_sgpr_private_segment_wavefront_offset 0
		.amdhsa_system_sgpr_workgroup_id_x 1
		.amdhsa_system_sgpr_workgroup_id_y 0
		.amdhsa_system_sgpr_workgroup_id_z 0
		.amdhsa_system_sgpr_workgroup_info 0
		.amdhsa_system_vgpr_workitem_id 0
		.amdhsa_next_free_vgpr 44
		.amdhsa_next_free_sgpr 14
		.amdhsa_accum_offset 44
		.amdhsa_reserve_vcc 1
		.amdhsa_reserve_flat_scratch 0
		.amdhsa_float_round_mode_32 0
		.amdhsa_float_round_mode_16_64 0
		.amdhsa_float_denorm_mode_32 3
		.amdhsa_float_denorm_mode_16_64 3
		.amdhsa_dx10_clamp 1
		.amdhsa_ieee_mode 1
		.amdhsa_fp16_overflow 0
		.amdhsa_tg_split 0
		.amdhsa_exception_fp_ieee_invalid_op 0
		.amdhsa_exception_fp_denorm_src 0
		.amdhsa_exception_fp_ieee_div_zero 0
		.amdhsa_exception_fp_ieee_overflow 0
		.amdhsa_exception_fp_ieee_underflow 0
		.amdhsa_exception_fp_ieee_inexact 0
		.amdhsa_exception_int_div_zero 0
	.end_amdhsa_kernel
	.section	.text._ZN12tensorrt_llm7kernels21fusedQKNormRopeKernelIN3c104HalfES3_Li256ELb0EEEvPviiifPKvS6_S6_PKlii,"axG",@progbits,_ZN12tensorrt_llm7kernels21fusedQKNormRopeKernelIN3c104HalfES3_Li256ELb0EEEvPviiifPKvS6_S6_PKlii,comdat
.Lfunc_end29:
	.size	_ZN12tensorrt_llm7kernels21fusedQKNormRopeKernelIN3c104HalfES3_Li256ELb0EEEvPviiifPKvS6_S6_PKlii, .Lfunc_end29-_ZN12tensorrt_llm7kernels21fusedQKNormRopeKernelIN3c104HalfES3_Li256ELb0EEEvPviiifPKvS6_S6_PKlii
                                        ; -- End function
	.section	.AMDGPU.csdata,"",@progbits
; Kernel info:
; codeLenInByte = 2140
; NumSgprs: 18
; NumVgprs: 44
; NumAgprs: 0
; TotalNumVgprs: 44
; ScratchSize: 0
; MemoryBound: 0
; FloatMode: 240
; IeeeMode: 1
; LDSByteSize: 0 bytes/workgroup (compile time only)
; SGPRBlocks: 2
; VGPRBlocks: 5
; NumSGPRsForWavesPerEU: 18
; NumVGPRsForWavesPerEU: 44
; AccumOffset: 44
; Occupancy: 8
; WaveLimiterHint : 1
; COMPUTE_PGM_RSRC2:SCRATCH_EN: 0
; COMPUTE_PGM_RSRC2:USER_SGPR: 6
; COMPUTE_PGM_RSRC2:TRAP_HANDLER: 0
; COMPUTE_PGM_RSRC2:TGID_X_EN: 1
; COMPUTE_PGM_RSRC2:TGID_Y_EN: 0
; COMPUTE_PGM_RSRC2:TGID_Z_EN: 0
; COMPUTE_PGM_RSRC2:TIDIG_COMP_CNT: 0
; COMPUTE_PGM_RSRC3_GFX90A:ACCUM_OFFSET: 10
; COMPUTE_PGM_RSRC3_GFX90A:TG_SPLIT: 0
	.section	.text._ZN12tensorrt_llm7kernels32fusedQKNormRopeKernelNTokenHeadsIN3c104HalfES3_Li64ELb1ELi2EEEvPviiifPKvS6_S6_PKlii,"axG",@progbits,_ZN12tensorrt_llm7kernels32fusedQKNormRopeKernelNTokenHeadsIN3c104HalfES3_Li64ELb1ELi2EEEvPviiifPKvS6_S6_PKlii,comdat
	.protected	_ZN12tensorrt_llm7kernels32fusedQKNormRopeKernelNTokenHeadsIN3c104HalfES3_Li64ELb1ELi2EEEvPviiifPKvS6_S6_PKlii ; -- Begin function _ZN12tensorrt_llm7kernels32fusedQKNormRopeKernelNTokenHeadsIN3c104HalfES3_Li64ELb1ELi2EEEvPviiifPKvS6_S6_PKlii
	.globl	_ZN12tensorrt_llm7kernels32fusedQKNormRopeKernelNTokenHeadsIN3c104HalfES3_Li64ELb1ELi2EEEvPviiifPKvS6_S6_PKlii
	.p2align	8
	.type	_ZN12tensorrt_llm7kernels32fusedQKNormRopeKernelNTokenHeadsIN3c104HalfES3_Li64ELb1ELi2EEEvPviiifPKvS6_S6_PKlii,@function
_ZN12tensorrt_llm7kernels32fusedQKNormRopeKernelNTokenHeadsIN3c104HalfES3_Li64ELb1ELi2EEEvPviiifPKvS6_S6_PKlii: ; @_ZN12tensorrt_llm7kernels32fusedQKNormRopeKernelNTokenHeadsIN3c104HalfES3_Li64ELb1ELi2EEEvPviiifPKvS6_S6_PKlii
; %bb.0:
	s_load_dwordx4 s[12:15], s[4:5], 0x8
	s_load_dwordx2 s[2:3], s[4:5], 0x38
	s_load_dword s0, s[4:5], 0x4c
	v_lshrrev_b32_e32 v13, 5, v0
	s_waitcnt lgkmcnt(0)
	s_add_i32 s21, s13, s12
	s_add_i32 s1, s21, 1
	s_lshr_b32 s7, s1, 31
	s_add_i32 s1, s1, s7
	s_ashr_i32 s20, s1, 1
	s_abs_i32 s1, s20
	v_cvt_f32_u32_e32 v1, s1
	s_bfe_u32 s0, s0, 0xb0005
	s_mul_i32 s6, s6, s0
	v_add_u32_e32 v9, s6, v13
	v_rcp_iflag_f32_e32 v1, v1
	s_sub_i32 s6, 0, s1
	v_sub_u32_e32 v2, 0, v9
	v_max_i32_e32 v2, v9, v2
	v_mul_f32_e32 v1, 0x4f7ffffe, v1
	v_cvt_u32_f32_e32 v1, v1
	v_xor_b32_e32 v3, s20, v9
	v_ashrrev_i32_e32 v3, 31, v3
	v_mul_lo_u32 v4, s6, v1
	v_mul_hi_u32 v4, v1, v4
	v_add_u32_e32 v1, v1, v4
	v_mul_hi_u32 v1, v2, v1
	v_mul_lo_u32 v4, v1, s1
	v_sub_u32_e32 v2, v2, v4
	v_add_u32_e32 v4, 1, v1
	v_cmp_le_u32_e32 vcc, s1, v2
	v_cndmask_b32_e32 v1, v1, v4, vcc
	v_subrev_u32_e32 v4, s1, v2
	v_cndmask_b32_e32 v2, v2, v4, vcc
	v_add_u32_e32 v4, 1, v1
	v_cmp_le_u32_e32 vcc, s1, v2
	v_cndmask_b32_e32 v1, v1, v4, vcc
	v_xor_b32_e32 v1, v1, v3
	v_sub_u32_e32 v2, v1, v3
	v_cmp_gt_i32_e32 vcc, s2, v2
	s_and_saveexec_b64 s[6:7], vcc
	s_cbranch_execz .LBB30_17
; %bb.1:
	v_and_b32_e32 v10, 31, v0
	v_mul_lo_u32 v0, v2, s20
	v_sub_u32_e32 v0, v9, v0
	s_load_dwordx2 s[16:17], s[4:5], 0x0
	v_lshlrev_b32_e32 v0, 1, v0
	v_add_u32_e32 v1, 2, v0
	v_sub_u32_e32 v3, s21, v0
	v_cmp_lt_i32_e32 vcc, s21, v1
	v_cndmask_b32_e32 v8, 2, v3, vcc
	s_lshl_b32 s18, s3, 1
	s_mul_i32 s2, s18, s0
	v_lshlrev_b32_e32 v12, 8, v13
	v_cmp_lt_i32_e64 s[0:1], 0, v8
	v_lshlrev_b32_e32 v4, 1, v10
	v_lshlrev_b32_e32 v11, 2, v10
	s_and_saveexec_b64 s[6:7], s[0:1]
	s_cbranch_execz .LBB30_9
; %bb.2:
	s_mov_b32 s19, 1
	v_cmp_ne_u32_e32 vcc, 1, v8
	s_mov_b64 s[10:11], -1
	v_mov_b32_e32 v1, 0
	s_and_saveexec_b64 s[8:9], vcc
	s_cbranch_execz .LBB30_6
; %bb.3:
	s_add_i32 s21, s21, s14
	s_add_i32 s10, s2, 0
	v_mul_lo_u32 v6, v2, s21
	s_mov_b32 s22, 0
	v_add3_u32 v7, s10, v12, v11
	v_mov_b32_e32 v1, v0
	s_mov_b32 s21, s12
	s_mov_b32 s23, s12
	v_mov_b32_e32 v3, v6
	v_mov_b32_e32 v5, v4
	v_and_b32_e32 v14, 0x7ffffffe, v8
	s_mov_b64 s[10:11], 0
	v_mov_b32_e32 v15, s12
	v_mov_b32_e32 v16, s12
	s_waitcnt lgkmcnt(0)
	v_mov_b32_e32 v17, s17
.LBB30_4:                               ; =>This Inner Loop Header: Depth=1
	v_add_u32_e32 v19, s19, v1
	v_add_u32_e32 v18, s22, v0
	v_cmp_le_i32_e32 vcc, s23, v19
	v_cndmask_b32_e32 v20, 0, v15, vcc
	v_cmp_le_i32_e32 vcc, s21, v18
	v_cndmask_b32_e32 v21, 0, v16, vcc
	v_sub_u32_e32 v18, v18, v21
	v_sub_u32_e32 v19, v19, v20
	v_add3_u32 v18, v6, v21, v18
	v_add3_u32 v19, v3, v20, v19
	v_lshl_or_b32 v18, v18, 6, v4
	v_lshl_or_b32 v20, v19, 6, v5
	v_ashrrev_i32_e32 v19, 31, v18
	v_lshlrev_b64 v[18:19], 1, v[18:19]
	v_ashrrev_i32_e32 v21, 31, v20
	v_add_co_u32_e32 v18, vcc, s16, v18
	v_lshlrev_b64 v[20:21], 1, v[20:21]
	v_addc_co_u32_e32 v19, vcc, v17, v19, vcc
	v_add_co_u32_e32 v20, vcc, s16, v20
	v_addc_co_u32_e32 v21, vcc, v17, v21, vcc
	global_load_dword v22, v[18:19], off
	global_load_dword v23, v[20:21], off
	v_add_u32_e32 v14, -2, v14
	v_lshl_add_u32 v18, s22, 7, v7
	v_lshl_add_u32 v19, s19, 7, v7
	s_add_i32 s22, s22, 2
	s_add_i32 s19, s19, 2
	v_cmp_eq_u32_e32 vcc, 0, v14
	s_or_b64 s[10:11], vcc, s[10:11]
	s_waitcnt vmcnt(1)
	ds_write_b32 v18, v22
	s_waitcnt vmcnt(0)
	ds_write_b32 v19, v23
	s_andn2_b64 exec, exec, s[10:11]
	s_cbranch_execnz .LBB30_4
; %bb.5:
	s_or_b64 exec, exec, s[10:11]
	v_and_b32_e32 v1, 0x7ffffffe, v8
	v_cmp_ne_u32_e32 vcc, v8, v1
	s_orn2_b64 s[10:11], vcc, exec
.LBB30_6:
	s_or_b64 exec, exec, s[8:9]
	s_and_b64 exec, exec, s[10:11]
	s_cbranch_execz .LBB30_9
; %bb.7:
	s_add_i32 s8, s14, s13
	s_add_i32 s8, s8, s12
	s_lshl_b32 s9, s20, 1
	s_sub_i32 s8, s8, s9
	v_mul_lo_u32 v3, s8, v2
	v_lshlrev_b32_e32 v5, 1, v9
	v_add3_u32 v3, v1, v3, v5
	v_lshl_or_b32 v6, v3, 6, v4
	v_lshlrev_b32_e32 v3, 7, v1
	v_add3_u32 v3, s2, v12, v3
	v_add3_u32 v3, v3, v11, 0
	s_mov_b64 s[8:9], 0
	s_waitcnt lgkmcnt(0)
	v_mov_b32_e32 v5, s17
.LBB30_8:                               ; =>This Inner Loop Header: Depth=1
	v_ashrrev_i32_e32 v7, 31, v6
	v_lshlrev_b64 v[14:15], 1, v[6:7]
	v_add_co_u32_e32 v14, vcc, s16, v14
	v_addc_co_u32_e32 v15, vcc, v5, v15, vcc
	global_load_dword v7, v[14:15], off
	v_add_u32_e32 v1, 1, v1
	v_cmp_ge_i32_e32 vcc, v1, v8
	v_add_u32_e32 v6, 64, v6
	s_or_b64 s[8:9], vcc, s[8:9]
	s_waitcnt vmcnt(0)
	ds_write_b32 v3, v7
	v_add_u32_e32 v3, 0x80, v3
	s_andn2_b64 exec, exec, s[8:9]
	s_cbranch_execnz .LBB30_8
.LBB30_9:
	s_or_b64 exec, exec, s[6:7]
	s_add_i32 s18, s18, 15
	s_load_dwordx8 s[4:11], s[4:5], 0x18
	s_ashr_i32 s19, s18, 31
	s_lshr_b32 s19, s19, 28
	s_add_i32 s18, s18, s19
	s_ashr_i32 s21, s18, 4
	v_mul_lo_u32 v1, v13, s3
	v_cmp_gt_i32_e32 vcc, s21, v10
	v_lshlrev_b32_e32 v5, 1, v1
	s_and_saveexec_b64 s[18:19], vcc
	s_cbranch_execz .LBB30_12
; %bb.10:
	v_ashrrev_i32_e32 v3, 31, v2
	v_lshlrev_b64 v[6:7], 3, v[2:3]
	s_waitcnt lgkmcnt(0)
	v_mov_b32_e32 v1, s11
	v_add_co_u32_e32 v6, vcc, s10, v6
	v_addc_co_u32_e32 v7, vcc, v1, v7, vcc
	global_load_dwordx2 v[6:7], v[6:7], off
	s_ashr_i32 s22, s3, 31
	v_lshlrev_b32_e32 v3, 4, v10
	v_add3_u32 v1, v5, v3, 0
	v_mov_b32_e32 v13, s9
	s_mov_b64 s[10:11], 0
	s_waitcnt vmcnt(0)
	v_mul_lo_u32 v14, v7, s3
	v_mul_lo_u32 v15, v6, s22
	v_mad_u64_u32 v[6:7], s[22:23], v6, s3, 0
	v_add3_u32 v7, v7, v15, v14
	v_lshlrev_b64 v[6:7], 1, v[6:7]
	v_add_co_u32_e32 v3, vcc, v6, v3
	v_addc_co_u32_e32 v7, vcc, 0, v7, vcc
	v_add_co_u32_e32 v6, vcc, s8, v3
	v_addc_co_u32_e32 v7, vcc, v13, v7, vcc
	v_mov_b32_e32 v3, v10
.LBB30_11:                              ; =>This Inner Loop Header: Depth=1
	global_load_dwordx4 v[14:17], v[6:7], off
	v_add_co_u32_e32 v6, vcc, 0x200, v6
	v_add_u32_e32 v3, 32, v3
	v_addc_co_u32_e32 v7, vcc, 0, v7, vcc
	v_cmp_le_i32_e32 vcc, s21, v3
	s_or_b64 s[10:11], vcc, s[10:11]
	s_waitcnt vmcnt(0)
	ds_write_b128 v1, v[14:17]
	v_add_u32_e32 v1, 0x200, v1
	s_andn2_b64 exec, exec, s[10:11]
	s_cbranch_execnz .LBB30_11
.LBB30_12:
	s_or_b64 exec, exec, s[18:19]
	s_and_b64 exec, exec, s[0:1]
	s_cbranch_execz .LBB30_17
; %bb.13:
	s_waitcnt lgkmcnt(0)
	global_load_dword v1, v11, s[4:5]
	global_load_dword v6, v11, s[6:7]
	v_mbcnt_lo_u32_b32 v3, -1, 0
	s_lshr_b32 s0, s3, 31
	s_add_i32 s1, s14, s13
	v_add_u32_e32 v12, s2, v12
	v_mbcnt_hi_u32_b32 v3, -1, v3
	s_lshl_b32 s8, s20, 1
	s_add_i32 s0, s3, s0
	s_add_i32 s1, s1, s12
	v_add3_u32 v11, v12, v11, 0
	v_and_b32_e32 v12, 0x60, v3
	v_add3_u32 v7, 0, v5, v4
	s_ashr_i32 s2, s0, 1
	s_and_b32 s0, s0, -2
	v_xor_b32_e32 v13, 16, v3
	s_sub_i32 s1, s1, s8
	v_add_u32_e32 v12, 32, v12
	v_xor_b32_e32 v14, 8, v3
	v_cmp_gt_i32_e32 vcc, s2, v10
	v_add_u32_e32 v10, s0, v7
	v_mul_lo_u32 v2, s1, v2
	v_cmp_lt_i32_e64 s[0:1], v13, v12
	v_xor_b32_e32 v15, 4, v3
	v_cndmask_b32_e64 v13, v3, v13, s[0:1]
	v_cmp_lt_i32_e64 s[0:1], v14, v12
	v_xor_b32_e32 v16, 2, v3
	v_cndmask_b32_e64 v14, v3, v14, s[0:1]
	;; [unrolled: 3-line block ×3, first 2 shown]
	v_cmp_lt_i32_e64 s[0:1], v16, v12
	v_lshlrev_b32_e32 v5, 7, v9
	v_cndmask_b32_e64 v16, v3, v16, s[0:1]
	v_cmp_lt_i32_e64 s[0:1], v17, v12
	v_cndmask_b32_e64 v3, v3, v17, s[0:1]
	v_lshl_add_u32 v2, v2, 6, v5
	s_mov_b32 s6, 0
	s_mov_b64 s[4:5], 0
	v_mov_b32_e32 v9, s15
	s_mov_b32 s7, 0x800000
	v_lshlrev_b32_e32 v12, 2, v13
	v_lshlrev_b32_e32 v13, 2, v14
	;; [unrolled: 1-line block ×5, first 2 shown]
	v_or_b32_e32 v2, v2, v4
	v_mov_b32_e32 v19, s17
	s_waitcnt vmcnt(1)
	v_lshrrev_b32_e32 v17, 16, v1
	s_waitcnt vmcnt(0)
	v_lshrrev_b32_e32 v18, 16, v6
	s_branch .LBB30_15
.LBB30_14:                              ;   in Loop: Header=BB30_15 Depth=1
	s_or_b64 exec, exec, s[0:1]
	v_ashrrev_i32_e32 v3, 31, v2
	v_cvt_f16_f32_e32 v20, v4
	v_cvt_f16_f32_e32 v21, v5
	v_lshlrev_b64 v[4:5], 1, v[2:3]
	v_add_co_u32_e64 v4, s[0:1], s16, v4
	v_addc_co_u32_e64 v5, s[0:1], v19, v5, s[0:1]
	s_add_i32 s6, s6, 1
	v_cmp_ge_i32_e64 s[0:1], s6, v8
	v_pack_b32_f16 v3, v20, v21
	v_add_u32_e32 v2, 64, v2
	s_or_b64 s[4:5], s[0:1], s[4:5]
	v_add_u32_e32 v11, 0x80, v11
	global_store_dword v[4:5], v3, off
	s_andn2_b64 exec, exec, s[4:5]
	s_cbranch_execz .LBB30_17
.LBB30_15:                              ; =>This Inner Loop Header: Depth=1
	ds_read_b32 v3, v11
	v_mov_b32_e32 v22, v9
	s_waitcnt lgkmcnt(0)
	v_cvt_f32_f16_sdwa v5, v3 dst_sel:DWORD dst_unused:UNUSED_PAD src0_sel:WORD_1
	v_cvt_f32_f16_e32 v4, v3
	v_pk_mul_f32 v[20:21], v[4:5], v[4:5]
	v_add_f32_e32 v3, v21, v20
	ds_bpermute_b32 v20, v12, v3
	v_add_u32_e32 v21, s6, v0
	v_cmp_gt_i32_e64 s[0:1], s12, v21
	v_cndmask_b32_e64 v21, v18, v17, s[0:1]
	v_cvt_f32_f16_e32 v21, v21
	s_waitcnt lgkmcnt(0)
	v_add_f32_e32 v3, v3, v20
	ds_bpermute_b32 v20, v13, v3
	s_waitcnt lgkmcnt(0)
	v_add_f32_e32 v3, v3, v20
	ds_bpermute_b32 v20, v14, v3
	;; [unrolled: 3-line block ×4, first 2 shown]
	s_waitcnt lgkmcnt(0)
	v_add_f32_e32 v3, v3, v20
	v_fmac_f32_e32 v22, 0x3c800000, v3
	v_mul_f32_e32 v3, 0x4b800000, v22
	v_cmp_gt_f32_e64 s[2:3], s7, v22
	v_cndmask_b32_e64 v3, v22, v3, s[2:3]
	v_rsq_f32_e32 v3, v3
	v_cndmask_b32_e64 v20, v6, v1, s[0:1]
	v_cvt_f32_f16_e32 v20, v20
	v_mul_f32_e32 v22, 0x45800000, v3
	v_cndmask_b32_e64 v22, v3, v22, s[2:3]
	v_pk_mul_f32 v[20:21], v[22:23], v[20:21] op_sel_hi:[0,1]
	v_pk_mul_f32 v[4:5], v[20:21], v[4:5]
	s_and_saveexec_b64 s[0:1], vcc
	s_cbranch_execz .LBB30_14
; %bb.16:                               ;   in Loop: Header=BB30_15 Depth=1
	ds_read_u16 v3, v7
	ds_read_u16 v24, v10
	s_waitcnt lgkmcnt(1)
	v_cvt_f32_f16_e32 v21, v3
	s_waitcnt lgkmcnt(0)
	v_cvt_f32_f16_e32 v20, v24
	v_pk_mul_f32 v[22:23], v[4:5], v[20:21]
	v_mov_b32_e32 v3, v22
	v_mul_f32_e32 v23, v4, v21
	v_pk_fma_f32 v[20:21], v[4:5], v[20:21], v[2:3]
	v_fma_mix_f32 v4, -v5, v24, v23 op_sel_hi:[0,1,0]
	v_mov_b32_e32 v5, v21
	s_branch .LBB30_14
.LBB30_17:
	s_endpgm
	.section	.rodata,"a",@progbits
	.p2align	6, 0x0
	.amdhsa_kernel _ZN12tensorrt_llm7kernels32fusedQKNormRopeKernelNTokenHeadsIN3c104HalfES3_Li64ELb1ELi2EEEvPviiifPKvS6_S6_PKlii
		.amdhsa_group_segment_fixed_size 0
		.amdhsa_private_segment_fixed_size 0
		.amdhsa_kernarg_size 320
		.amdhsa_user_sgpr_count 6
		.amdhsa_user_sgpr_private_segment_buffer 1
		.amdhsa_user_sgpr_dispatch_ptr 0
		.amdhsa_user_sgpr_queue_ptr 0
		.amdhsa_user_sgpr_kernarg_segment_ptr 1
		.amdhsa_user_sgpr_dispatch_id 0
		.amdhsa_user_sgpr_flat_scratch_init 0
		.amdhsa_user_sgpr_kernarg_preload_length 0
		.amdhsa_user_sgpr_kernarg_preload_offset 0
		.amdhsa_user_sgpr_private_segment_size 0
		.amdhsa_uses_dynamic_stack 0
		.amdhsa_system_sgpr_private_segment_wavefront_offset 0
		.amdhsa_system_sgpr_workgroup_id_x 1
		.amdhsa_system_sgpr_workgroup_id_y 0
		.amdhsa_system_sgpr_workgroup_id_z 0
		.amdhsa_system_sgpr_workgroup_info 0
		.amdhsa_system_vgpr_workitem_id 0
		.amdhsa_next_free_vgpr 25
		.amdhsa_next_free_sgpr 24
		.amdhsa_accum_offset 28
		.amdhsa_reserve_vcc 1
		.amdhsa_reserve_flat_scratch 0
		.amdhsa_float_round_mode_32 0
		.amdhsa_float_round_mode_16_64 0
		.amdhsa_float_denorm_mode_32 3
		.amdhsa_float_denorm_mode_16_64 3
		.amdhsa_dx10_clamp 1
		.amdhsa_ieee_mode 1
		.amdhsa_fp16_overflow 0
		.amdhsa_tg_split 0
		.amdhsa_exception_fp_ieee_invalid_op 0
		.amdhsa_exception_fp_denorm_src 0
		.amdhsa_exception_fp_ieee_div_zero 0
		.amdhsa_exception_fp_ieee_overflow 0
		.amdhsa_exception_fp_ieee_underflow 0
		.amdhsa_exception_fp_ieee_inexact 0
		.amdhsa_exception_int_div_zero 0
	.end_amdhsa_kernel
	.section	.text._ZN12tensorrt_llm7kernels32fusedQKNormRopeKernelNTokenHeadsIN3c104HalfES3_Li64ELb1ELi2EEEvPviiifPKvS6_S6_PKlii,"axG",@progbits,_ZN12tensorrt_llm7kernels32fusedQKNormRopeKernelNTokenHeadsIN3c104HalfES3_Li64ELb1ELi2EEEvPviiifPKvS6_S6_PKlii,comdat
.Lfunc_end30:
	.size	_ZN12tensorrt_llm7kernels32fusedQKNormRopeKernelNTokenHeadsIN3c104HalfES3_Li64ELb1ELi2EEEvPviiifPKvS6_S6_PKlii, .Lfunc_end30-_ZN12tensorrt_llm7kernels32fusedQKNormRopeKernelNTokenHeadsIN3c104HalfES3_Li64ELb1ELi2EEEvPviiifPKvS6_S6_PKlii
                                        ; -- End function
	.section	.AMDGPU.csdata,"",@progbits
; Kernel info:
; codeLenInByte = 1700
; NumSgprs: 28
; NumVgprs: 25
; NumAgprs: 0
; TotalNumVgprs: 25
; ScratchSize: 0
; MemoryBound: 0
; FloatMode: 240
; IeeeMode: 1
; LDSByteSize: 0 bytes/workgroup (compile time only)
; SGPRBlocks: 3
; VGPRBlocks: 3
; NumSGPRsForWavesPerEU: 28
; NumVGPRsForWavesPerEU: 25
; AccumOffset: 28
; Occupancy: 8
; WaveLimiterHint : 0
; COMPUTE_PGM_RSRC2:SCRATCH_EN: 0
; COMPUTE_PGM_RSRC2:USER_SGPR: 6
; COMPUTE_PGM_RSRC2:TRAP_HANDLER: 0
; COMPUTE_PGM_RSRC2:TGID_X_EN: 1
; COMPUTE_PGM_RSRC2:TGID_Y_EN: 0
; COMPUTE_PGM_RSRC2:TGID_Z_EN: 0
; COMPUTE_PGM_RSRC2:TIDIG_COMP_CNT: 0
; COMPUTE_PGM_RSRC3_GFX90A:ACCUM_OFFSET: 6
; COMPUTE_PGM_RSRC3_GFX90A:TG_SPLIT: 0
	.section	.text._ZN12tensorrt_llm7kernels32fusedQKNormRopeKernelNTokenHeadsIN3c104HalfES3_Li64ELb0ELi2EEEvPviiifPKvS6_S6_PKlii,"axG",@progbits,_ZN12tensorrt_llm7kernels32fusedQKNormRopeKernelNTokenHeadsIN3c104HalfES3_Li64ELb0ELi2EEEvPviiifPKvS6_S6_PKlii,comdat
	.protected	_ZN12tensorrt_llm7kernels32fusedQKNormRopeKernelNTokenHeadsIN3c104HalfES3_Li64ELb0ELi2EEEvPviiifPKvS6_S6_PKlii ; -- Begin function _ZN12tensorrt_llm7kernels32fusedQKNormRopeKernelNTokenHeadsIN3c104HalfES3_Li64ELb0ELi2EEEvPviiifPKvS6_S6_PKlii
	.globl	_ZN12tensorrt_llm7kernels32fusedQKNormRopeKernelNTokenHeadsIN3c104HalfES3_Li64ELb0ELi2EEEvPviiifPKvS6_S6_PKlii
	.p2align	8
	.type	_ZN12tensorrt_llm7kernels32fusedQKNormRopeKernelNTokenHeadsIN3c104HalfES3_Li64ELb0ELi2EEEvPviiifPKvS6_S6_PKlii,@function
_ZN12tensorrt_llm7kernels32fusedQKNormRopeKernelNTokenHeadsIN3c104HalfES3_Li64ELb0ELi2EEEvPviiifPKvS6_S6_PKlii: ; @_ZN12tensorrt_llm7kernels32fusedQKNormRopeKernelNTokenHeadsIN3c104HalfES3_Li64ELb0ELi2EEEvPviiifPKvS6_S6_PKlii
; %bb.0:
	s_load_dwordx4 s[12:15], s[4:5], 0x8
	s_load_dwordx2 s[2:3], s[4:5], 0x38
	s_load_dword s0, s[4:5], 0x4c
	v_lshrrev_b32_e32 v12, 5, v0
	s_waitcnt lgkmcnt(0)
	s_add_i32 s19, s13, s12
	s_add_i32 s1, s19, 1
	s_lshr_b32 s7, s1, 31
	s_add_i32 s1, s1, s7
	s_ashr_i32 s21, s1, 1
	s_abs_i32 s1, s21
	v_cvt_f32_u32_e32 v1, s1
	s_bfe_u32 s0, s0, 0xb0005
	s_mul_i32 s6, s6, s0
	v_add_u32_e32 v8, s6, v12
	v_rcp_iflag_f32_e32 v1, v1
	s_sub_i32 s6, 0, s1
	v_sub_u32_e32 v2, 0, v8
	v_max_i32_e32 v2, v8, v2
	v_mul_f32_e32 v1, 0x4f7ffffe, v1
	v_cvt_u32_f32_e32 v1, v1
	v_xor_b32_e32 v3, s21, v8
	v_ashrrev_i32_e32 v3, 31, v3
	v_mul_lo_u32 v4, s6, v1
	v_mul_hi_u32 v4, v1, v4
	v_add_u32_e32 v1, v1, v4
	v_mul_hi_u32 v1, v2, v1
	v_mul_lo_u32 v4, v1, s1
	v_sub_u32_e32 v2, v2, v4
	v_add_u32_e32 v4, 1, v1
	v_cmp_le_u32_e32 vcc, s1, v2
	v_cndmask_b32_e32 v1, v1, v4, vcc
	v_subrev_u32_e32 v4, s1, v2
	v_cndmask_b32_e32 v2, v2, v4, vcc
	v_add_u32_e32 v4, 1, v1
	v_cmp_le_u32_e32 vcc, s1, v2
	v_cndmask_b32_e32 v1, v1, v4, vcc
	v_xor_b32_e32 v1, v1, v3
	v_sub_u32_e32 v2, v1, v3
	v_cmp_gt_i32_e32 vcc, s2, v2
	s_and_saveexec_b64 s[6:7], vcc
	s_cbranch_execz .LBB31_17
; %bb.1:
	v_and_b32_e32 v9, 31, v0
	v_mul_lo_u32 v0, v2, s21
	v_sub_u32_e32 v0, v8, v0
	s_load_dwordx2 s[16:17], s[4:5], 0x0
	v_lshlrev_b32_e32 v0, 1, v0
	v_add_u32_e32 v1, 2, v0
	v_sub_u32_e32 v3, s19, v0
	v_cmp_lt_i32_e32 vcc, s19, v1
	v_cndmask_b32_e32 v7, 2, v3, vcc
	s_lshl_b32 s2, s3, 1
	s_mul_i32 s20, s2, s0
	v_lshlrev_b32_e32 v10, 8, v12
	v_cmp_lt_i32_e64 s[0:1], 0, v7
	v_lshlrev_b32_e32 v11, 2, v9
	s_and_saveexec_b64 s[6:7], s[0:1]
	s_cbranch_execz .LBB31_9
; %bb.2:
	s_mov_b32 s18, 1
	v_lshlrev_b32_e32 v4, 1, v9
	v_cmp_ne_u32_e32 vcc, 1, v7
	s_mov_b64 s[10:11], -1
	v_mov_b32_e32 v1, 0
	s_and_saveexec_b64 s[8:9], vcc
	s_cbranch_execz .LBB31_6
; %bb.3:
	s_add_i32 s19, s19, s14
	s_add_i32 s10, s20, 0
	v_mul_lo_u32 v6, v2, s19
	s_mov_b32 s22, 0
	v_add3_u32 v13, s10, v10, v11
	v_mov_b32_e32 v1, v0
	s_mov_b32 s19, s12
	s_mov_b32 s23, s12
	v_mov_b32_e32 v3, v6
	v_mov_b32_e32 v5, v4
	v_and_b32_e32 v14, 0x7ffffffe, v7
	s_mov_b64 s[10:11], 0
	v_mov_b32_e32 v15, s12
	v_mov_b32_e32 v16, s12
	s_waitcnt lgkmcnt(0)
	v_mov_b32_e32 v17, s17
.LBB31_4:                               ; =>This Inner Loop Header: Depth=1
	v_add_u32_e32 v19, s18, v1
	v_add_u32_e32 v18, s22, v0
	v_cmp_le_i32_e32 vcc, s23, v19
	v_cndmask_b32_e32 v20, 0, v15, vcc
	v_cmp_le_i32_e32 vcc, s19, v18
	v_cndmask_b32_e32 v21, 0, v16, vcc
	v_sub_u32_e32 v18, v18, v21
	v_sub_u32_e32 v19, v19, v20
	v_add3_u32 v18, v6, v21, v18
	v_add3_u32 v19, v3, v20, v19
	v_lshl_or_b32 v18, v18, 6, v4
	v_lshl_or_b32 v20, v19, 6, v5
	v_ashrrev_i32_e32 v19, 31, v18
	v_lshlrev_b64 v[18:19], 1, v[18:19]
	v_ashrrev_i32_e32 v21, 31, v20
	v_add_co_u32_e32 v18, vcc, s16, v18
	v_lshlrev_b64 v[20:21], 1, v[20:21]
	v_addc_co_u32_e32 v19, vcc, v17, v19, vcc
	v_add_co_u32_e32 v20, vcc, s16, v20
	v_addc_co_u32_e32 v21, vcc, v17, v21, vcc
	global_load_dword v22, v[18:19], off
	global_load_dword v23, v[20:21], off
	v_add_u32_e32 v14, -2, v14
	v_lshl_add_u32 v18, s22, 7, v13
	v_lshl_add_u32 v19, s18, 7, v13
	s_add_i32 s22, s22, 2
	s_add_i32 s18, s18, 2
	v_cmp_eq_u32_e32 vcc, 0, v14
	s_or_b64 s[10:11], vcc, s[10:11]
	s_waitcnt vmcnt(1)
	ds_write_b32 v18, v22
	s_waitcnt vmcnt(0)
	ds_write_b32 v19, v23
	s_andn2_b64 exec, exec, s[10:11]
	s_cbranch_execnz .LBB31_4
; %bb.5:
	s_or_b64 exec, exec, s[10:11]
	v_and_b32_e32 v1, 0x7ffffffe, v7
	v_cmp_ne_u32_e32 vcc, v7, v1
	s_orn2_b64 s[10:11], vcc, exec
.LBB31_6:
	s_or_b64 exec, exec, s[8:9]
	s_and_b64 exec, exec, s[10:11]
	s_cbranch_execz .LBB31_9
; %bb.7:
	s_add_i32 s8, s14, s13
	s_add_i32 s8, s8, s12
	s_lshl_b32 s9, s21, 1
	s_sub_i32 s8, s8, s9
	v_mul_lo_u32 v3, s8, v2
	v_lshlrev_b32_e32 v5, 1, v8
	v_add3_u32 v3, v1, v3, v5
	v_lshl_or_b32 v4, v3, 6, v4
	v_lshlrev_b32_e32 v3, 7, v1
	v_add3_u32 v3, s20, v10, v3
	v_add3_u32 v3, v3, v11, 0
	s_mov_b64 s[8:9], 0
	s_waitcnt lgkmcnt(0)
	v_mov_b32_e32 v6, s17
.LBB31_8:                               ; =>This Inner Loop Header: Depth=1
	v_ashrrev_i32_e32 v5, 31, v4
	v_lshlrev_b64 v[14:15], 1, v[4:5]
	v_add_co_u32_e32 v14, vcc, s16, v14
	v_addc_co_u32_e32 v15, vcc, v6, v15, vcc
	global_load_dword v5, v[14:15], off
	v_add_u32_e32 v1, 1, v1
	v_cmp_ge_i32_e32 vcc, v1, v7
	v_add_u32_e32 v4, 64, v4
	s_or_b64 s[8:9], vcc, s[8:9]
	s_waitcnt vmcnt(0)
	ds_write_b32 v3, v5
	v_add_u32_e32 v3, 0x80, v3
	s_andn2_b64 exec, exec, s[8:9]
	s_cbranch_execnz .LBB31_8
.LBB31_9:
	s_or_b64 exec, exec, s[6:7]
	s_add_i32 s2, s2, 15
	s_load_dwordx8 s[4:11], s[4:5], 0x18
	s_ashr_i32 s18, s2, 31
	s_lshr_b32 s18, s18, 28
	s_add_i32 s2, s2, s18
	s_ashr_i32 s2, s2, 4
	v_cmp_gt_i32_e32 vcc, s2, v9
	v_mul_lo_u32 v6, v12, s3
	s_and_saveexec_b64 s[18:19], vcc
	s_cbranch_execz .LBB31_12
; %bb.10:
	v_ashrrev_i32_e32 v3, 31, v2
	v_lshlrev_b64 v[4:5], 3, v[2:3]
	s_waitcnt lgkmcnt(0)
	v_mov_b32_e32 v1, s11
	v_add_co_u32_e32 v4, vcc, s10, v4
	v_addc_co_u32_e32 v5, vcc, v1, v5, vcc
	global_load_dwordx2 v[4:5], v[4:5], off
	s_ashr_i32 s22, s3, 31
	v_lshlrev_b32_e32 v1, 1, v6
	v_lshlrev_b32_e32 v3, 4, v9
	v_add3_u32 v1, v1, v3, 0
	v_mov_b32_e32 v12, s9
	s_mov_b64 s[10:11], 0
	s_waitcnt vmcnt(0)
	v_mul_lo_u32 v13, v5, s3
	v_mul_lo_u32 v14, v4, s22
	v_mad_u64_u32 v[4:5], s[22:23], v4, s3, 0
	v_add3_u32 v5, v5, v14, v13
	v_lshlrev_b64 v[4:5], 1, v[4:5]
	v_add_co_u32_e32 v3, vcc, v4, v3
	v_addc_co_u32_e32 v5, vcc, 0, v5, vcc
	v_add_co_u32_e32 v4, vcc, s8, v3
	v_addc_co_u32_e32 v5, vcc, v12, v5, vcc
	v_mov_b32_e32 v3, v9
.LBB31_11:                              ; =>This Inner Loop Header: Depth=1
	global_load_dwordx4 v[12:15], v[4:5], off
	v_add_co_u32_e32 v4, vcc, 0x200, v4
	v_add_u32_e32 v3, 32, v3
	v_addc_co_u32_e32 v5, vcc, 0, v5, vcc
	v_cmp_le_i32_e32 vcc, s2, v3
	s_or_b64 s[10:11], vcc, s[10:11]
	s_waitcnt vmcnt(0)
	ds_write_b128 v1, v[12:15]
	v_add_u32_e32 v1, 0x200, v1
	s_andn2_b64 exec, exec, s[10:11]
	s_cbranch_execnz .LBB31_11
.LBB31_12:
	s_or_b64 exec, exec, s[18:19]
	s_and_b64 exec, exec, s[0:1]
	s_cbranch_execz .LBB31_17
; %bb.13:
	s_waitcnt lgkmcnt(0)
	global_load_dword v1, v11, s[4:5]
	global_load_dword v4, v11, s[6:7]
	v_mbcnt_lo_u32_b32 v5, -1, 0
	s_abs_i32 s4, s3
	s_lshr_b32 s0, s3, 31
	v_mbcnt_hi_u32_b32 v15, -1, v5
	v_cvt_f32_u32_e32 v12, s4
	s_add_i32 s1, s14, s13
	s_add_i32 s0, s3, s0
	v_and_b32_e32 v5, 0x60, v15
	v_lshl_add_u32 v3, v6, 1, 0
	s_add_i32 s7, s1, s12
	s_ashr_i32 s1, s0, 1
	s_and_b32 s0, s0, -2
	v_xor_b32_e32 v6, 16, v15
	v_add_u32_e32 v5, 32, v5
	v_xor_b32_e32 v13, 8, v15
	v_add_u32_e32 v20, s0, v3
	v_cmp_gt_i32_e32 vcc, s1, v9
	s_lshr_b32 s2, s1, 1
	v_cmp_lt_i32_e64 s[0:1], v6, v5
	v_xor_b32_e32 v14, 4, v15
	v_cndmask_b32_e64 v6, v15, v6, s[0:1]
	v_cmp_lt_i32_e64 s[0:1], v13, v5
	v_rcp_iflag_f32_e32 v22, v12
	v_xor_b32_e32 v17, 2, v15
	v_cndmask_b32_e64 v13, v15, v13, s[0:1]
	v_cmp_lt_i32_e64 s[0:1], v14, v5
	v_cndmask_b32_e64 v14, v15, v14, s[0:1]
	v_cmp_lt_i32_e64 s[0:1], v17, v5
	v_xor_b32_e32 v18, 1, v15
	v_cndmask_b32_e64 v17, v15, v17, s[0:1]
	v_cmp_lt_i32_e64 s[0:1], v18, v5
	v_lshlrev_b32_e32 v5, 2, v6
	v_lshlrev_b32_e32 v6, 2, v13
	v_lshlrev_b32_e32 v13, 2, v17
	v_mul_f32_e32 v17, 0x4f7ffffe, v22
	v_cvt_u32_f32_e32 v17, v17
	s_sub_i32 s6, 0, s4
	v_cndmask_b32_e64 v18, v15, v18, s[0:1]
	v_lshlrev_b32_e32 v12, 2, v14
	v_lshlrev_b32_e32 v14, 2, v18
	v_mul_lo_u32 v18, s6, v17
	v_mul_hi_u32 v18, v17, v18
	v_add_u32_e32 v17, v17, v18
	v_or_b32_e32 v16, 2, v11
	v_and_b32_e32 v19, 64, v15
	v_mul_hi_u32 v18, v11, v17
	v_add_u32_e32 v19, 64, v19
	v_xor_b32_e32 v21, s2, v15
	v_mul_hi_u32 v17, v16, v17
	v_mul_lo_u32 v18, v18, s4
	v_cmp_gt_u32_e64 s[0:1], s2, v9
	v_cmp_lt_i32_e64 s[2:3], v21, v19
	v_mul_lo_u32 v17, v17, s4
	v_sub_u32_e32 v18, v11, v18
	v_cndmask_b32_e64 v15, v15, v21, s[2:3]
	v_sub_u32_e32 v16, v16, v17
	v_subrev_u32_e32 v17, s4, v18
	v_cmp_le_u32_e64 s[2:3], s4, v18
	v_subrev_u32_e32 v19, s4, v16
	v_cndmask_b32_e64 v17, v18, v17, s[2:3]
	v_cmp_le_u32_e64 s[2:3], s4, v16
	v_cndmask_b32_e64 v16, v16, v19, s[2:3]
	v_subrev_u32_e32 v18, s4, v17
	v_cmp_le_u32_e64 s[2:3], s4, v17
	v_subrev_u32_e32 v19, s4, v16
	v_cndmask_b32_e64 v17, v17, v18, s[2:3]
	v_cmp_le_u32_e64 s[2:3], s4, v16
	s_lshl_b32 s5, s21, 1
	v_cndmask_b32_e64 v16, v16, v19, s[2:3]
	v_and_b32_e32 v17, -2, v17
	v_and_b32_e32 v19, -2, v16
	s_sub_i32 s2, s7, s5
	v_add_u32_e32 v16, v3, v17
	v_add_u32_e32 v18, v3, v19
	v_mul_lo_u32 v2, s2, v2
	v_lshlrev_b32_e32 v3, 7, v8
	v_lshl_add_u32 v2, v2, 6, v3
	v_add_u32_e32 v3, s20, v10
	s_mov_b32 s8, 0
	v_lshlrev_b32_e32 v15, 2, v15
	v_add_u32_e32 v17, v20, v17
	v_add_u32_e32 v19, v20, v19
	s_waitcnt vmcnt(1)
	v_lshrrev_b32_e32 v20, 16, v1
	s_waitcnt vmcnt(0)
	v_lshrrev_b32_e32 v21, 16, v4
	v_lshl_or_b32 v2, v9, 1, v2
	v_add3_u32 v8, v3, v11, 0
	s_mov_b64 s[6:7], 0
	v_mov_b32_e32 v9, s15
	s_mov_b32 s9, 0x800000
	v_mov_b32_e32 v10, s17
	s_branch .LBB31_15
.LBB31_14:                              ;   in Loop: Header=BB31_15 Depth=1
	s_or_b64 exec, exec, s[2:3]
	v_cvt_f16_f32_e32 v24, v3
	v_ashrrev_i32_e32 v3, 31, v2
	v_cvt_f16_f32_e32 v11, v11
	v_lshlrev_b64 v[22:23], 1, v[2:3]
	v_add_co_u32_e64 v22, s[2:3], s16, v22
	v_addc_co_u32_e64 v23, s[2:3], v10, v23, s[2:3]
	s_add_i32 s8, s8, 1
	v_cmp_ge_i32_e64 s[2:3], s8, v7
	v_pack_b32_f16 v3, v24, v11
	v_add_u32_e32 v2, 64, v2
	s_or_b64 s[6:7], s[2:3], s[6:7]
	v_add_u32_e32 v8, 0x80, v8
	global_store_dword v[22:23], v3, off
	s_andn2_b64 exec, exec, s[6:7]
	s_cbranch_execz .LBB31_17
.LBB31_15:                              ; =>This Inner Loop Header: Depth=1
	ds_read_b32 v3, v8
	s_waitcnt lgkmcnt(0)
	v_cvt_f32_f16_sdwa v22, v3 dst_sel:DWORD dst_unused:UNUSED_PAD src0_sel:WORD_1
	v_cvt_f32_f16_e32 v23, v3
	v_pk_mul_f32 v[24:25], v[22:23], v[22:23]
	v_add_f32_e32 v3, v24, v25
	ds_bpermute_b32 v11, v5, v3
	v_mov_b32_e32 v25, v9
	v_add_u32_e32 v24, s8, v0
	v_cmp_gt_i32_e64 s[2:3], s12, v24
	v_cndmask_b32_e64 v24, v4, v1, s[2:3]
	s_waitcnt lgkmcnt(0)
	v_add_f32_e32 v3, v3, v11
	ds_bpermute_b32 v11, v6, v3
	s_waitcnt lgkmcnt(0)
	v_add_f32_e32 v3, v3, v11
	ds_bpermute_b32 v11, v12, v3
	s_waitcnt lgkmcnt(0)
	v_add_f32_e32 v3, v3, v11
	ds_bpermute_b32 v11, v13, v3
	s_waitcnt lgkmcnt(0)
	v_add_f32_e32 v3, v3, v11
	ds_bpermute_b32 v11, v14, v3
	s_waitcnt lgkmcnt(0)
	v_add_f32_e32 v3, v3, v11
	v_fmac_f32_e32 v25, 0x3c800000, v3
	v_mul_f32_e32 v3, 0x4b800000, v25
	v_cmp_gt_f32_e64 s[4:5], s9, v25
	v_cndmask_b32_e64 v3, v25, v3, s[4:5]
	v_rsq_f32_e32 v3, v3
	v_cvt_f32_f16_e32 v11, v24
	v_cndmask_b32_e64 v24, v21, v20, s[2:3]
	v_cvt_f32_f16_e32 v24, v24
	v_mul_f32_e32 v25, 0x45800000, v3
	v_cndmask_b32_e64 v3, v3, v25, s[4:5]
	v_mul_f32_e32 v11, v3, v11
	v_mul_f32_e32 v24, v3, v24
	;; [unrolled: 1-line block ×4, first 2 shown]
	s_and_saveexec_b64 s[2:3], vcc
	s_cbranch_execz .LBB31_14
; %bb.16:                               ;   in Loop: Header=BB31_15 Depth=1
	; wave barrier
	ds_read_u16 v22, v17
	ds_read_u16 v23, v16
	ds_bpermute_b32 v24, v15, v3
	ds_read_u16 v25, v19
	ds_read_u16 v26, v18
	ds_bpermute_b32 v27, v15, v11
	s_waitcnt lgkmcnt(5)
	v_cvt_f32_f16_e32 v22, v22
	s_waitcnt lgkmcnt(2)
	v_cvt_f32_f16_e32 v25, v25
	v_cndmask_b32_e64 v24, v24, -v24, s[0:1]
	v_mul_f32_e32 v22, v24, v22
	v_fma_mix_f32 v3, v3, v23, v22 op_sel_hi:[0,1,0]
	s_waitcnt lgkmcnt(0)
	v_cndmask_b32_e64 v22, v27, -v27, s[0:1]
	v_mul_f32_e32 v22, v22, v25
	v_fma_mix_f32 v11, v11, v26, v22 op_sel_hi:[0,1,0]
	; wave barrier
	s_branch .LBB31_14
.LBB31_17:
	s_endpgm
	.section	.rodata,"a",@progbits
	.p2align	6, 0x0
	.amdhsa_kernel _ZN12tensorrt_llm7kernels32fusedQKNormRopeKernelNTokenHeadsIN3c104HalfES3_Li64ELb0ELi2EEEvPviiifPKvS6_S6_PKlii
		.amdhsa_group_segment_fixed_size 0
		.amdhsa_private_segment_fixed_size 0
		.amdhsa_kernarg_size 320
		.amdhsa_user_sgpr_count 6
		.amdhsa_user_sgpr_private_segment_buffer 1
		.amdhsa_user_sgpr_dispatch_ptr 0
		.amdhsa_user_sgpr_queue_ptr 0
		.amdhsa_user_sgpr_kernarg_segment_ptr 1
		.amdhsa_user_sgpr_dispatch_id 0
		.amdhsa_user_sgpr_flat_scratch_init 0
		.amdhsa_user_sgpr_kernarg_preload_length 0
		.amdhsa_user_sgpr_kernarg_preload_offset 0
		.amdhsa_user_sgpr_private_segment_size 0
		.amdhsa_uses_dynamic_stack 0
		.amdhsa_system_sgpr_private_segment_wavefront_offset 0
		.amdhsa_system_sgpr_workgroup_id_x 1
		.amdhsa_system_sgpr_workgroup_id_y 0
		.amdhsa_system_sgpr_workgroup_id_z 0
		.amdhsa_system_sgpr_workgroup_info 0
		.amdhsa_system_vgpr_workitem_id 0
		.amdhsa_next_free_vgpr 28
		.amdhsa_next_free_sgpr 24
		.amdhsa_accum_offset 28
		.amdhsa_reserve_vcc 1
		.amdhsa_reserve_flat_scratch 0
		.amdhsa_float_round_mode_32 0
		.amdhsa_float_round_mode_16_64 0
		.amdhsa_float_denorm_mode_32 3
		.amdhsa_float_denorm_mode_16_64 3
		.amdhsa_dx10_clamp 1
		.amdhsa_ieee_mode 1
		.amdhsa_fp16_overflow 0
		.amdhsa_tg_split 0
		.amdhsa_exception_fp_ieee_invalid_op 0
		.amdhsa_exception_fp_denorm_src 0
		.amdhsa_exception_fp_ieee_div_zero 0
		.amdhsa_exception_fp_ieee_overflow 0
		.amdhsa_exception_fp_ieee_underflow 0
		.amdhsa_exception_fp_ieee_inexact 0
		.amdhsa_exception_int_div_zero 0
	.end_amdhsa_kernel
	.section	.text._ZN12tensorrt_llm7kernels32fusedQKNormRopeKernelNTokenHeadsIN3c104HalfES3_Li64ELb0ELi2EEEvPviiifPKvS6_S6_PKlii,"axG",@progbits,_ZN12tensorrt_llm7kernels32fusedQKNormRopeKernelNTokenHeadsIN3c104HalfES3_Li64ELb0ELi2EEEvPviiifPKvS6_S6_PKlii,comdat
.Lfunc_end31:
	.size	_ZN12tensorrt_llm7kernels32fusedQKNormRopeKernelNTokenHeadsIN3c104HalfES3_Li64ELb0ELi2EEEvPviiifPKvS6_S6_PKlii, .Lfunc_end31-_ZN12tensorrt_llm7kernels32fusedQKNormRopeKernelNTokenHeadsIN3c104HalfES3_Li64ELb0ELi2EEEvPviiifPKvS6_S6_PKlii
                                        ; -- End function
	.section	.AMDGPU.csdata,"",@progbits
; Kernel info:
; codeLenInByte = 1984
; NumSgprs: 28
; NumVgprs: 28
; NumAgprs: 0
; TotalNumVgprs: 28
; ScratchSize: 0
; MemoryBound: 0
; FloatMode: 240
; IeeeMode: 1
; LDSByteSize: 0 bytes/workgroup (compile time only)
; SGPRBlocks: 3
; VGPRBlocks: 3
; NumSGPRsForWavesPerEU: 28
; NumVGPRsForWavesPerEU: 28
; AccumOffset: 28
; Occupancy: 8
; WaveLimiterHint : 0
; COMPUTE_PGM_RSRC2:SCRATCH_EN: 0
; COMPUTE_PGM_RSRC2:USER_SGPR: 6
; COMPUTE_PGM_RSRC2:TRAP_HANDLER: 0
; COMPUTE_PGM_RSRC2:TGID_X_EN: 1
; COMPUTE_PGM_RSRC2:TGID_Y_EN: 0
; COMPUTE_PGM_RSRC2:TGID_Z_EN: 0
; COMPUTE_PGM_RSRC2:TIDIG_COMP_CNT: 0
; COMPUTE_PGM_RSRC3_GFX90A:ACCUM_OFFSET: 6
; COMPUTE_PGM_RSRC3_GFX90A:TG_SPLIT: 0
	.section	.text._ZN12tensorrt_llm7kernels32fusedQKNormRopeKernelNTokenHeadsIN3c104HalfES3_Li128ELb1ELi2EEEvPviiifPKvS6_S6_PKlii,"axG",@progbits,_ZN12tensorrt_llm7kernels32fusedQKNormRopeKernelNTokenHeadsIN3c104HalfES3_Li128ELb1ELi2EEEvPviiifPKvS6_S6_PKlii,comdat
	.protected	_ZN12tensorrt_llm7kernels32fusedQKNormRopeKernelNTokenHeadsIN3c104HalfES3_Li128ELb1ELi2EEEvPviiifPKvS6_S6_PKlii ; -- Begin function _ZN12tensorrt_llm7kernels32fusedQKNormRopeKernelNTokenHeadsIN3c104HalfES3_Li128ELb1ELi2EEEvPviiifPKvS6_S6_PKlii
	.globl	_ZN12tensorrt_llm7kernels32fusedQKNormRopeKernelNTokenHeadsIN3c104HalfES3_Li128ELb1ELi2EEEvPviiifPKvS6_S6_PKlii
	.p2align	8
	.type	_ZN12tensorrt_llm7kernels32fusedQKNormRopeKernelNTokenHeadsIN3c104HalfES3_Li128ELb1ELi2EEEvPviiifPKvS6_S6_PKlii,@function
_ZN12tensorrt_llm7kernels32fusedQKNormRopeKernelNTokenHeadsIN3c104HalfES3_Li128ELb1ELi2EEEvPviiifPKvS6_S6_PKlii: ; @_ZN12tensorrt_llm7kernels32fusedQKNormRopeKernelNTokenHeadsIN3c104HalfES3_Li128ELb1ELi2EEEvPviiifPKvS6_S6_PKlii
; %bb.0:
	s_load_dwordx4 s[12:15], s[4:5], 0x8
	s_load_dwordx2 s[16:17], s[4:5], 0x38
	s_load_dword s1, s[4:5], 0x4c
	v_lshrrev_b32_e32 v2, 5, v0
	s_waitcnt lgkmcnt(0)
	s_add_i32 s0, s13, s12
	s_add_i32 s2, s0, 1
	s_lshr_b32 s3, s2, 31
	s_add_i32 s2, s2, s3
	s_ashr_i32 s20, s2, 1
	s_abs_i32 s2, s20
	v_cvt_f32_u32_e32 v1, s2
	s_bfe_u32 s1, s1, 0xb0005
	s_mul_i32 s6, s6, s1
	s_sub_i32 s3, 0, s2
	v_rcp_iflag_f32_e32 v3, v1
	v_add_u32_e32 v1, s6, v2
	v_sub_u32_e32 v4, 0, v1
	v_max_i32_e32 v4, v1, v4
	v_mul_f32_e32 v3, 0x4f7ffffe, v3
	v_cvt_u32_f32_e32 v3, v3
	v_xor_b32_e32 v5, s20, v1
	v_ashrrev_i32_e32 v5, 31, v5
	v_mul_lo_u32 v6, s3, v3
	v_mul_hi_u32 v6, v3, v6
	v_add_u32_e32 v3, v3, v6
	v_mul_hi_u32 v3, v4, v3
	v_mul_lo_u32 v6, v3, s2
	v_sub_u32_e32 v4, v4, v6
	v_add_u32_e32 v6, 1, v3
	v_cmp_le_u32_e32 vcc, s2, v4
	v_cndmask_b32_e32 v3, v3, v6, vcc
	v_subrev_u32_e32 v6, s2, v4
	v_cndmask_b32_e32 v4, v4, v6, vcc
	v_add_u32_e32 v6, 1, v3
	v_cmp_le_u32_e32 vcc, s2, v4
	v_cndmask_b32_e32 v3, v3, v6, vcc
	v_xor_b32_e32 v3, v3, v5
	v_sub_u32_e32 v4, v3, v5
	v_cmp_gt_i32_e32 vcc, s16, v4
	s_and_saveexec_b64 s[2:3], vcc
	s_cbranch_execz .LBB32_12
; %bb.1:
	v_and_b32_e32 v6, 31, v0
	v_mul_lo_u32 v0, v4, s20
	v_sub_u32_e32 v0, v1, v0
	s_load_dwordx2 s[2:3], s[4:5], 0x0
	v_lshlrev_b32_e32 v10, 1, v0
	v_add_u32_e32 v0, 2, v10
	v_sub_u32_e32 v3, s0, v10
	v_cmp_lt_i32_e32 vcc, s0, v0
	v_cndmask_b32_e32 v11, 2, v3, vcc
	s_lshl_b32 s18, s17, 1
	s_mul_i32 s16, s18, s1
	v_lshlrev_b32_e32 v9, 9, v2
	v_cmp_lt_i32_e64 s[0:1], 0, v11
	v_lshlrev_b32_e32 v8, 3, v6
	v_lshlrev_b32_e32 v7, 8, v1
	s_and_saveexec_b64 s[6:7], s[0:1]
	s_cbranch_execz .LBB32_4
; %bb.2:
	s_add_i32 s8, s16, 0
	v_add3_u32 v3, s8, v9, v8
	s_add_i32 s8, s14, s13
	s_add_i32 s8, s8, s12
	s_lshl_b32 s9, s20, 1
	s_sub_i32 s8, s8, s9
	v_mul_lo_u32 v0, s8, v4
	v_lshl_add_u32 v0, v0, 7, v7
	s_mov_b32 s10, 0
	v_lshl_or_b32 v0, v6, 2, v0
	s_mov_b64 s[8:9], 0
	s_waitcnt lgkmcnt(0)
	v_mov_b32_e32 v5, s3
.LBB32_3:                               ; =>This Inner Loop Header: Depth=1
	v_ashrrev_i32_e32 v1, 31, v0
	v_lshlrev_b64 v[12:13], 1, v[0:1]
	v_add_co_u32_e32 v12, vcc, s2, v12
	v_addc_co_u32_e32 v13, vcc, v5, v13, vcc
	global_load_dwordx2 v[12:13], v[12:13], off
	s_add_i32 s10, s10, 1
	v_cmp_ge_i32_e32 vcc, s10, v11
	v_add_u32_e32 v0, 0x80, v0
	s_or_b64 s[8:9], vcc, s[8:9]
	s_waitcnt vmcnt(0)
	ds_write_b64 v3, v[12:13]
	v_add_u32_e32 v3, 0x100, v3
	s_andn2_b64 exec, exec, s[8:9]
	s_cbranch_execnz .LBB32_3
.LBB32_4:
	s_or_b64 exec, exec, s[6:7]
	s_add_i32 s18, s18, 15
	s_load_dwordx8 s[4:11], s[4:5], 0x18
	s_ashr_i32 s19, s18, 31
	s_lshr_b32 s19, s19, 28
	s_add_i32 s18, s18, s19
	s_ashr_i32 s21, s18, 4
	v_mul_lo_u32 v0, v2, s17
	v_cmp_gt_i32_e32 vcc, s21, v6
	v_lshlrev_b32_e32 v13, 1, v0
	s_and_saveexec_b64 s[18:19], vcc
	s_cbranch_execz .LBB32_7
; %bb.5:
	v_ashrrev_i32_e32 v5, 31, v4
	v_lshlrev_b64 v[0:1], 3, v[4:5]
	s_waitcnt lgkmcnt(0)
	v_mov_b32_e32 v2, s11
	v_add_co_u32_e32 v0, vcc, s10, v0
	v_addc_co_u32_e32 v1, vcc, v2, v1, vcc
	global_load_dwordx2 v[0:1], v[0:1], off
	s_ashr_i32 s22, s17, 31
	v_lshlrev_b32_e32 v3, 4, v6
	v_mov_b32_e32 v5, s9
	s_mov_b64 s[10:11], 0
	v_add3_u32 v2, v13, v3, 0
	s_waitcnt vmcnt(0)
	v_mul_lo_u32 v12, v1, s17
	v_mul_lo_u32 v14, v0, s22
	v_mad_u64_u32 v[0:1], s[22:23], v0, s17, 0
	v_add3_u32 v1, v1, v14, v12
	v_lshlrev_b64 v[0:1], 1, v[0:1]
	v_add_co_u32_e32 v0, vcc, v0, v3
	v_addc_co_u32_e32 v1, vcc, 0, v1, vcc
	v_add_co_u32_e32 v0, vcc, s8, v0
	v_addc_co_u32_e32 v1, vcc, v5, v1, vcc
	v_mov_b32_e32 v3, v6
.LBB32_6:                               ; =>This Inner Loop Header: Depth=1
	global_load_dwordx4 v[14:17], v[0:1], off
	v_add_co_u32_e32 v0, vcc, 0x200, v0
	v_add_u32_e32 v3, 32, v3
	v_addc_co_u32_e32 v1, vcc, 0, v1, vcc
	v_cmp_le_i32_e32 vcc, s21, v3
	s_or_b64 s[10:11], vcc, s[10:11]
	s_waitcnt vmcnt(0)
	ds_write_b128 v2, v[14:17]
	v_add_u32_e32 v2, 0x200, v2
	s_andn2_b64 exec, exec, s[10:11]
	s_cbranch_execnz .LBB32_6
.LBB32_7:
	s_or_b64 exec, exec, s[18:19]
	s_and_b64 exec, exec, s[0:1]
	s_cbranch_execz .LBB32_12
; %bb.8:
	s_waitcnt lgkmcnt(0)
	global_load_dwordx2 v[0:1], v8, s[4:5]
	global_load_dwordx2 v[2:3], v8, s[6:7]
	v_mbcnt_lo_u32_b32 v14, -1, 0
	v_add_u32_e32 v9, s16, v9
	v_mbcnt_hi_u32_b32 v16, -1, v14
	v_add3_u32 v14, v9, v8, 0
	v_and_b32_e32 v8, 0x60, v16
	v_xor_b32_e32 v9, 16, v16
	v_add_u32_e32 v8, 32, v8
	v_xor_b32_e32 v17, 8, v16
	v_cmp_lt_i32_e32 vcc, v9, v8
	s_add_i32 s8, s14, s13
	v_xor_b32_e32 v18, 4, v16
	v_cndmask_b32_e32 v9, v16, v9, vcc
	v_cmp_lt_i32_e32 vcc, v17, v8
	s_ashr_i32 s1, s17, 31
	s_lshl_b32 s9, s20, 1
	s_add_i32 s8, s8, s12
	v_xor_b32_e32 v19, 2, v16
	v_cndmask_b32_e32 v17, v16, v17, vcc
	v_cmp_lt_i32_e32 vcc, v18, v8
	s_lshr_b32 s0, s17, 31
	s_lshr_b32 s1, s1, 30
	v_xor_b32_e32 v20, 1, v16
	s_sub_i32 s8, s8, s9
	v_cndmask_b32_e32 v18, v16, v18, vcc
	v_cmp_lt_i32_e32 vcc, v19, v8
	v_lshlrev_b32_e32 v5, 2, v6
	s_add_i32 s0, s17, s0
	s_add_i32 s1, s17, s1
	v_mul_lo_u32 v4, s8, v4
	v_cndmask_b32_e32 v19, v16, v19, vcc
	v_cmp_lt_i32_e32 vcc, v20, v8
	v_add3_u32 v13, 0, v13, v5
	s_and_b32 s0, s0, -2
	s_ashr_i32 s1, s1, 2
	v_cndmask_b32_e32 v8, v16, v20, vcc
	v_lshl_add_u32 v4, v4, 7, v7
	s_mov_b32 s6, 0
	s_mov_b64 s[4:5], 0
	v_mov_b32_e32 v12, s15
	s_mov_b32 s7, 0x800000
	v_add_u32_e32 v15, s0, v13
	v_cmp_gt_i32_e32 vcc, s1, v6
	v_lshlrev_b32_e32 v16, 2, v9
	v_lshlrev_b32_e32 v17, 2, v17
	;; [unrolled: 1-line block ×5, first 2 shown]
	v_or_b32_e32 v4, v4, v5
	s_waitcnt vmcnt(1)
	v_lshrrev_b32_e32 v21, 16, v0
	s_waitcnt vmcnt(0)
	v_lshrrev_b32_e32 v22, 16, v2
	v_lshrrev_b32_e32 v23, 16, v1
	;; [unrolled: 1-line block ×3, first 2 shown]
	s_branch .LBB32_10
.LBB32_9:                               ;   in Loop: Header=BB32_10 Depth=1
	s_or_b64 exec, exec, s[0:1]
	v_ashrrev_i32_e32 v5, 31, v4
	v_cvt_f16_f32_e32 v25, v6
	v_cvt_f16_f32_e32 v26, v7
	;; [unrolled: 1-line block ×4, first 2 shown]
	v_lshlrev_b64 v[6:7], 1, v[4:5]
	v_mov_b32_e32 v5, s3
	v_add_co_u32_e64 v6, s[0:1], s2, v6
	v_addc_co_u32_e64 v7, s[0:1], v5, v7, s[0:1]
	s_add_i32 s6, s6, 1
	v_cmp_ge_i32_e64 s[0:1], s6, v11
	v_pack_b32_f16 v9, v8, v9
	v_pack_b32_f16 v8, v25, v26
	v_add_u32_e32 v4, 0x80, v4
	s_or_b64 s[4:5], s[0:1], s[4:5]
	v_add_u32_e32 v14, 0x100, v14
	global_store_dwordx2 v[6:7], v[8:9], off
	s_andn2_b64 exec, exec, s[4:5]
	s_cbranch_execz .LBB32_12
.LBB32_10:                              ; =>This Inner Loop Header: Depth=1
	ds_read_b64 v[6:7], v14
	s_waitcnt lgkmcnt(0)
	v_cvt_f32_f16_sdwa v9, v7 dst_sel:DWORD dst_unused:UNUSED_PAD src0_sel:WORD_1
	v_cvt_f32_f16_e32 v8, v7
	v_cvt_f32_f16_sdwa v7, v6 dst_sel:DWORD dst_unused:UNUSED_PAD src0_sel:WORD_1
	v_cvt_f32_f16_e32 v6, v6
	v_pk_mul_f32 v[26:27], v[8:9], v[8:9]
	v_pk_mul_f32 v[28:29], v[6:7], v[6:7]
	v_add_f32_e32 v5, v28, v29
	v_add_f32_e32 v5, v5, v26
	;; [unrolled: 1-line block ×3, first 2 shown]
	ds_bpermute_b32 v25, v16, v5
	v_add_u32_e32 v26, s6, v10
	v_mov_b32_e32 v28, v12
	v_cmp_gt_i32_e64 s[0:1], s12, v26
	v_cndmask_b32_e64 v26, v22, v21, s[0:1]
	s_waitcnt lgkmcnt(0)
	v_add_f32_e32 v5, v5, v25
	ds_bpermute_b32 v25, v17, v5
	v_cndmask_b32_e64 v29, v2, v0, s[0:1]
	v_cndmask_b32_e64 v30, v24, v23, s[0:1]
	;; [unrolled: 1-line block ×3, first 2 shown]
	v_cvt_f32_f16_e32 v27, v26
	s_waitcnt lgkmcnt(0)
	v_add_f32_e32 v5, v5, v25
	ds_bpermute_b32 v25, v18, v5
	v_cvt_f32_f16_e32 v26, v29
	v_cvt_f32_f16_e32 v29, v30
	s_waitcnt lgkmcnt(0)
	v_add_f32_e32 v5, v5, v25
	ds_bpermute_b32 v25, v19, v5
	s_waitcnt lgkmcnt(0)
	v_add_f32_e32 v5, v5, v25
	ds_bpermute_b32 v25, v20, v5
	s_waitcnt lgkmcnt(0)
	v_add_f32_e32 v5, v5, v25
	v_fmac_f32_e32 v28, 0x3c000000, v5
	v_mul_f32_e32 v5, 0x4b800000, v28
	v_cmp_gt_f32_e64 s[0:1], s7, v28
	v_cndmask_b32_e64 v5, v28, v5, s[0:1]
	v_rsq_f32_e32 v5, v5
	v_cvt_f32_f16_e32 v28, v31
	v_mul_f32_e32 v25, 0x45800000, v5
	v_cndmask_b32_e64 v30, v5, v25, s[0:1]
	v_pk_mul_f32 v[26:27], v[30:31], v[26:27] op_sel_hi:[0,1]
	v_pk_mul_f32 v[28:29], v[30:31], v[28:29] op_sel_hi:[0,1]
	v_pk_mul_f32 v[6:7], v[26:27], v[6:7]
	v_pk_mul_f32 v[8:9], v[28:29], v[8:9]
	s_and_saveexec_b64 s[0:1], vcc
	s_cbranch_execz .LBB32_9
; %bb.11:                               ;   in Loop: Header=BB32_10 Depth=1
	ds_read_u16 v5, v15
	ds_read_u16 v25, v13
	ds_read_u16 v27, v13 offset:2
	ds_read_u16 v29, v15 offset:2
	s_waitcnt lgkmcnt(3)
	v_cvt_f32_f16_e32 v26, v5
	s_waitcnt lgkmcnt(2)
	v_cvt_f32_f16_e32 v28, v25
	;; [unrolled: 2-line block ×4, first 2 shown]
	v_pk_mul_f32 v[26:27], v[6:7], v[26:27] op_sel_hi:[1,0]
	v_pk_mul_f32 v[32:33], v[6:7], v[28:29] op_sel_hi:[1,0]
	v_pk_fma_f32 v[6:7], v[6:7], v[28:29], v[26:27] op_sel:[0,0,1] op_sel_hi:[1,0,0]
	v_mov_b32_e32 v26, v9
	v_mov_b32_e32 v6, v31
	v_pk_mul_f32 v[28:29], v[26:27], v[30:31]
	v_pk_mul_f32 v[34:35], v[8:9], v[30:31]
	v_pk_fma_f32 v[28:29], v[8:9], v[6:7], v[28:29] op_sel_hi:[1,0,1] neg_lo:[0,0,1] neg_hi:[0,0,1]
	v_mov_b32_e32 v6, v35
	v_pk_fma_f32 v[30:31], v[8:9], v[30:31], v[6:7]
	v_sub_f32_e32 v6, v32, v27
	v_mov_b32_e32 v8, v28
	v_mov_b32_e32 v9, v30
	s_branch .LBB32_9
.LBB32_12:
	s_endpgm
	.section	.rodata,"a",@progbits
	.p2align	6, 0x0
	.amdhsa_kernel _ZN12tensorrt_llm7kernels32fusedQKNormRopeKernelNTokenHeadsIN3c104HalfES3_Li128ELb1ELi2EEEvPviiifPKvS6_S6_PKlii
		.amdhsa_group_segment_fixed_size 0
		.amdhsa_private_segment_fixed_size 0
		.amdhsa_kernarg_size 320
		.amdhsa_user_sgpr_count 6
		.amdhsa_user_sgpr_private_segment_buffer 1
		.amdhsa_user_sgpr_dispatch_ptr 0
		.amdhsa_user_sgpr_queue_ptr 0
		.amdhsa_user_sgpr_kernarg_segment_ptr 1
		.amdhsa_user_sgpr_dispatch_id 0
		.amdhsa_user_sgpr_flat_scratch_init 0
		.amdhsa_user_sgpr_kernarg_preload_length 0
		.amdhsa_user_sgpr_kernarg_preload_offset 0
		.amdhsa_user_sgpr_private_segment_size 0
		.amdhsa_uses_dynamic_stack 0
		.amdhsa_system_sgpr_private_segment_wavefront_offset 0
		.amdhsa_system_sgpr_workgroup_id_x 1
		.amdhsa_system_sgpr_workgroup_id_y 0
		.amdhsa_system_sgpr_workgroup_id_z 0
		.amdhsa_system_sgpr_workgroup_info 0
		.amdhsa_system_vgpr_workitem_id 0
		.amdhsa_next_free_vgpr 36
		.amdhsa_next_free_sgpr 24
		.amdhsa_accum_offset 36
		.amdhsa_reserve_vcc 1
		.amdhsa_reserve_flat_scratch 0
		.amdhsa_float_round_mode_32 0
		.amdhsa_float_round_mode_16_64 0
		.amdhsa_float_denorm_mode_32 3
		.amdhsa_float_denorm_mode_16_64 3
		.amdhsa_dx10_clamp 1
		.amdhsa_ieee_mode 1
		.amdhsa_fp16_overflow 0
		.amdhsa_tg_split 0
		.amdhsa_exception_fp_ieee_invalid_op 0
		.amdhsa_exception_fp_denorm_src 0
		.amdhsa_exception_fp_ieee_div_zero 0
		.amdhsa_exception_fp_ieee_overflow 0
		.amdhsa_exception_fp_ieee_underflow 0
		.amdhsa_exception_fp_ieee_inexact 0
		.amdhsa_exception_int_div_zero 0
	.end_amdhsa_kernel
	.section	.text._ZN12tensorrt_llm7kernels32fusedQKNormRopeKernelNTokenHeadsIN3c104HalfES3_Li128ELb1ELi2EEEvPviiifPKvS6_S6_PKlii,"axG",@progbits,_ZN12tensorrt_llm7kernels32fusedQKNormRopeKernelNTokenHeadsIN3c104HalfES3_Li128ELb1ELi2EEEvPviiifPKvS6_S6_PKlii,comdat
.Lfunc_end32:
	.size	_ZN12tensorrt_llm7kernels32fusedQKNormRopeKernelNTokenHeadsIN3c104HalfES3_Li128ELb1ELi2EEEvPviiifPKvS6_S6_PKlii, .Lfunc_end32-_ZN12tensorrt_llm7kernels32fusedQKNormRopeKernelNTokenHeadsIN3c104HalfES3_Li128ELb1ELi2EEEvPviiifPKvS6_S6_PKlii
                                        ; -- End function
	.section	.AMDGPU.csdata,"",@progbits
; Kernel info:
; codeLenInByte = 1520
; NumSgprs: 28
; NumVgprs: 36
; NumAgprs: 0
; TotalNumVgprs: 36
; ScratchSize: 0
; MemoryBound: 0
; FloatMode: 240
; IeeeMode: 1
; LDSByteSize: 0 bytes/workgroup (compile time only)
; SGPRBlocks: 3
; VGPRBlocks: 4
; NumSGPRsForWavesPerEU: 28
; NumVGPRsForWavesPerEU: 36
; AccumOffset: 36
; Occupancy: 8
; WaveLimiterHint : 0
; COMPUTE_PGM_RSRC2:SCRATCH_EN: 0
; COMPUTE_PGM_RSRC2:USER_SGPR: 6
; COMPUTE_PGM_RSRC2:TRAP_HANDLER: 0
; COMPUTE_PGM_RSRC2:TGID_X_EN: 1
; COMPUTE_PGM_RSRC2:TGID_Y_EN: 0
; COMPUTE_PGM_RSRC2:TGID_Z_EN: 0
; COMPUTE_PGM_RSRC2:TIDIG_COMP_CNT: 0
; COMPUTE_PGM_RSRC3_GFX90A:ACCUM_OFFSET: 8
; COMPUTE_PGM_RSRC3_GFX90A:TG_SPLIT: 0
	.section	.text._ZN12tensorrt_llm7kernels32fusedQKNormRopeKernelNTokenHeadsIN3c104HalfES3_Li128ELb0ELi2EEEvPviiifPKvS6_S6_PKlii,"axG",@progbits,_ZN12tensorrt_llm7kernels32fusedQKNormRopeKernelNTokenHeadsIN3c104HalfES3_Li128ELb0ELi2EEEvPviiifPKvS6_S6_PKlii,comdat
	.protected	_ZN12tensorrt_llm7kernels32fusedQKNormRopeKernelNTokenHeadsIN3c104HalfES3_Li128ELb0ELi2EEEvPviiifPKvS6_S6_PKlii ; -- Begin function _ZN12tensorrt_llm7kernels32fusedQKNormRopeKernelNTokenHeadsIN3c104HalfES3_Li128ELb0ELi2EEEvPviiifPKvS6_S6_PKlii
	.globl	_ZN12tensorrt_llm7kernels32fusedQKNormRopeKernelNTokenHeadsIN3c104HalfES3_Li128ELb0ELi2EEEvPviiifPKvS6_S6_PKlii
	.p2align	8
	.type	_ZN12tensorrt_llm7kernels32fusedQKNormRopeKernelNTokenHeadsIN3c104HalfES3_Li128ELb0ELi2EEEvPviiifPKvS6_S6_PKlii,@function
_ZN12tensorrt_llm7kernels32fusedQKNormRopeKernelNTokenHeadsIN3c104HalfES3_Li128ELb0ELi2EEEvPviiifPKvS6_S6_PKlii: ; @_ZN12tensorrt_llm7kernels32fusedQKNormRopeKernelNTokenHeadsIN3c104HalfES3_Li128ELb0ELi2EEEvPviiifPKvS6_S6_PKlii
; %bb.0:
	s_load_dwordx4 s[12:15], s[4:5], 0x8
	s_load_dwordx2 s[2:3], s[4:5], 0x38
	s_load_dword s1, s[4:5], 0x4c
	v_lshrrev_b32_e32 v2, 5, v0
	s_waitcnt lgkmcnt(0)
	s_add_i32 s0, s13, s12
	s_add_i32 s7, s0, 1
	s_lshr_b32 s8, s7, 31
	s_add_i32 s7, s7, s8
	s_ashr_i32 s20, s7, 1
	s_abs_i32 s7, s20
	v_cvt_f32_u32_e32 v1, s7
	s_bfe_u32 s1, s1, 0xb0005
	s_mul_i32 s6, s6, s1
	v_rcp_iflag_f32_e32 v3, v1
	v_add_u32_e32 v1, s6, v2
	s_sub_i32 s6, 0, s7
	v_sub_u32_e32 v4, 0, v1
	v_mul_f32_e32 v3, 0x4f7ffffe, v3
	v_cvt_u32_f32_e32 v3, v3
	v_max_i32_e32 v4, v1, v4
	v_xor_b32_e32 v5, s20, v1
	v_ashrrev_i32_e32 v5, 31, v5
	v_mul_lo_u32 v6, s6, v3
	v_mul_hi_u32 v6, v3, v6
	v_add_u32_e32 v3, v3, v6
	v_mul_hi_u32 v3, v4, v3
	v_mul_lo_u32 v6, v3, s7
	v_sub_u32_e32 v4, v4, v6
	v_add_u32_e32 v6, 1, v3
	v_cmp_le_u32_e32 vcc, s7, v4
	v_cndmask_b32_e32 v3, v3, v6, vcc
	v_subrev_u32_e32 v6, s7, v4
	v_cndmask_b32_e32 v4, v4, v6, vcc
	v_add_u32_e32 v6, 1, v3
	v_cmp_le_u32_e32 vcc, s7, v4
	v_cndmask_b32_e32 v3, v3, v6, vcc
	v_xor_b32_e32 v3, v3, v5
	v_sub_u32_e32 v4, v3, v5
	v_cmp_gt_i32_e32 vcc, s2, v4
	s_and_saveexec_b64 s[6:7], vcc
	s_cbranch_execz .LBB33_12
; %bb.1:
	v_and_b32_e32 v8, 31, v0
	v_mul_lo_u32 v0, v4, s20
	v_sub_u32_e32 v0, v1, v0
	s_load_dwordx2 s[16:17], s[4:5], 0x0
	v_lshlrev_b32_e32 v6, 1, v0
	v_add_u32_e32 v0, 2, v6
	v_sub_u32_e32 v3, s0, v6
	v_cmp_lt_i32_e32 vcc, s0, v0
	v_cndmask_b32_e32 v7, 2, v3, vcc
	s_lshl_b32 s2, s3, 1
	s_mul_i32 s21, s2, s1
	v_lshlrev_b32_e32 v9, 9, v2
	v_cmp_lt_i32_e64 s[0:1], 0, v7
	v_lshlrev_b32_e32 v10, 3, v8
	v_lshlrev_b32_e32 v11, 8, v1
	s_and_saveexec_b64 s[6:7], s[0:1]
	s_cbranch_execz .LBB33_4
; %bb.2:
	s_add_i32 s8, s21, 0
	v_add3_u32 v3, s8, v9, v10
	s_add_i32 s8, s14, s13
	s_add_i32 s8, s8, s12
	s_lshl_b32 s9, s20, 1
	s_sub_i32 s8, s8, s9
	v_mul_lo_u32 v0, s8, v4
	v_lshl_add_u32 v0, v0, 7, v11
	s_mov_b32 s10, 0
	v_lshl_or_b32 v0, v8, 2, v0
	s_mov_b64 s[8:9], 0
	s_waitcnt lgkmcnt(0)
	v_mov_b32_e32 v5, s17
.LBB33_3:                               ; =>This Inner Loop Header: Depth=1
	v_ashrrev_i32_e32 v1, 31, v0
	v_lshlrev_b64 v[12:13], 1, v[0:1]
	v_add_co_u32_e32 v12, vcc, s16, v12
	v_addc_co_u32_e32 v13, vcc, v5, v13, vcc
	global_load_dwordx2 v[12:13], v[12:13], off
	s_add_i32 s10, s10, 1
	v_cmp_ge_i32_e32 vcc, s10, v7
	v_add_u32_e32 v0, 0x80, v0
	s_or_b64 s[8:9], vcc, s[8:9]
	s_waitcnt vmcnt(0)
	ds_write_b64 v3, v[12:13]
	v_add_u32_e32 v3, 0x100, v3
	s_andn2_b64 exec, exec, s[8:9]
	s_cbranch_execnz .LBB33_3
.LBB33_4:
	s_or_b64 exec, exec, s[6:7]
	s_add_i32 s2, s2, 15
	s_load_dwordx8 s[4:11], s[4:5], 0x18
	s_ashr_i32 s18, s2, 31
	s_lshr_b32 s18, s18, 28
	s_add_i32 s2, s2, s18
	s_ashr_i32 s2, s2, 4
	v_cmp_gt_i32_e32 vcc, s2, v8
	v_mul_lo_u32 v12, v2, s3
	s_and_saveexec_b64 s[18:19], vcc
	s_cbranch_execz .LBB33_7
; %bb.5:
	v_ashrrev_i32_e32 v5, 31, v4
	v_lshlrev_b64 v[0:1], 3, v[4:5]
	s_waitcnt lgkmcnt(0)
	v_mov_b32_e32 v2, s11
	v_add_co_u32_e32 v0, vcc, s10, v0
	v_addc_co_u32_e32 v1, vcc, v2, v1, vcc
	global_load_dwordx2 v[0:1], v[0:1], off
	s_ashr_i32 s22, s3, 31
	v_lshlrev_b32_e32 v3, 4, v8
	v_lshlrev_b32_e32 v2, 1, v12
	v_mov_b32_e32 v5, s9
	s_mov_b64 s[10:11], 0
	v_add3_u32 v2, v2, v3, 0
	s_waitcnt vmcnt(0)
	v_mul_lo_u32 v13, v1, s3
	v_mul_lo_u32 v14, v0, s22
	v_mad_u64_u32 v[0:1], s[22:23], v0, s3, 0
	v_add3_u32 v1, v1, v14, v13
	v_lshlrev_b64 v[0:1], 1, v[0:1]
	v_add_co_u32_e32 v0, vcc, v0, v3
	v_addc_co_u32_e32 v1, vcc, 0, v1, vcc
	v_add_co_u32_e32 v0, vcc, s8, v0
	v_addc_co_u32_e32 v1, vcc, v5, v1, vcc
	v_mov_b32_e32 v3, v8
.LBB33_6:                               ; =>This Inner Loop Header: Depth=1
	global_load_dwordx4 v[14:17], v[0:1], off
	v_add_co_u32_e32 v0, vcc, 0x200, v0
	v_add_u32_e32 v3, 32, v3
	v_addc_co_u32_e32 v1, vcc, 0, v1, vcc
	v_cmp_le_i32_e32 vcc, s2, v3
	s_or_b64 s[10:11], vcc, s[10:11]
	s_waitcnt vmcnt(0)
	ds_write_b128 v2, v[14:17]
	v_add_u32_e32 v2, 0x200, v2
	s_andn2_b64 exec, exec, s[10:11]
	s_cbranch_execnz .LBB33_6
.LBB33_7:
	s_or_b64 exec, exec, s[18:19]
	s_and_b64 exec, exec, s[0:1]
	s_cbranch_execz .LBB33_12
; %bb.8:
	s_waitcnt lgkmcnt(0)
	global_load_dwordx2 v[0:1], v10, s[4:5]
	global_load_dwordx2 v[2:3], v10, s[6:7]
	v_lshl_add_u32 v5, v12, 1, 0
	v_mbcnt_lo_u32_b32 v12, -1, 0
	s_abs_i32 s4, s3
	v_mbcnt_hi_u32_b32 v17, -1, v12
	v_cvt_f32_u32_e32 v14, s4
	v_and_b32_e32 v12, 0x60, v17
	v_xor_b32_e32 v13, 16, v17
	v_add_u32_e32 v12, 32, v12
	v_xor_b32_e32 v15, 8, v17
	v_cmp_lt_i32_e32 vcc, v13, v12
	v_xor_b32_e32 v16, 4, v17
	v_cndmask_b32_e32 v13, v17, v13, vcc
	v_cmp_lt_i32_e32 vcc, v15, v12
	v_rcp_iflag_f32_e32 v23, v14
	v_xor_b32_e32 v19, 2, v17
	v_cndmask_b32_e32 v15, v17, v15, vcc
	v_cmp_lt_i32_e32 vcc, v16, v12
	v_cndmask_b32_e32 v16, v17, v16, vcc
	v_cmp_lt_i32_e32 vcc, v19, v12
	v_xor_b32_e32 v20, 1, v17
	v_cndmask_b32_e32 v19, v17, v19, vcc
	v_cmp_lt_i32_e32 vcc, v20, v12
	v_lshlrev_b32_e32 v12, 2, v13
	v_lshlrev_b32_e32 v13, 2, v15
	;; [unrolled: 1-line block ×3, first 2 shown]
	v_mul_f32_e32 v19, 0x4f7ffffe, v23
	v_cvt_u32_f32_e32 v19, v19
	s_sub_i32 s5, 0, s4
	v_cndmask_b32_e32 v20, v17, v20, vcc
	s_ashr_i32 s1, s3, 31
	v_lshlrev_b32_e32 v14, 2, v16
	v_lshlrev_b32_e32 v16, 2, v20
	v_mul_lo_u32 v20, s5, v19
	s_lshr_b32 s2, s1, 30
	s_lshr_b32 s1, s1, 29
	v_mul_hi_u32 v20, v19, v20
	s_lshr_b32 s0, s3, 31
	s_add_i32 s1, s3, s1
	v_add_u32_e32 v30, v19, v20
	v_or_b32_e32 v18, 2, v10
	s_add_i32 s0, s3, s0
	v_and_b32_e32 v21, 64, v17
	s_ashr_i32 s1, s1, 3
	v_mul_hi_u32 v19, v10, v30
	s_and_b32 s0, s0, -2
	s_add_i32 s2, s3, s2
	v_add_u32_e32 v21, 64, v21
	v_xor_b32_e32 v22, s1, v17
	v_mul_hi_u32 v20, v18, v30
	v_mul_lo_u32 v19, v19, s4
	v_add_u32_e32 v29, s0, v5
	s_ashr_i32 s0, s2, 2
	v_cmp_lt_i32_e64 s[2:3], v22, v21
	v_mul_lo_u32 v20, v20, s4
	v_sub_u32_e32 v19, v10, v19
	v_or_b32_e32 v26, 4, v10
	v_cndmask_b32_e64 v17, v17, v22, s[2:3]
	v_sub_u32_e32 v18, v18, v20
	v_subrev_u32_e32 v20, s4, v19
	v_cmp_le_u32_e64 s[2:3], s4, v19
	v_subrev_u32_e32 v21, s4, v18
	v_cndmask_b32_e64 v19, v19, v20, s[2:3]
	v_cmp_le_u32_e64 s[2:3], s4, v18
	v_mul_hi_u32 v27, v26, v30
	v_cndmask_b32_e64 v24, v18, v21, s[2:3]
	v_subrev_u32_e32 v18, s4, v19
	v_cmp_le_u32_e64 s[2:3], s4, v19
	v_mul_lo_u32 v27, v27, s4
	v_or_b32_e32 v28, 6, v10
	v_cndmask_b32_e64 v18, v19, v18, s[2:3]
	v_subrev_u32_e32 v25, s4, v24
	v_cmp_le_u32_e64 s[2:3], s4, v24
	v_sub_u32_e32 v26, v26, v27
	v_cndmask_b32_e64 v24, v24, v25, s[2:3]
	v_subrev_u32_e32 v27, s4, v26
	v_cmp_le_u32_e64 s[2:3], s4, v26
	v_mul_hi_u32 v30, v28, v30
	v_cndmask_b32_e64 v26, v26, v27, s[2:3]
	v_mul_lo_u32 v30, v30, s4
	v_subrev_u32_e32 v27, s4, v26
	v_cmp_le_u32_e64 s[2:3], s4, v26
	v_sub_u32_e32 v28, v28, v30
	v_cndmask_b32_e64 v26, v26, v27, s[2:3]
	v_subrev_u32_e32 v30, s4, v28
	v_cmp_le_u32_e64 s[2:3], s4, v28
	v_cndmask_b32_e64 v28, v28, v30, s[2:3]
	v_subrev_u32_e32 v30, s4, v28
	v_cmp_le_u32_e64 s[2:3], s4, v28
	v_cndmask_b32_e64 v28, v28, v30, s[2:3]
	s_add_i32 s2, s14, s13
	s_add_i32 s2, s2, s12
	s_lshl_b32 s3, s20, 1
	s_sub_i32 s2, s2, s3
	v_and_b32_e32 v19, -2, v18
	v_and_b32_e32 v25, -2, v24
	;; [unrolled: 1-line block ×4, first 2 shown]
	v_mul_lo_u32 v4, s2, v4
	v_add_u32_e32 v18, v5, v19
	v_add_u32_e32 v24, v5, v25
	;; [unrolled: 1-line block ×4, first 2 shown]
	v_lshl_add_u32 v4, v4, 7, v11
	v_add_u32_e32 v5, s21, v9
	s_mov_b32 s6, 0
	v_cmp_gt_i32_e32 vcc, s0, v8
	v_cmp_gt_i32_e64 s[0:1], s1, v8
	v_lshlrev_b32_e32 v17, 2, v17
	v_add_u32_e32 v19, v29, v19
	s_waitcnt vmcnt(1)
	v_lshrrev_b32_e32 v20, 16, v0
	v_lshrrev_b32_e32 v21, 16, v1
	s_waitcnt vmcnt(0)
	v_lshrrev_b32_e32 v22, 16, v2
	v_lshrrev_b32_e32 v23, 16, v3
	v_add_u32_e32 v25, v29, v25
	v_add_u32_e32 v27, v29, v27
	;; [unrolled: 1-line block ×3, first 2 shown]
	v_lshl_or_b32 v4, v8, 2, v4
	v_add3_u32 v8, v5, v10, 0
	s_mov_b64 s[4:5], 0
	s_mov_b32 s7, 0x800000
	v_mov_b32_e32 v9, s15
	s_branch .LBB33_10
.LBB33_9:                               ;   in Loop: Header=BB33_10 Depth=1
	s_or_b64 exec, exec, s[2:3]
	v_cvt_f16_f32_e32 v32, v5
	v_ashrrev_i32_e32 v5, 31, v4
	v_cvt_f16_f32_e32 v33, v10
	v_cvt_f16_f32_e32 v31, v11
	;; [unrolled: 1-line block ×3, first 2 shown]
	v_lshlrev_b64 v[10:11], 1, v[4:5]
	v_mov_b32_e32 v5, s17
	v_add_co_u32_e64 v10, s[2:3], s16, v10
	v_addc_co_u32_e64 v11, s[2:3], v5, v11, s[2:3]
	s_add_i32 s6, s6, 1
	v_cmp_ge_i32_e64 s[2:3], s6, v7
	v_pack_b32_f16 v31, v31, v30
	v_pack_b32_f16 v30, v32, v33
	v_add_u32_e32 v4, 0x80, v4
	s_or_b64 s[4:5], s[2:3], s[4:5]
	v_add_u32_e32 v8, 0x100, v8
	global_store_dwordx2 v[10:11], v[30:31], off
	s_andn2_b64 exec, exec, s[4:5]
	s_cbranch_execz .LBB33_12
.LBB33_10:                              ; =>This Inner Loop Header: Depth=1
	ds_read_b64 v[10:11], v8
	v_add_u32_e32 v32, s6, v6
	v_mov_b32_e32 v33, v9
	v_cmp_gt_i32_e64 s[2:3], s12, v32
	v_cndmask_b32_e64 v32, v2, v0, s[2:3]
	s_waitcnt lgkmcnt(0)
	v_cvt_f32_f16_sdwa v30, v10 dst_sel:DWORD dst_unused:UNUSED_PAD src0_sel:WORD_1
	v_cndmask_b32_e64 v34, v22, v20, s[2:3]
	v_cndmask_b32_e64 v35, v3, v1, s[2:3]
	;; [unrolled: 1-line block ×3, first 2 shown]
	v_mul_f32_e32 v5, v30, v30
	v_fma_mix_f32 v5, v10, v10, v5 op_sel_hi:[1,1,0]
	v_fma_mix_f32 v5, v11, v11, v5 op_sel_hi:[1,1,0]
	v_fma_mix_f32 v5, v11, v11, v5 op_sel:[1,1,0] op_sel_hi:[1,1,0]
	ds_bpermute_b32 v31, v12, v5
	v_cvt_f32_f16_e32 v32, v32
	v_cvt_f32_f16_e32 v34, v34
	;; [unrolled: 1-line block ×4, first 2 shown]
	s_waitcnt lgkmcnt(0)
	v_add_f32_e32 v5, v5, v31
	ds_bpermute_b32 v31, v13, v5
	v_cvt_f32_f16_e32 v10, v10
	s_waitcnt lgkmcnt(0)
	v_add_f32_e32 v5, v5, v31
	ds_bpermute_b32 v31, v14, v5
	s_waitcnt lgkmcnt(0)
	v_add_f32_e32 v5, v5, v31
	ds_bpermute_b32 v31, v15, v5
	;; [unrolled: 3-line block ×3, first 2 shown]
	s_waitcnt lgkmcnt(0)
	v_add_f32_e32 v5, v5, v31
	v_fmac_f32_e32 v33, 0x3c000000, v5
	v_mul_f32_e32 v5, 0x4b800000, v33
	v_cmp_gt_f32_e64 s[2:3], s7, v33
	v_cndmask_b32_e64 v5, v33, v5, s[2:3]
	v_rsq_f32_e32 v5, v5
	v_cvt_f32_f16_e32 v31, v11
	v_cvt_f32_f16_sdwa v33, v11 dst_sel:DWORD dst_unused:UNUSED_PAD src0_sel:WORD_1
	v_mul_f32_e32 v11, 0x45800000, v5
	v_cndmask_b32_e64 v5, v5, v11, s[2:3]
	v_mul_f32_e32 v11, v5, v32
	v_mul_f32_e32 v32, v5, v34
	;; [unrolled: 1-line block ×8, first 2 shown]
	s_and_saveexec_b64 s[2:3], vcc
	s_cbranch_execz .LBB33_9
; %bb.11:                               ;   in Loop: Header=BB33_10 Depth=1
	ds_bpermute_b32 v31, v17, v5
	; wave barrier
	ds_read_u16 v32, v19
	ds_read_u16 v33, v24
	;; [unrolled: 1-line block ×7, first 2 shown]
	s_waitcnt lgkmcnt(6)
	v_cvt_f32_f16_e32 v32, v32
	ds_read_u16 v39, v18
	ds_bpermute_b32 v40, v17, v10
	v_cndmask_b32_e64 v31, v31, -v31, s[0:1]
	v_mul_f32_e32 v31, v31, v32
	s_waitcnt lgkmcnt(6)
	v_cvt_f32_f16_e32 v32, v34
	ds_bpermute_b32 v34, v17, v11
	s_waitcnt lgkmcnt(2)
	v_fma_mix_f32 v5, v5, v39, v31 op_sel_hi:[0,1,0]
	s_waitcnt lgkmcnt(1)
	v_cndmask_b32_e64 v31, v40, -v40, s[0:1]
	v_mul_f32_e32 v31, v31, v32
	v_fma_mix_f32 v10, v10, v33, v31 op_sel_hi:[0,1,0]
	v_cvt_f32_f16_e32 v31, v36
	ds_bpermute_b32 v32, v17, v30
	s_waitcnt lgkmcnt(1)
	v_cndmask_b32_e64 v33, v34, -v34, s[0:1]
	v_cvt_f32_f16_e32 v34, v38
	v_mul_f32_e32 v31, v33, v31
	v_fma_mix_f32 v11, v11, v35, v31 op_sel_hi:[0,1,0]
	s_waitcnt lgkmcnt(0)
	v_cndmask_b32_e64 v31, v32, -v32, s[0:1]
	v_mul_f32_e32 v31, v31, v34
	v_fma_mix_f32 v30, v30, v37, v31 op_sel_hi:[0,1,0]
	; wave barrier
	s_branch .LBB33_9
.LBB33_12:
	s_endpgm
	.section	.rodata,"a",@progbits
	.p2align	6, 0x0
	.amdhsa_kernel _ZN12tensorrt_llm7kernels32fusedQKNormRopeKernelNTokenHeadsIN3c104HalfES3_Li128ELb0ELi2EEEvPviiifPKvS6_S6_PKlii
		.amdhsa_group_segment_fixed_size 0
		.amdhsa_private_segment_fixed_size 0
		.amdhsa_kernarg_size 320
		.amdhsa_user_sgpr_count 6
		.amdhsa_user_sgpr_private_segment_buffer 1
		.amdhsa_user_sgpr_dispatch_ptr 0
		.amdhsa_user_sgpr_queue_ptr 0
		.amdhsa_user_sgpr_kernarg_segment_ptr 1
		.amdhsa_user_sgpr_dispatch_id 0
		.amdhsa_user_sgpr_flat_scratch_init 0
		.amdhsa_user_sgpr_kernarg_preload_length 0
		.amdhsa_user_sgpr_kernarg_preload_offset 0
		.amdhsa_user_sgpr_private_segment_size 0
		.amdhsa_uses_dynamic_stack 0
		.amdhsa_system_sgpr_private_segment_wavefront_offset 0
		.amdhsa_system_sgpr_workgroup_id_x 1
		.amdhsa_system_sgpr_workgroup_id_y 0
		.amdhsa_system_sgpr_workgroup_id_z 0
		.amdhsa_system_sgpr_workgroup_info 0
		.amdhsa_system_vgpr_workitem_id 0
		.amdhsa_next_free_vgpr 41
		.amdhsa_next_free_sgpr 24
		.amdhsa_accum_offset 44
		.amdhsa_reserve_vcc 1
		.amdhsa_reserve_flat_scratch 0
		.amdhsa_float_round_mode_32 0
		.amdhsa_float_round_mode_16_64 0
		.amdhsa_float_denorm_mode_32 3
		.amdhsa_float_denorm_mode_16_64 3
		.amdhsa_dx10_clamp 1
		.amdhsa_ieee_mode 1
		.amdhsa_fp16_overflow 0
		.amdhsa_tg_split 0
		.amdhsa_exception_fp_ieee_invalid_op 0
		.amdhsa_exception_fp_denorm_src 0
		.amdhsa_exception_fp_ieee_div_zero 0
		.amdhsa_exception_fp_ieee_overflow 0
		.amdhsa_exception_fp_ieee_underflow 0
		.amdhsa_exception_fp_ieee_inexact 0
		.amdhsa_exception_int_div_zero 0
	.end_amdhsa_kernel
	.section	.text._ZN12tensorrt_llm7kernels32fusedQKNormRopeKernelNTokenHeadsIN3c104HalfES3_Li128ELb0ELi2EEEvPviiifPKvS6_S6_PKlii,"axG",@progbits,_ZN12tensorrt_llm7kernels32fusedQKNormRopeKernelNTokenHeadsIN3c104HalfES3_Li128ELb0ELi2EEEvPviiifPKvS6_S6_PKlii,comdat
.Lfunc_end33:
	.size	_ZN12tensorrt_llm7kernels32fusedQKNormRopeKernelNTokenHeadsIN3c104HalfES3_Li128ELb0ELi2EEEvPviiifPKvS6_S6_PKlii, .Lfunc_end33-_ZN12tensorrt_llm7kernels32fusedQKNormRopeKernelNTokenHeadsIN3c104HalfES3_Li128ELb0ELi2EEEvPviiifPKvS6_S6_PKlii
                                        ; -- End function
	.section	.AMDGPU.csdata,"",@progbits
; Kernel info:
; codeLenInByte = 1992
; NumSgprs: 28
; NumVgprs: 41
; NumAgprs: 0
; TotalNumVgprs: 41
; ScratchSize: 0
; MemoryBound: 0
; FloatMode: 240
; IeeeMode: 1
; LDSByteSize: 0 bytes/workgroup (compile time only)
; SGPRBlocks: 3
; VGPRBlocks: 5
; NumSGPRsForWavesPerEU: 28
; NumVGPRsForWavesPerEU: 41
; AccumOffset: 44
; Occupancy: 8
; WaveLimiterHint : 0
; COMPUTE_PGM_RSRC2:SCRATCH_EN: 0
; COMPUTE_PGM_RSRC2:USER_SGPR: 6
; COMPUTE_PGM_RSRC2:TRAP_HANDLER: 0
; COMPUTE_PGM_RSRC2:TGID_X_EN: 1
; COMPUTE_PGM_RSRC2:TGID_Y_EN: 0
; COMPUTE_PGM_RSRC2:TGID_Z_EN: 0
; COMPUTE_PGM_RSRC2:TIDIG_COMP_CNT: 0
; COMPUTE_PGM_RSRC3_GFX90A:ACCUM_OFFSET: 10
; COMPUTE_PGM_RSRC3_GFX90A:TG_SPLIT: 0
	.section	.text._ZN12tensorrt_llm7kernels32fusedQKNormRopeKernelNTokenHeadsIN3c104HalfES3_Li256ELb1ELi2EEEvPviiifPKvS6_S6_PKlii,"axG",@progbits,_ZN12tensorrt_llm7kernels32fusedQKNormRopeKernelNTokenHeadsIN3c104HalfES3_Li256ELb1ELi2EEEvPviiifPKvS6_S6_PKlii,comdat
	.protected	_ZN12tensorrt_llm7kernels32fusedQKNormRopeKernelNTokenHeadsIN3c104HalfES3_Li256ELb1ELi2EEEvPviiifPKvS6_S6_PKlii ; -- Begin function _ZN12tensorrt_llm7kernels32fusedQKNormRopeKernelNTokenHeadsIN3c104HalfES3_Li256ELb1ELi2EEEvPviiifPKvS6_S6_PKlii
	.globl	_ZN12tensorrt_llm7kernels32fusedQKNormRopeKernelNTokenHeadsIN3c104HalfES3_Li256ELb1ELi2EEEvPviiifPKvS6_S6_PKlii
	.p2align	8
	.type	_ZN12tensorrt_llm7kernels32fusedQKNormRopeKernelNTokenHeadsIN3c104HalfES3_Li256ELb1ELi2EEEvPviiifPKvS6_S6_PKlii,@function
_ZN12tensorrt_llm7kernels32fusedQKNormRopeKernelNTokenHeadsIN3c104HalfES3_Li256ELb1ELi2EEEvPviiifPKvS6_S6_PKlii: ; @_ZN12tensorrt_llm7kernels32fusedQKNormRopeKernelNTokenHeadsIN3c104HalfES3_Li256ELb1ELi2EEEvPviiifPKvS6_S6_PKlii
; %bb.0:
	s_load_dwordx4 s[12:15], s[4:5], 0x8
	s_load_dwordx2 s[16:17], s[4:5], 0x38
	s_load_dword s1, s[4:5], 0x4c
	v_lshrrev_b32_e32 v1, 5, v0
	s_waitcnt lgkmcnt(0)
	s_add_i32 s0, s13, s12
	s_add_i32 s2, s0, 1
	s_lshr_b32 s3, s2, 31
	s_add_i32 s2, s2, s3
	s_ashr_i32 s20, s2, 1
	s_abs_i32 s2, s20
	v_cvt_f32_u32_e32 v2, s2
	s_bfe_u32 s1, s1, 0xb0005
	s_mul_i32 s6, s6, s1
	s_sub_i32 s3, 0, s2
	v_rcp_iflag_f32_e32 v3, v2
	v_add_u32_e32 v2, s6, v1
	v_sub_u32_e32 v4, 0, v2
	v_max_i32_e32 v4, v2, v4
	v_mul_f32_e32 v3, 0x4f7ffffe, v3
	v_cvt_u32_f32_e32 v3, v3
	v_xor_b32_e32 v5, s20, v2
	v_ashrrev_i32_e32 v5, 31, v5
	v_mul_lo_u32 v6, s3, v3
	v_mul_hi_u32 v6, v3, v6
	v_add_u32_e32 v3, v3, v6
	v_mul_hi_u32 v3, v4, v3
	v_mul_lo_u32 v6, v3, s2
	v_sub_u32_e32 v4, v4, v6
	v_add_u32_e32 v6, 1, v3
	v_cmp_le_u32_e32 vcc, s2, v4
	v_cndmask_b32_e32 v3, v3, v6, vcc
	v_subrev_u32_e32 v6, s2, v4
	v_cndmask_b32_e32 v4, v4, v6, vcc
	v_add_u32_e32 v6, 1, v3
	v_cmp_le_u32_e32 vcc, s2, v4
	v_cndmask_b32_e32 v3, v3, v6, vcc
	v_xor_b32_e32 v3, v3, v5
	v_sub_u32_e32 v8, v3, v5
	v_cmp_gt_i32_e32 vcc, s16, v8
	s_and_saveexec_b64 s[2:3], vcc
	s_cbranch_execz .LBB34_12
; %bb.1:
	v_mul_lo_u32 v3, v8, s20
	v_sub_u32_e32 v3, v2, v3
	s_load_dwordx2 s[2:3], s[4:5], 0x0
	v_lshlrev_b32_e32 v18, 1, v3
	v_add_u32_e32 v3, 2, v18
	v_sub_u32_e32 v4, s0, v18
	v_cmp_lt_i32_e32 vcc, s0, v3
	v_and_b32_e32 v10, 31, v0
	v_cndmask_b32_e32 v19, 2, v4, vcc
	s_lshl_b32 s18, s17, 1
	s_mul_i32 s16, s18, s1
	v_lshlrev_b32_e32 v13, 10, v1
	v_cmp_lt_i32_e64 s[0:1], 0, v19
	v_lshlrev_b32_e32 v12, 4, v10
	v_lshlrev_b32_e32 v11, 9, v2
	s_and_saveexec_b64 s[6:7], s[0:1]
	s_cbranch_execz .LBB34_4
; %bb.2:
	s_add_i32 s8, s16, 0
	v_add3_u32 v4, s8, v13, v12
	s_add_i32 s8, s14, s13
	s_add_i32 s8, s8, s12
	s_lshl_b32 s9, s20, 1
	s_sub_i32 s8, s8, s9
	v_mul_lo_u32 v2, s8, v8
	v_lshl_add_u32 v2, v2, 8, v11
	s_mov_b32 s10, 0
	v_lshl_or_b32 v2, v10, 3, v2
	s_mov_b64 s[8:9], 0
	s_waitcnt lgkmcnt(0)
	v_mov_b32_e32 v5, s3
.LBB34_3:                               ; =>This Inner Loop Header: Depth=1
	v_ashrrev_i32_e32 v3, 31, v2
	v_lshlrev_b64 v[6:7], 1, v[2:3]
	v_add_co_u32_e32 v6, vcc, s2, v6
	v_addc_co_u32_e32 v7, vcc, v5, v7, vcc
	global_load_dwordx4 v[14:17], v[6:7], off
	s_add_i32 s10, s10, 1
	v_cmp_ge_i32_e32 vcc, s10, v19
	v_add_u32_e32 v2, 0x100, v2
	s_or_b64 s[8:9], vcc, s[8:9]
	s_waitcnt vmcnt(0)
	ds_write_b128 v4, v[14:17]
	v_add_u32_e32 v4, 0x200, v4
	s_andn2_b64 exec, exec, s[8:9]
	s_cbranch_execnz .LBB34_3
.LBB34_4:
	s_or_b64 exec, exec, s[6:7]
	s_add_i32 s18, s18, 15
	s_load_dwordx8 s[4:11], s[4:5], 0x18
	s_ashr_i32 s19, s18, 31
	s_lshr_b32 s19, s19, 28
	s_add_i32 s18, s18, s19
	s_ashr_i32 s21, s18, 4
	v_mul_lo_u32 v1, v1, s17
	v_cmp_gt_i32_e32 vcc, s21, v10
	v_lshlrev_b32_e32 v14, 1, v1
	s_and_saveexec_b64 s[18:19], vcc
	s_cbranch_execz .LBB34_7
; %bb.5:
	v_ashrrev_i32_e32 v9, 31, v8
	v_lshlrev_b64 v[2:3], 3, v[8:9]
	s_waitcnt lgkmcnt(0)
	v_mov_b32_e32 v1, s11
	v_add_co_u32_e32 v2, vcc, s10, v2
	v_addc_co_u32_e32 v3, vcc, v1, v3, vcc
	global_load_dwordx2 v[4:5], v[2:3], off
	s_ashr_i32 s22, s17, 31
	v_and_b32_e32 v0, 31, v0
	v_lshlrev_b32_e32 v6, 4, v0
	v_mov_b32_e32 v3, s9
	v_add3_u32 v2, v14, v12, 0
	s_mov_b64 s[10:11], 0
	s_waitcnt vmcnt(0)
	v_mul_lo_u32 v5, v5, s17
	v_mul_lo_u32 v7, v4, s22
	v_mad_u64_u32 v[0:1], s[22:23], v4, s17, 0
	v_add3_u32 v1, v1, v7, v5
	v_lshlrev_b64 v[0:1], 1, v[0:1]
	v_add_co_u32_e32 v0, vcc, v0, v6
	v_addc_co_u32_e32 v1, vcc, 0, v1, vcc
	v_add_co_u32_e32 v0, vcc, s8, v0
	v_addc_co_u32_e32 v1, vcc, v3, v1, vcc
	v_mov_b32_e32 v3, v10
.LBB34_6:                               ; =>This Inner Loop Header: Depth=1
	global_load_dwordx4 v[4:7], v[0:1], off
	v_add_co_u32_e32 v0, vcc, 0x200, v0
	v_add_u32_e32 v3, 32, v3
	v_addc_co_u32_e32 v1, vcc, 0, v1, vcc
	v_cmp_le_i32_e32 vcc, s21, v3
	s_or_b64 s[10:11], vcc, s[10:11]
	s_waitcnt vmcnt(0)
	ds_write_b128 v2, v[4:7]
	v_add_u32_e32 v2, 0x200, v2
	s_andn2_b64 exec, exec, s[10:11]
	s_cbranch_execnz .LBB34_6
.LBB34_7:
	s_or_b64 exec, exec, s[18:19]
	s_and_b64 exec, exec, s[0:1]
	s_cbranch_execz .LBB34_12
; %bb.8:
	s_waitcnt lgkmcnt(0)
	global_load_dwordx4 v[0:3], v12, s[4:5]
	global_load_dwordx4 v[4:7], v12, s[6:7]
	v_mbcnt_lo_u32_b32 v15, -1, 0
	v_add_u32_e32 v13, s16, v13
	v_mbcnt_hi_u32_b32 v15, -1, v15
	v_add3_u32 v22, v13, v12, 0
	v_and_b32_e32 v12, 0x60, v15
	v_lshlrev_b32_e32 v9, 3, v10
	v_xor_b32_e32 v13, 16, v15
	v_add_u32_e32 v12, 32, v12
	v_add3_u32 v21, 0, v14, v9
	v_xor_b32_e32 v14, 8, v15
	v_cmp_lt_i32_e32 vcc, v13, v12
	s_add_i32 s8, s14, s13
	v_xor_b32_e32 v16, 4, v15
	v_cndmask_b32_e32 v13, v15, v13, vcc
	v_cmp_lt_i32_e32 vcc, v14, v12
	s_ashr_i32 s1, s17, 31
	s_lshl_b32 s9, s20, 1
	s_add_i32 s8, s8, s12
	v_xor_b32_e32 v17, 2, v15
	v_cndmask_b32_e32 v14, v15, v14, vcc
	v_cmp_lt_i32_e32 vcc, v16, v12
	s_lshr_b32 s0, s17, 31
	s_lshr_b32 s1, s1, 29
	v_xor_b32_e32 v24, 1, v15
	s_sub_i32 s8, s8, s9
	v_cndmask_b32_e32 v16, v15, v16, vcc
	v_cmp_lt_i32_e32 vcc, v17, v12
	s_add_i32 s0, s17, s0
	s_add_i32 s1, s17, s1
	v_mul_lo_u32 v8, s8, v8
	v_cndmask_b32_e32 v17, v15, v17, vcc
	v_cmp_lt_i32_e32 vcc, v24, v12
	s_and_b32 s0, s0, -2
	s_ashr_i32 s1, s1, 3
	v_cndmask_b32_e32 v12, v15, v24, vcc
	v_lshl_add_u32 v8, v8, 8, v11
	s_mov_b32 s6, 0
	s_mov_b64 s[4:5], 0
	v_mov_b32_e32 v20, s15
	s_mov_b32 s7, 0x800000
	v_add_u32_e32 v23, s0, v21
	v_cmp_gt_i32_e32 vcc, s1, v10
	v_lshlrev_b32_e32 v24, 2, v13
	v_lshlrev_b32_e32 v25, 2, v14
	;; [unrolled: 1-line block ×5, first 2 shown]
	v_or_b32_e32 v8, v8, v9
	s_waitcnt vmcnt(1)
	v_lshrrev_b32_e32 v29, 16, v0
	s_waitcnt vmcnt(0)
	v_lshrrev_b32_e32 v30, 16, v4
	v_lshrrev_b32_e32 v31, 16, v1
	;; [unrolled: 1-line block ×7, first 2 shown]
	s_branch .LBB34_10
.LBB34_9:                               ;   in Loop: Header=BB34_10 Depth=1
	s_or_b64 exec, exec, s[0:1]
	v_ashrrev_i32_e32 v9, 31, v8
	v_cvt_f16_f32_e32 v37, v10
	v_cvt_f16_f32_e32 v38, v11
	;; [unrolled: 1-line block ×8, first 2 shown]
	v_lshlrev_b64 v[10:11], 1, v[8:9]
	v_mov_b32_e32 v9, s3
	v_add_co_u32_e64 v14, s[0:1], s2, v10
	v_addc_co_u32_e64 v15, s[0:1], v9, v11, s[0:1]
	s_add_i32 s6, s6, 1
	v_cmp_ge_i32_e64 s[0:1], s6, v19
	v_pack_b32_f16 v13, v13, v16
	v_pack_b32_f16 v12, v12, v41
	;; [unrolled: 1-line block ×4, first 2 shown]
	v_add_u32_e32 v8, 0x100, v8
	s_or_b64 s[4:5], s[0:1], s[4:5]
	v_add_u32_e32 v22, 0x200, v22
	global_store_dwordx4 v[14:15], v[10:13], off
	s_andn2_b64 exec, exec, s[4:5]
	s_cbranch_execz .LBB34_12
.LBB34_10:                              ; =>This Inner Loop Header: Depth=1
	ds_read_b128 v[10:13], v22
	v_mov_b32_e32 v37, v20
	s_waitcnt lgkmcnt(0)
	v_cvt_f32_f16_sdwa v15, v10 dst_sel:DWORD dst_unused:UNUSED_PAD src0_sel:WORD_1
	v_cvt_f32_f16_e32 v14, v10
	v_cvt_f32_f16_sdwa v39, v11 dst_sel:DWORD dst_unused:UNUSED_PAD src0_sel:WORD_1
	v_cvt_f32_f16_e32 v38, v11
	;; [unrolled: 2-line block ×4, first 2 shown]
	v_pk_mul_f32 v[12:13], v[14:15], v[14:15]
	v_pk_mul_f32 v[42:43], v[38:39], v[38:39]
	v_add_f32_e32 v9, v12, v13
	v_add_f32_e32 v9, v9, v42
	v_pk_mul_f32 v[44:45], v[40:41], v[40:41]
	v_add_f32_e32 v9, v9, v43
	v_add_f32_e32 v9, v9, v44
	;; [unrolled: 3-line block ×3, first 2 shown]
	v_add_f32_e32 v9, v9, v11
	ds_bpermute_b32 v10, v24, v9
	v_add_u32_e32 v11, s6, v18
	v_cmp_gt_i32_e64 s[0:1], s12, v11
	v_cndmask_b32_e64 v11, v30, v29, s[0:1]
	v_cndmask_b32_e64 v12, v4, v0, s[0:1]
	s_waitcnt lgkmcnt(0)
	v_add_f32_e32 v9, v9, v10
	ds_bpermute_b32 v10, v25, v9
	v_cndmask_b32_e64 v13, v32, v31, s[0:1]
	v_cndmask_b32_e64 v42, v5, v1, s[0:1]
	;; [unrolled: 1-line block ×4, first 2 shown]
	s_waitcnt lgkmcnt(0)
	v_add_f32_e32 v9, v9, v10
	ds_bpermute_b32 v10, v26, v9
	v_cndmask_b32_e64 v45, v36, v35, s[0:1]
	v_cndmask_b32_e64 v47, v7, v3, s[0:1]
	v_cvt_f32_f16_e32 v11, v11
	v_cvt_f32_f16_e32 v13, v13
	s_waitcnt lgkmcnt(0)
	v_add_f32_e32 v9, v9, v10
	ds_bpermute_b32 v10, v27, v9
	v_cvt_f32_f16_e32 v43, v43
	v_cvt_f32_f16_e32 v45, v45
	s_waitcnt lgkmcnt(0)
	v_add_f32_e32 v9, v9, v10
	ds_bpermute_b32 v46, v28, v9
	v_cvt_f32_f16_e32 v10, v12
	v_cvt_f32_f16_e32 v12, v42
	;; [unrolled: 1-line block ×4, first 2 shown]
	s_waitcnt lgkmcnt(0)
	v_add_f32_e32 v9, v9, v46
	v_fmac_f32_e32 v37, 0x3b800000, v9
	v_mul_f32_e32 v9, 0x4b800000, v37
	v_cmp_gt_f32_e64 s[0:1], s7, v37
	v_cndmask_b32_e64 v9, v37, v9, s[0:1]
	v_rsq_f32_e32 v9, v9
	v_mul_f32_e32 v37, 0x45800000, v9
	v_cndmask_b32_e64 v46, v9, v37, s[0:1]
	v_pk_mul_f32 v[10:11], v[46:47], v[10:11] op_sel_hi:[0,1]
	v_pk_mul_f32 v[12:13], v[46:47], v[12:13] op_sel_hi:[0,1]
	v_pk_mul_f32 v[10:11], v[10:11], v[14:15]
	v_pk_mul_f32 v[12:13], v[12:13], v[38:39]
	v_pk_mul_f32 v[14:15], v[46:47], v[42:43] op_sel_hi:[0,1]
	v_pk_mul_f32 v[38:39], v[46:47], v[44:45] op_sel_hi:[0,1]
	v_pk_mul_f32 v[14:15], v[14:15], v[40:41]
	v_pk_mul_f32 v[16:17], v[38:39], v[16:17]
	s_and_saveexec_b64 s[0:1], vcc
	s_cbranch_execz .LBB34_9
; %bb.11:                               ;   in Loop: Header=BB34_10 Depth=1
	ds_read_b64 v[38:39], v21
	ds_read_b64 v[40:41], v23
	s_waitcnt lgkmcnt(1)
	v_cvt_f32_f16_e32 v42, v38
	s_waitcnt lgkmcnt(0)
	v_cvt_f32_f16_e32 v44, v40
	v_cvt_f32_f16_sdwa v40, v40 dst_sel:DWORD dst_unused:UNUSED_PAD src0_sel:WORD_1
	v_cvt_f32_f16_sdwa v38, v38 dst_sel:DWORD dst_unused:UNUSED_PAD src0_sel:WORD_1
	v_cvt_f32_f16_e32 v46, v41
	v_pk_mul_f32 v[44:45], v[10:11], v[44:45] op_sel_hi:[1,0]
	v_pk_mul_f32 v[48:49], v[10:11], v[42:43] op_sel_hi:[1,0]
	v_pk_mul_f32 v[50:51], v[12:13], v[40:41] op_sel_hi:[1,0]
	v_pk_fma_f32 v[10:11], v[10:11], v[42:43], v[44:45] op_sel:[0,0,1] op_sel_hi:[1,0,0]
	v_pk_fma_f32 v[42:43], v[12:13], v[38:39], v[50:51] op_sel:[0,0,1] op_sel_hi:[1,0,0] neg_lo:[0,0,1] neg_hi:[0,0,1]
	v_cvt_f32_f16_e32 v10, v39
	v_pk_fma_f32 v[12:13], v[12:13], v[38:39], v[50:51] op_sel:[0,0,1] op_sel_hi:[1,0,0]
	v_cvt_f32_f16_sdwa v39, v39 dst_sel:DWORD dst_unused:UNUSED_PAD src0_sel:WORD_1
	v_cvt_f32_f16_sdwa v38, v41 dst_sel:DWORD dst_unused:UNUSED_PAD src0_sel:WORD_1
	v_pk_mul_f32 v[46:47], v[14:15], v[46:47] op_sel_hi:[1,0]
	v_mov_b32_e32 v12, v17
	v_pk_fma_f32 v[50:51], v[14:15], v[10:11], v[46:47] op_sel:[0,0,1] op_sel_hi:[1,0,0] neg_lo:[0,0,1] neg_hi:[0,0,1]
	v_pk_fma_f32 v[14:15], v[14:15], v[10:11], v[46:47] op_sel:[0,0,1] op_sel_hi:[1,0,0]
	v_mov_b32_e32 v10, v39
	v_pk_mul_f32 v[40:41], v[12:13], v[38:39]
	v_pk_mul_f32 v[46:47], v[16:17], v[38:39]
	v_pk_fma_f32 v[40:41], v[16:17], v[10:11], v[40:41] op_sel_hi:[1,0,1] neg_lo:[0,0,1] neg_hi:[0,0,1]
	v_mov_b32_e32 v10, v47
	v_pk_fma_f32 v[38:39], v[16:17], v[38:39], v[10:11]
	v_sub_f32_e32 v10, v48, v45
	v_mov_b32_e32 v12, v42
	v_mov_b32_e32 v14, v50
	v_mov_b32_e32 v16, v40
	v_mov_b32_e32 v17, v38
	s_branch .LBB34_9
.LBB34_12:
	s_endpgm
	.section	.rodata,"a",@progbits
	.p2align	6, 0x0
	.amdhsa_kernel _ZN12tensorrt_llm7kernels32fusedQKNormRopeKernelNTokenHeadsIN3c104HalfES3_Li256ELb1ELi2EEEvPviiifPKvS6_S6_PKlii
		.amdhsa_group_segment_fixed_size 0
		.amdhsa_private_segment_fixed_size 0
		.amdhsa_kernarg_size 320
		.amdhsa_user_sgpr_count 6
		.amdhsa_user_sgpr_private_segment_buffer 1
		.amdhsa_user_sgpr_dispatch_ptr 0
		.amdhsa_user_sgpr_queue_ptr 0
		.amdhsa_user_sgpr_kernarg_segment_ptr 1
		.amdhsa_user_sgpr_dispatch_id 0
		.amdhsa_user_sgpr_flat_scratch_init 0
		.amdhsa_user_sgpr_kernarg_preload_length 0
		.amdhsa_user_sgpr_kernarg_preload_offset 0
		.amdhsa_user_sgpr_private_segment_size 0
		.amdhsa_uses_dynamic_stack 0
		.amdhsa_system_sgpr_private_segment_wavefront_offset 0
		.amdhsa_system_sgpr_workgroup_id_x 1
		.amdhsa_system_sgpr_workgroup_id_y 0
		.amdhsa_system_sgpr_workgroup_id_z 0
		.amdhsa_system_sgpr_workgroup_info 0
		.amdhsa_system_vgpr_workitem_id 0
		.amdhsa_next_free_vgpr 52
		.amdhsa_next_free_sgpr 24
		.amdhsa_accum_offset 52
		.amdhsa_reserve_vcc 1
		.amdhsa_reserve_flat_scratch 0
		.amdhsa_float_round_mode_32 0
		.amdhsa_float_round_mode_16_64 0
		.amdhsa_float_denorm_mode_32 3
		.amdhsa_float_denorm_mode_16_64 3
		.amdhsa_dx10_clamp 1
		.amdhsa_ieee_mode 1
		.amdhsa_fp16_overflow 0
		.amdhsa_tg_split 0
		.amdhsa_exception_fp_ieee_invalid_op 0
		.amdhsa_exception_fp_denorm_src 0
		.amdhsa_exception_fp_ieee_div_zero 0
		.amdhsa_exception_fp_ieee_overflow 0
		.amdhsa_exception_fp_ieee_underflow 0
		.amdhsa_exception_fp_ieee_inexact 0
		.amdhsa_exception_int_div_zero 0
	.end_amdhsa_kernel
	.section	.text._ZN12tensorrt_llm7kernels32fusedQKNormRopeKernelNTokenHeadsIN3c104HalfES3_Li256ELb1ELi2EEEvPviiifPKvS6_S6_PKlii,"axG",@progbits,_ZN12tensorrt_llm7kernels32fusedQKNormRopeKernelNTokenHeadsIN3c104HalfES3_Li256ELb1ELi2EEEvPviiifPKvS6_S6_PKlii,comdat
.Lfunc_end34:
	.size	_ZN12tensorrt_llm7kernels32fusedQKNormRopeKernelNTokenHeadsIN3c104HalfES3_Li256ELb1ELi2EEEvPviiifPKvS6_S6_PKlii, .Lfunc_end34-_ZN12tensorrt_llm7kernels32fusedQKNormRopeKernelNTokenHeadsIN3c104HalfES3_Li256ELb1ELi2EEEvPviiifPKvS6_S6_PKlii
                                        ; -- End function
	.section	.AMDGPU.csdata,"",@progbits
; Kernel info:
; codeLenInByte = 1772
; NumSgprs: 28
; NumVgprs: 52
; NumAgprs: 0
; TotalNumVgprs: 52
; ScratchSize: 0
; MemoryBound: 0
; FloatMode: 240
; IeeeMode: 1
; LDSByteSize: 0 bytes/workgroup (compile time only)
; SGPRBlocks: 3
; VGPRBlocks: 6
; NumSGPRsForWavesPerEU: 28
; NumVGPRsForWavesPerEU: 52
; AccumOffset: 52
; Occupancy: 8
; WaveLimiterHint : 0
; COMPUTE_PGM_RSRC2:SCRATCH_EN: 0
; COMPUTE_PGM_RSRC2:USER_SGPR: 6
; COMPUTE_PGM_RSRC2:TRAP_HANDLER: 0
; COMPUTE_PGM_RSRC2:TGID_X_EN: 1
; COMPUTE_PGM_RSRC2:TGID_Y_EN: 0
; COMPUTE_PGM_RSRC2:TGID_Z_EN: 0
; COMPUTE_PGM_RSRC2:TIDIG_COMP_CNT: 0
; COMPUTE_PGM_RSRC3_GFX90A:ACCUM_OFFSET: 12
; COMPUTE_PGM_RSRC3_GFX90A:TG_SPLIT: 0
	.section	.text._ZN12tensorrt_llm7kernels32fusedQKNormRopeKernelNTokenHeadsIN3c104HalfES3_Li256ELb0ELi2EEEvPviiifPKvS6_S6_PKlii,"axG",@progbits,_ZN12tensorrt_llm7kernels32fusedQKNormRopeKernelNTokenHeadsIN3c104HalfES3_Li256ELb0ELi2EEEvPviiifPKvS6_S6_PKlii,comdat
	.protected	_ZN12tensorrt_llm7kernels32fusedQKNormRopeKernelNTokenHeadsIN3c104HalfES3_Li256ELb0ELi2EEEvPviiifPKvS6_S6_PKlii ; -- Begin function _ZN12tensorrt_llm7kernels32fusedQKNormRopeKernelNTokenHeadsIN3c104HalfES3_Li256ELb0ELi2EEEvPviiifPKvS6_S6_PKlii
	.globl	_ZN12tensorrt_llm7kernels32fusedQKNormRopeKernelNTokenHeadsIN3c104HalfES3_Li256ELb0ELi2EEEvPviiifPKvS6_S6_PKlii
	.p2align	8
	.type	_ZN12tensorrt_llm7kernels32fusedQKNormRopeKernelNTokenHeadsIN3c104HalfES3_Li256ELb0ELi2EEEvPviiifPKvS6_S6_PKlii,@function
_ZN12tensorrt_llm7kernels32fusedQKNormRopeKernelNTokenHeadsIN3c104HalfES3_Li256ELb0ELi2EEEvPviiifPKvS6_S6_PKlii: ; @_ZN12tensorrt_llm7kernels32fusedQKNormRopeKernelNTokenHeadsIN3c104HalfES3_Li256ELb0ELi2EEEvPviiifPKvS6_S6_PKlii
; %bb.0:
	s_load_dwordx4 s[12:15], s[4:5], 0x8
	s_load_dwordx2 s[2:3], s[4:5], 0x38
	s_load_dword s1, s[4:5], 0x4c
	v_lshrrev_b32_e32 v1, 5, v0
	s_waitcnt lgkmcnt(0)
	s_add_i32 s0, s13, s12
	s_add_i32 s7, s0, 1
	s_lshr_b32 s8, s7, 31
	s_add_i32 s7, s7, s8
	s_ashr_i32 s20, s7, 1
	s_abs_i32 s7, s20
	v_cvt_f32_u32_e32 v2, s7
	s_bfe_u32 s1, s1, 0xb0005
	s_mul_i32 s6, s6, s1
	v_rcp_iflag_f32_e32 v3, v2
	v_add_u32_e32 v2, s6, v1
	s_sub_i32 s6, 0, s7
	v_sub_u32_e32 v4, 0, v2
	v_mul_f32_e32 v3, 0x4f7ffffe, v3
	v_cvt_u32_f32_e32 v3, v3
	v_max_i32_e32 v4, v2, v4
	v_xor_b32_e32 v5, s20, v2
	v_ashrrev_i32_e32 v5, 31, v5
	v_mul_lo_u32 v6, s6, v3
	v_mul_hi_u32 v6, v3, v6
	v_add_u32_e32 v3, v3, v6
	v_mul_hi_u32 v3, v4, v3
	v_mul_lo_u32 v6, v3, s7
	v_sub_u32_e32 v4, v4, v6
	v_add_u32_e32 v6, 1, v3
	v_cmp_le_u32_e32 vcc, s7, v4
	v_cndmask_b32_e32 v3, v3, v6, vcc
	v_subrev_u32_e32 v6, s7, v4
	v_cndmask_b32_e32 v4, v4, v6, vcc
	v_add_u32_e32 v6, 1, v3
	v_cmp_le_u32_e32 vcc, s7, v4
	v_cndmask_b32_e32 v3, v3, v6, vcc
	v_xor_b32_e32 v3, v3, v5
	v_sub_u32_e32 v8, v3, v5
	v_cmp_gt_i32_e32 vcc, s2, v8
	s_and_saveexec_b64 s[6:7], vcc
	s_cbranch_execz .LBB35_12
; %bb.1:
	v_mul_lo_u32 v3, v8, s20
	v_sub_u32_e32 v3, v2, v3
	s_load_dwordx2 s[16:17], s[4:5], 0x0
	v_lshlrev_b32_e32 v10, 1, v3
	v_add_u32_e32 v3, 2, v10
	v_sub_u32_e32 v4, s0, v10
	v_cmp_lt_i32_e32 vcc, s0, v3
	v_and_b32_e32 v23, 31, v0
	v_cndmask_b32_e32 v11, 2, v4, vcc
	s_lshl_b32 s2, s3, 1
	s_mul_i32 s21, s2, s1
	v_lshlrev_b32_e32 v29, 10, v1
	v_cmp_lt_i32_e64 s[0:1], 0, v11
	v_lshlrev_b32_e32 v30, 4, v23
	v_lshlrev_b32_e32 v31, 9, v2
	s_and_saveexec_b64 s[6:7], s[0:1]
	s_cbranch_execz .LBB35_4
; %bb.2:
	s_add_i32 s8, s21, 0
	v_add3_u32 v4, s8, v29, v30
	s_add_i32 s8, s14, s13
	s_add_i32 s8, s8, s12
	s_lshl_b32 s9, s20, 1
	s_sub_i32 s8, s8, s9
	v_mul_lo_u32 v2, s8, v8
	v_lshl_add_u32 v2, v2, 8, v31
	s_mov_b32 s10, 0
	v_lshl_or_b32 v2, v23, 3, v2
	s_mov_b64 s[8:9], 0
	s_waitcnt lgkmcnt(0)
	v_mov_b32_e32 v5, s17
.LBB35_3:                               ; =>This Inner Loop Header: Depth=1
	v_ashrrev_i32_e32 v3, 31, v2
	v_lshlrev_b64 v[6:7], 1, v[2:3]
	v_add_co_u32_e32 v6, vcc, s16, v6
	v_addc_co_u32_e32 v7, vcc, v5, v7, vcc
	global_load_dwordx4 v[12:15], v[6:7], off
	s_add_i32 s10, s10, 1
	v_cmp_ge_i32_e32 vcc, s10, v11
	v_add_u32_e32 v2, 0x100, v2
	s_or_b64 s[8:9], vcc, s[8:9]
	s_waitcnt vmcnt(0)
	ds_write_b128 v4, v[12:15]
	v_add_u32_e32 v4, 0x200, v4
	s_andn2_b64 exec, exec, s[8:9]
	s_cbranch_execnz .LBB35_3
.LBB35_4:
	s_or_b64 exec, exec, s[6:7]
	s_add_i32 s2, s2, 15
	s_load_dwordx8 s[4:11], s[4:5], 0x18
	s_ashr_i32 s18, s2, 31
	s_lshr_b32 s18, s18, 28
	s_add_i32 s2, s2, s18
	s_ashr_i32 s2, s2, 4
	v_cmp_gt_i32_e32 vcc, s2, v23
	v_mul_lo_u32 v12, v1, s3
	s_and_saveexec_b64 s[18:19], vcc
	s_cbranch_execz .LBB35_7
; %bb.5:
	v_ashrrev_i32_e32 v9, 31, v8
	v_lshlrev_b64 v[2:3], 3, v[8:9]
	s_waitcnt lgkmcnt(0)
	v_mov_b32_e32 v1, s11
	v_add_co_u32_e32 v2, vcc, s10, v2
	v_addc_co_u32_e32 v3, vcc, v1, v3, vcc
	global_load_dwordx2 v[4:5], v[2:3], off
	s_ashr_i32 s22, s3, 31
	v_lshlrev_b32_e32 v1, 1, v12
	v_and_b32_e32 v0, 31, v0
	v_add3_u32 v2, v1, v30, 0
	v_lshlrev_b32_e32 v6, 4, v0
	v_mov_b32_e32 v3, s9
	s_mov_b64 s[10:11], 0
	s_waitcnt vmcnt(0)
	v_mul_lo_u32 v5, v5, s3
	v_mul_lo_u32 v7, v4, s22
	v_mad_u64_u32 v[0:1], s[22:23], v4, s3, 0
	v_add3_u32 v1, v1, v7, v5
	v_lshlrev_b64 v[0:1], 1, v[0:1]
	v_add_co_u32_e32 v0, vcc, v0, v6
	v_addc_co_u32_e32 v1, vcc, 0, v1, vcc
	v_add_co_u32_e32 v0, vcc, s8, v0
	v_addc_co_u32_e32 v1, vcc, v3, v1, vcc
	v_mov_b32_e32 v3, v23
.LBB35_6:                               ; =>This Inner Loop Header: Depth=1
	global_load_dwordx4 v[4:7], v[0:1], off
	v_add_co_u32_e32 v0, vcc, 0x200, v0
	v_add_u32_e32 v3, 32, v3
	v_addc_co_u32_e32 v1, vcc, 0, v1, vcc
	v_cmp_le_i32_e32 vcc, s2, v3
	s_or_b64 s[10:11], vcc, s[10:11]
	s_waitcnt vmcnt(0)
	ds_write_b128 v2, v[4:7]
	v_add_u32_e32 v2, 0x200, v2
	s_andn2_b64 exec, exec, s[10:11]
	s_cbranch_execnz .LBB35_6
.LBB35_7:
	s_or_b64 exec, exec, s[18:19]
	s_and_b64 exec, exec, s[0:1]
	s_cbranch_execz .LBB35_12
; %bb.8:
	s_waitcnt lgkmcnt(0)
	global_load_dwordx4 v[0:3], v30, s[4:5]
	global_load_dwordx4 v[4:7], v30, s[6:7]
	v_lshl_add_u32 v9, v12, 1, 0
	v_mbcnt_lo_u32_b32 v12, -1, 0
	s_abs_i32 s4, s3
	v_mbcnt_hi_u32_b32 v17, -1, v12
	v_cvt_f32_u32_e32 v14, s4
	v_and_b32_e32 v12, 0x60, v17
	v_xor_b32_e32 v13, 16, v17
	v_add_u32_e32 v12, 32, v12
	v_xor_b32_e32 v15, 8, v17
	v_cmp_lt_i32_e32 vcc, v13, v12
	v_xor_b32_e32 v16, 4, v17
	v_cndmask_b32_e32 v13, v17, v13, vcc
	v_cmp_lt_i32_e32 vcc, v15, v12
	v_rcp_iflag_f32_e32 v22, v14
	v_xor_b32_e32 v18, 2, v17
	v_cndmask_b32_e32 v15, v17, v15, vcc
	v_cmp_lt_i32_e32 vcc, v16, v12
	v_cndmask_b32_e32 v16, v17, v16, vcc
	v_cmp_lt_i32_e32 vcc, v18, v12
	v_xor_b32_e32 v19, 1, v17
	v_cndmask_b32_e32 v18, v17, v18, vcc
	v_cmp_lt_i32_e32 vcc, v19, v12
	v_lshlrev_b32_e32 v12, 2, v13
	v_lshlrev_b32_e32 v13, 2, v15
	;; [unrolled: 1-line block ×3, first 2 shown]
	v_mul_f32_e32 v18, 0x4f7ffffe, v22
	v_cvt_u32_f32_e32 v18, v18
	s_sub_i32 s5, 0, s4
	v_cndmask_b32_e32 v19, v17, v19, vcc
	s_ashr_i32 s1, s3, 31
	v_lshlrev_b32_e32 v14, 2, v16
	v_lshlrev_b32_e32 v16, 2, v19
	v_mul_lo_u32 v19, s5, v18
	s_lshr_b32 s2, s1, 29
	s_lshr_b32 s1, s1, 28
	v_mul_hi_u32 v19, v18, v19
	s_lshr_b32 s0, s3, 31
	s_add_i32 s1, s3, s1
	v_add_u32_e32 v46, v18, v19
	s_add_i32 s0, s3, s0
	v_and_b32_e32 v20, 64, v17
	s_ashr_i32 s1, s1, 4
	v_mul_hi_u32 v18, v30, v46
	s_and_b32 s0, s0, -2
	s_add_i32 s2, s3, s2
	v_add_u32_e32 v20, 64, v20
	v_xor_b32_e32 v21, s1, v17
	v_mul_lo_u32 v18, v18, s4
	v_or_b32_e32 v32, 2, v30
	v_add_u32_e32 v45, s0, v9
	s_ashr_i32 s0, s2, 3
	v_cmp_lt_i32_e64 s[2:3], v21, v20
	v_sub_u32_e32 v18, v30, v18
	v_cndmask_b32_e64 v17, v17, v21, s[2:3]
	v_subrev_u32_e32 v19, s4, v18
	v_cmp_le_u32_e64 s[2:3], s4, v18
	v_mul_hi_u32 v33, v32, v46
	v_cndmask_b32_e64 v18, v18, v19, s[2:3]
	v_mul_lo_u32 v33, v33, s4
	v_or_b32_e32 v34, 4, v30
	v_subrev_u32_e32 v19, s4, v18
	v_cmp_le_u32_e64 s[2:3], s4, v18
	v_sub_u32_e32 v32, v32, v33
	v_cndmask_b32_e64 v18, v18, v19, s[2:3]
	v_subrev_u32_e32 v33, s4, v32
	v_cmp_le_u32_e64 s[2:3], s4, v32
	v_mul_hi_u32 v35, v34, v46
	v_cndmask_b32_e64 v32, v32, v33, s[2:3]
	v_mul_lo_u32 v35, v35, s4
	v_or_b32_e32 v36, 6, v30
	v_subrev_u32_e32 v33, s4, v32
	v_cmp_le_u32_e64 s[2:3], s4, v32
	;; [unrolled: 10-line block ×6, first 2 shown]
	v_sub_u32_e32 v42, v42, v43
	v_cndmask_b32_e64 v40, v40, v41, s[2:3]
	v_subrev_u32_e32 v43, s4, v42
	v_cmp_le_u32_e64 s[2:3], s4, v42
	v_mul_hi_u32 v46, v44, v46
	v_cndmask_b32_e64 v42, v42, v43, s[2:3]
	v_mul_lo_u32 v46, v46, s4
	v_subrev_u32_e32 v43, s4, v42
	v_cmp_le_u32_e64 s[2:3], s4, v42
	v_sub_u32_e32 v44, v44, v46
	v_cndmask_b32_e64 v42, v42, v43, s[2:3]
	v_subrev_u32_e32 v46, s4, v44
	v_cmp_le_u32_e64 s[2:3], s4, v44
	v_cndmask_b32_e64 v44, v44, v46, s[2:3]
	v_subrev_u32_e32 v46, s4, v44
	v_cmp_le_u32_e64 s[2:3], s4, v44
	v_cndmask_b32_e64 v44, v44, v46, s[2:3]
	s_add_i32 s2, s14, s13
	s_add_i32 s2, s2, s12
	s_lshl_b32 s3, s20, 1
	s_sub_i32 s2, s2, s3
	v_and_b32_e32 v28, -2, v18
	v_and_b32_e32 v33, -2, v32
	;; [unrolled: 1-line block ×8, first 2 shown]
	v_mul_lo_u32 v8, s2, v8
	v_add_u32_e32 v27, v9, v28
	v_add_u32_e32 v32, v9, v33
	;; [unrolled: 1-line block ×8, first 2 shown]
	v_lshl_add_u32 v8, v8, 8, v31
	v_add_u32_e32 v9, s21, v29
	s_mov_b32 s8, 0
	v_cmp_gt_i32_e32 vcc, s0, v23
	v_cmp_gt_i32_e64 s[0:1], s1, v23
	v_lshlrev_b32_e32 v17, 2, v17
	s_waitcnt vmcnt(1)
	v_lshrrev_b32_e32 v18, 16, v0
	v_lshrrev_b32_e32 v19, 16, v1
	;; [unrolled: 1-line block ×4, first 2 shown]
	s_waitcnt vmcnt(0)
	v_lshrrev_b32_e32 v22, 16, v4
	v_lshrrev_b32_e32 v24, 16, v5
	;; [unrolled: 1-line block ×4, first 2 shown]
	v_add_u32_e32 v28, v45, v28
	v_add_u32_e32 v33, v45, v33
	;; [unrolled: 1-line block ×8, first 2 shown]
	v_lshl_or_b32 v8, v23, 3, v8
	v_add3_u32 v23, v9, v30, 0
	s_mov_b64 s[6:7], 0
	s_mov_b32 s9, 0x800000
	s_branch .LBB35_10
.LBB35_9:                               ;   in Loop: Header=BB35_10 Depth=1
	s_or_b64 exec, exec, s[2:3]
	v_cvt_f16_f32_e32 v50, v9
	v_ashrrev_i32_e32 v9, 31, v8
	v_cvt_f16_f32_e32 v29, v29
	v_cvt_f16_f32_e32 v51, v30
	;; [unrolled: 1-line block ×7, first 2 shown]
	v_lshlrev_b64 v[30:31], 1, v[8:9]
	v_mov_b32_e32 v9, s17
	v_add_co_u32_e64 v30, s[2:3], s16, v30
	v_addc_co_u32_e64 v31, s[2:3], v9, v31, s[2:3]
	s_add_i32 s8, s8, 1
	v_cmp_ge_i32_e64 s[2:3], s8, v11
	v_pack_b32_f16 v49, v48, v49
	v_pack_b32_f16 v48, v46, v47
	v_pack_b32_f16 v47, v51, v52
	v_pack_b32_f16 v46, v50, v29
	v_add_u32_e32 v8, 0x100, v8
	s_or_b64 s[6:7], s[2:3], s[6:7]
	v_add_u32_e32 v23, 0x200, v23
	global_store_dwordx4 v[30:31], v[46:49], off
	s_andn2_b64 exec, exec, s[6:7]
	s_cbranch_execz .LBB35_12
.LBB35_10:                              ; =>This Inner Loop Header: Depth=1
	ds_read_b128 v[46:49], v23
	s_waitcnt lgkmcnt(0)
	v_cvt_f32_f16_sdwa v29, v46 dst_sel:DWORD dst_unused:UNUSED_PAD src0_sel:WORD_1
	v_cvt_f32_f16_sdwa v31, v47 dst_sel:DWORD dst_unused:UNUSED_PAD src0_sel:WORD_1
	v_cvt_f32_f16_e32 v30, v47
	v_cvt_f32_f16_sdwa v51, v48 dst_sel:DWORD dst_unused:UNUSED_PAD src0_sel:WORD_1
	v_cvt_f32_f16_e32 v50, v48
	v_mul_f32_e32 v9, v29, v29
	v_cvt_f32_f16_sdwa v53, v49 dst_sel:DWORD dst_unused:UNUSED_PAD src0_sel:WORD_1
	v_cvt_f32_f16_e32 v52, v49
	v_pk_mul_f32 v[48:49], v[30:31], v[30:31]
	v_fma_mix_f32 v9, v46, v46, v9 op_sel_hi:[1,1,0]
	v_add_f32_e32 v9, v9, v48
	v_add_f32_e32 v9, v9, v49
	v_pk_mul_f32 v[48:49], v[50:51], v[50:51]
	v_add_f32_e32 v9, v9, v48
	v_add_f32_e32 v9, v9, v49
	v_pk_mul_f32 v[48:49], v[52:53], v[52:53]
	v_add_f32_e32 v9, v9, v48
	v_add_f32_e32 v9, v9, v49
	ds_bpermute_b32 v47, v12, v9
	v_mov_b32_e32 v49, s15
	v_add_u32_e32 v48, s8, v10
	v_cmp_gt_i32_e64 s[2:3], s12, v48
	v_cndmask_b32_e64 v48, v4, v0, s[2:3]
	s_waitcnt lgkmcnt(0)
	v_add_f32_e32 v9, v9, v47
	ds_bpermute_b32 v47, v13, v9
	v_cndmask_b32_e64 v54, v22, v18, s[2:3]
	v_cvt_f32_f16_e32 v48, v48
	v_cvt_f32_f16_e32 v54, v54
	v_cndmask_b32_e64 v56, v24, v19, s[2:3]
	s_waitcnt lgkmcnt(0)
	v_add_f32_e32 v9, v9, v47
	ds_bpermute_b32 v47, v14, v9
	v_cndmask_b32_e64 v57, v6, v2, s[2:3]
	v_cndmask_b32_e64 v58, v25, v20, s[2:3]
	v_cvt_f32_f16_e32 v46, v46
	v_cndmask_b32_e64 v55, v5, v1, s[2:3]
	s_waitcnt lgkmcnt(0)
	v_add_f32_e32 v9, v9, v47
	ds_bpermute_b32 v47, v15, v9
	v_cvt_f32_f16_e32 v55, v55
	s_waitcnt lgkmcnt(0)
	v_add_f32_e32 v9, v9, v47
	ds_bpermute_b32 v47, v16, v9
	s_waitcnt lgkmcnt(0)
	v_add_f32_e32 v9, v9, v47
	v_fmac_f32_e32 v49, 0x3b800000, v9
	v_mul_f32_e32 v9, 0x4b800000, v49
	v_cmp_gt_f32_e64 s[4:5], s9, v49
	v_cndmask_b32_e64 v9, v49, v9, s[4:5]
	v_rsq_f32_e32 v9, v9
	v_cvt_f32_f16_e32 v47, v56
	v_cvt_f32_f16_e32 v49, v57
	v_mul_f32_e32 v56, 0x45800000, v9
	v_cndmask_b32_e64 v56, v9, v56, s[4:5]
	v_mul_f32_e32 v9, v56, v48
	v_mul_f32_e32 v48, v56, v54
	;; [unrolled: 1-line block ×3, first 2 shown]
	v_cvt_f32_f16_e32 v48, v58
	v_mul_f32_e32 v47, v56, v47
	v_mul_f32_e32 v9, v9, v46
	;; [unrolled: 1-line block ×5, first 2 shown]
	v_cndmask_b32_e64 v48, v7, v3, s[2:3]
	v_cndmask_b32_e64 v49, v26, v21, s[2:3]
	v_cvt_f32_f16_e32 v48, v48
	v_cvt_f32_f16_e32 v49, v49
	v_mul_f32_e32 v54, v56, v55
	v_mul_f32_e32 v30, v54, v30
	;; [unrolled: 1-line block ×8, first 2 shown]
	s_and_saveexec_b64 s[2:3], vcc
	s_cbranch_execz .LBB35_9
; %bb.11:                               ;   in Loop: Header=BB35_10 Depth=1
	ds_bpermute_b32 v50, v17, v9
	; wave barrier
	ds_read_u16 v51, v28
	ds_read_u16 v52, v32
	;; [unrolled: 1-line block ×7, first 2 shown]
	s_waitcnt lgkmcnt(6)
	v_cvt_f32_f16_e32 v51, v51
	ds_read_u16 v58, v27
	ds_bpermute_b32 v59, v17, v29
	v_cndmask_b32_e64 v50, v50, -v50, s[0:1]
	v_mul_f32_e32 v50, v50, v51
	s_waitcnt lgkmcnt(6)
	v_cvt_f32_f16_e32 v51, v53
	ds_bpermute_b32 v53, v17, v30
	s_waitcnt lgkmcnt(2)
	v_fma_mix_f32 v9, v9, v58, v50 op_sel_hi:[0,1,0]
	s_waitcnt lgkmcnt(1)
	v_cndmask_b32_e64 v50, v59, -v59, s[0:1]
	v_mul_f32_e32 v50, v50, v51
	v_fma_mix_f32 v29, v29, v52, v50 op_sel_hi:[0,1,0]
	v_cvt_f32_f16_e32 v50, v55
	ds_bpermute_b32 v51, v17, v31
	s_waitcnt lgkmcnt(1)
	v_cndmask_b32_e64 v52, v53, -v53, s[0:1]
	v_cvt_f32_f16_e32 v53, v57
	v_mul_f32_e32 v50, v52, v50
	v_fma_mix_f32 v30, v30, v54, v50 op_sel_hi:[0,1,0]
	s_waitcnt lgkmcnt(0)
	v_cndmask_b32_e64 v50, v51, -v51, s[0:1]
	ds_bpermute_b32 v51, v17, v46
	v_mul_f32_e32 v50, v50, v53
	ds_read_u16 v52, v38
	ds_read_u16 v53, v39
	ds_read_u16 v54, v40
	ds_read_u16 v55, v41
	ds_read_u16 v57, v42
	ds_read_u16 v58, v43
	ds_read_u16 v59, v44
	ds_read_u16 v60, v45
	s_waitcnt lgkmcnt(6)
	v_cvt_f32_f16_e32 v53, v53
	v_fma_mix_f32 v31, v31, v56, v50 op_sel_hi:[0,1,0]
	ds_bpermute_b32 v50, v17, v47
	v_cndmask_b32_e64 v51, v51, -v51, s[0:1]
	v_mul_f32_e32 v51, v51, v53
	s_waitcnt lgkmcnt(5)
	v_cvt_f32_f16_e32 v53, v55
	v_fma_mix_f32 v46, v46, v52, v51 op_sel_hi:[0,1,0]
	s_waitcnt lgkmcnt(0)
	v_cndmask_b32_e64 v50, v50, -v50, s[0:1]
	ds_bpermute_b32 v51, v17, v48
	v_mul_f32_e32 v50, v50, v53
	v_fma_mix_f32 v47, v47, v54, v50 op_sel_hi:[0,1,0]
	v_cvt_f32_f16_e32 v50, v58
	ds_bpermute_b32 v52, v17, v49
	v_cvt_f32_f16_e32 v53, v60
	s_waitcnt lgkmcnt(1)
	v_cndmask_b32_e64 v51, v51, -v51, s[0:1]
	v_mul_f32_e32 v50, v51, v50
	v_fma_mix_f32 v48, v48, v57, v50 op_sel_hi:[0,1,0]
	s_waitcnt lgkmcnt(0)
	v_cndmask_b32_e64 v50, v52, -v52, s[0:1]
	v_mul_f32_e32 v50, v50, v53
	v_fma_mix_f32 v49, v49, v59, v50 op_sel_hi:[0,1,0]
	; wave barrier
	s_branch .LBB35_9
.LBB35_12:
	s_endpgm
	.section	.rodata,"a",@progbits
	.p2align	6, 0x0
	.amdhsa_kernel _ZN12tensorrt_llm7kernels32fusedQKNormRopeKernelNTokenHeadsIN3c104HalfES3_Li256ELb0ELi2EEEvPviiifPKvS6_S6_PKlii
		.amdhsa_group_segment_fixed_size 0
		.amdhsa_private_segment_fixed_size 0
		.amdhsa_kernarg_size 320
		.amdhsa_user_sgpr_count 6
		.amdhsa_user_sgpr_private_segment_buffer 1
		.amdhsa_user_sgpr_dispatch_ptr 0
		.amdhsa_user_sgpr_queue_ptr 0
		.amdhsa_user_sgpr_kernarg_segment_ptr 1
		.amdhsa_user_sgpr_dispatch_id 0
		.amdhsa_user_sgpr_flat_scratch_init 0
		.amdhsa_user_sgpr_kernarg_preload_length 0
		.amdhsa_user_sgpr_kernarg_preload_offset 0
		.amdhsa_user_sgpr_private_segment_size 0
		.amdhsa_uses_dynamic_stack 0
		.amdhsa_system_sgpr_private_segment_wavefront_offset 0
		.amdhsa_system_sgpr_workgroup_id_x 1
		.amdhsa_system_sgpr_workgroup_id_y 0
		.amdhsa_system_sgpr_workgroup_id_z 0
		.amdhsa_system_sgpr_workgroup_info 0
		.amdhsa_system_vgpr_workitem_id 0
		.amdhsa_next_free_vgpr 61
		.amdhsa_next_free_sgpr 24
		.amdhsa_accum_offset 64
		.amdhsa_reserve_vcc 1
		.amdhsa_reserve_flat_scratch 0
		.amdhsa_float_round_mode_32 0
		.amdhsa_float_round_mode_16_64 0
		.amdhsa_float_denorm_mode_32 3
		.amdhsa_float_denorm_mode_16_64 3
		.amdhsa_dx10_clamp 1
		.amdhsa_ieee_mode 1
		.amdhsa_fp16_overflow 0
		.amdhsa_tg_split 0
		.amdhsa_exception_fp_ieee_invalid_op 0
		.amdhsa_exception_fp_denorm_src 0
		.amdhsa_exception_fp_ieee_div_zero 0
		.amdhsa_exception_fp_ieee_overflow 0
		.amdhsa_exception_fp_ieee_underflow 0
		.amdhsa_exception_fp_ieee_inexact 0
		.amdhsa_exception_int_div_zero 0
	.end_amdhsa_kernel
	.section	.text._ZN12tensorrt_llm7kernels32fusedQKNormRopeKernelNTokenHeadsIN3c104HalfES3_Li256ELb0ELi2EEEvPviiifPKvS6_S6_PKlii,"axG",@progbits,_ZN12tensorrt_llm7kernels32fusedQKNormRopeKernelNTokenHeadsIN3c104HalfES3_Li256ELb0ELi2EEEvPviiifPKvS6_S6_PKlii,comdat
.Lfunc_end35:
	.size	_ZN12tensorrt_llm7kernels32fusedQKNormRopeKernelNTokenHeadsIN3c104HalfES3_Li256ELb0ELi2EEEvPviiifPKvS6_S6_PKlii, .Lfunc_end35-_ZN12tensorrt_llm7kernels32fusedQKNormRopeKernelNTokenHeadsIN3c104HalfES3_Li256ELb0ELi2EEEvPviiifPKvS6_S6_PKlii
                                        ; -- End function
	.section	.AMDGPU.csdata,"",@progbits
; Kernel info:
; codeLenInByte = 2692
; NumSgprs: 28
; NumVgprs: 61
; NumAgprs: 0
; TotalNumVgprs: 61
; ScratchSize: 0
; MemoryBound: 0
; FloatMode: 240
; IeeeMode: 1
; LDSByteSize: 0 bytes/workgroup (compile time only)
; SGPRBlocks: 3
; VGPRBlocks: 7
; NumSGPRsForWavesPerEU: 28
; NumVGPRsForWavesPerEU: 61
; AccumOffset: 64
; Occupancy: 8
; WaveLimiterHint : 0
; COMPUTE_PGM_RSRC2:SCRATCH_EN: 0
; COMPUTE_PGM_RSRC2:USER_SGPR: 6
; COMPUTE_PGM_RSRC2:TRAP_HANDLER: 0
; COMPUTE_PGM_RSRC2:TGID_X_EN: 1
; COMPUTE_PGM_RSRC2:TGID_Y_EN: 0
; COMPUTE_PGM_RSRC2:TGID_Z_EN: 0
; COMPUTE_PGM_RSRC2:TIDIG_COMP_CNT: 0
; COMPUTE_PGM_RSRC3_GFX90A:ACCUM_OFFSET: 15
; COMPUTE_PGM_RSRC3_GFX90A:TG_SPLIT: 0
	.section	.text._ZN12tensorrt_llm7kernels32fusedQKNormRopeKernelNTokenHeadsIN3c104HalfES3_Li64ELb1ELi4EEEvPviiifPKvS6_S6_PKlii,"axG",@progbits,_ZN12tensorrt_llm7kernels32fusedQKNormRopeKernelNTokenHeadsIN3c104HalfES3_Li64ELb1ELi4EEEvPviiifPKvS6_S6_PKlii,comdat
	.protected	_ZN12tensorrt_llm7kernels32fusedQKNormRopeKernelNTokenHeadsIN3c104HalfES3_Li64ELb1ELi4EEEvPviiifPKvS6_S6_PKlii ; -- Begin function _ZN12tensorrt_llm7kernels32fusedQKNormRopeKernelNTokenHeadsIN3c104HalfES3_Li64ELb1ELi4EEEvPviiifPKvS6_S6_PKlii
	.globl	_ZN12tensorrt_llm7kernels32fusedQKNormRopeKernelNTokenHeadsIN3c104HalfES3_Li64ELb1ELi4EEEvPviiifPKvS6_S6_PKlii
	.p2align	8
	.type	_ZN12tensorrt_llm7kernels32fusedQKNormRopeKernelNTokenHeadsIN3c104HalfES3_Li64ELb1ELi4EEEvPviiifPKvS6_S6_PKlii,@function
_ZN12tensorrt_llm7kernels32fusedQKNormRopeKernelNTokenHeadsIN3c104HalfES3_Li64ELb1ELi4EEEvPviiifPKvS6_S6_PKlii: ; @_ZN12tensorrt_llm7kernels32fusedQKNormRopeKernelNTokenHeadsIN3c104HalfES3_Li64ELb1ELi4EEEvPviiifPKvS6_S6_PKlii
; %bb.0:
	s_load_dwordx4 s[12:15], s[4:5], 0x8
	s_load_dwordx2 s[2:3], s[4:5], 0x38
	s_load_dword s0, s[4:5], 0x4c
	v_lshrrev_b32_e32 v13, 5, v0
	s_waitcnt lgkmcnt(0)
	s_add_i32 s21, s13, s12
	s_add_i32 s1, s21, 3
	s_ashr_i32 s7, s1, 31
	s_lshr_b32 s7, s7, 30
	s_add_i32 s1, s1, s7
	s_ashr_i32 s20, s1, 2
	s_abs_i32 s1, s20
	v_cvt_f32_u32_e32 v1, s1
	s_bfe_u32 s0, s0, 0xb0005
	s_mul_i32 s6, s6, s0
	v_add_u32_e32 v9, s6, v13
	v_rcp_iflag_f32_e32 v1, v1
	s_sub_i32 s6, 0, s1
	v_sub_u32_e32 v2, 0, v9
	v_max_i32_e32 v2, v9, v2
	v_mul_f32_e32 v1, 0x4f7ffffe, v1
	v_cvt_u32_f32_e32 v1, v1
	v_xor_b32_e32 v3, s20, v9
	v_ashrrev_i32_e32 v3, 31, v3
	v_mul_lo_u32 v4, s6, v1
	v_mul_hi_u32 v4, v1, v4
	v_add_u32_e32 v1, v1, v4
	v_mul_hi_u32 v1, v2, v1
	v_mul_lo_u32 v4, v1, s1
	v_sub_u32_e32 v2, v2, v4
	v_add_u32_e32 v4, 1, v1
	v_cmp_le_u32_e32 vcc, s1, v2
	v_cndmask_b32_e32 v1, v1, v4, vcc
	v_subrev_u32_e32 v4, s1, v2
	v_cndmask_b32_e32 v2, v2, v4, vcc
	v_add_u32_e32 v4, 1, v1
	v_cmp_le_u32_e32 vcc, s1, v2
	v_cndmask_b32_e32 v1, v1, v4, vcc
	v_xor_b32_e32 v1, v1, v3
	v_sub_u32_e32 v2, v1, v3
	v_cmp_gt_i32_e32 vcc, s2, v2
	s_and_saveexec_b64 s[6:7], vcc
	s_cbranch_execz .LBB36_17
; %bb.1:
	v_and_b32_e32 v10, 31, v0
	v_mul_lo_u32 v0, v2, s20
	v_sub_u32_e32 v0, v9, v0
	s_load_dwordx2 s[16:17], s[4:5], 0x0
	v_lshlrev_b32_e32 v0, 2, v0
	v_add_u32_e32 v1, 4, v0
	v_sub_u32_e32 v3, s21, v0
	v_cmp_lt_i32_e32 vcc, s21, v1
	v_cndmask_b32_e32 v8, 4, v3, vcc
	s_lshl_b32 s18, s3, 1
	s_mul_i32 s2, s18, s0
	v_lshlrev_b32_e32 v12, 9, v13
	v_cmp_lt_i32_e64 s[0:1], 0, v8
	v_lshlrev_b32_e32 v4, 1, v10
	v_lshlrev_b32_e32 v11, 2, v10
	s_and_saveexec_b64 s[6:7], s[0:1]
	s_cbranch_execz .LBB36_9
; %bb.2:
	s_mov_b32 s19, 1
	v_cmp_ne_u32_e32 vcc, 1, v8
	s_mov_b64 s[10:11], -1
	v_mov_b32_e32 v1, 0
	s_and_saveexec_b64 s[8:9], vcc
	s_cbranch_execz .LBB36_6
; %bb.3:
	s_add_i32 s21, s21, s14
	s_add_i32 s10, s2, 0
	v_mul_lo_u32 v6, v2, s21
	s_mov_b32 s22, 0
	v_add3_u32 v7, s10, v12, v11
	v_mov_b32_e32 v1, v0
	s_mov_b32 s21, s12
	s_mov_b32 s23, s12
	v_mov_b32_e32 v3, v6
	v_mov_b32_e32 v5, v4
	v_and_b32_e32 v14, 0x7ffffffe, v8
	s_mov_b64 s[10:11], 0
	v_mov_b32_e32 v15, s12
	v_mov_b32_e32 v16, s12
	s_waitcnt lgkmcnt(0)
	v_mov_b32_e32 v17, s17
.LBB36_4:                               ; =>This Inner Loop Header: Depth=1
	v_add_u32_e32 v19, s19, v1
	v_add_u32_e32 v18, s22, v0
	v_cmp_le_i32_e32 vcc, s23, v19
	v_cndmask_b32_e32 v20, 0, v15, vcc
	v_cmp_le_i32_e32 vcc, s21, v18
	v_cndmask_b32_e32 v21, 0, v16, vcc
	v_sub_u32_e32 v18, v18, v21
	v_sub_u32_e32 v19, v19, v20
	v_add3_u32 v18, v6, v21, v18
	v_add3_u32 v19, v3, v20, v19
	v_lshl_or_b32 v18, v18, 6, v4
	v_lshl_or_b32 v20, v19, 6, v5
	v_ashrrev_i32_e32 v19, 31, v18
	v_lshlrev_b64 v[18:19], 1, v[18:19]
	v_ashrrev_i32_e32 v21, 31, v20
	v_add_co_u32_e32 v18, vcc, s16, v18
	v_lshlrev_b64 v[20:21], 1, v[20:21]
	v_addc_co_u32_e32 v19, vcc, v17, v19, vcc
	v_add_co_u32_e32 v20, vcc, s16, v20
	v_addc_co_u32_e32 v21, vcc, v17, v21, vcc
	global_load_dword v22, v[18:19], off
	global_load_dword v23, v[20:21], off
	v_add_u32_e32 v14, -2, v14
	v_lshl_add_u32 v18, s22, 7, v7
	v_lshl_add_u32 v19, s19, 7, v7
	s_add_i32 s22, s22, 2
	s_add_i32 s19, s19, 2
	v_cmp_eq_u32_e32 vcc, 0, v14
	s_or_b64 s[10:11], vcc, s[10:11]
	s_waitcnt vmcnt(1)
	ds_write_b32 v18, v22
	s_waitcnt vmcnt(0)
	ds_write_b32 v19, v23
	s_andn2_b64 exec, exec, s[10:11]
	s_cbranch_execnz .LBB36_4
; %bb.5:
	s_or_b64 exec, exec, s[10:11]
	v_and_b32_e32 v1, 0x7ffffffe, v8
	v_cmp_ne_u32_e32 vcc, v8, v1
	s_orn2_b64 s[10:11], vcc, exec
.LBB36_6:
	s_or_b64 exec, exec, s[8:9]
	s_and_b64 exec, exec, s[10:11]
	s_cbranch_execz .LBB36_9
; %bb.7:
	s_add_i32 s8, s14, s13
	s_add_i32 s8, s8, s12
	s_lshl_b32 s9, s20, 2
	s_sub_i32 s8, s8, s9
	v_mul_lo_u32 v3, s8, v2
	v_lshlrev_b32_e32 v5, 2, v9
	v_add3_u32 v3, v1, v3, v5
	v_lshl_or_b32 v6, v3, 6, v4
	v_lshlrev_b32_e32 v3, 7, v1
	v_add3_u32 v3, s2, v12, v3
	v_add3_u32 v3, v3, v11, 0
	s_mov_b64 s[8:9], 0
	s_waitcnt lgkmcnt(0)
	v_mov_b32_e32 v5, s17
.LBB36_8:                               ; =>This Inner Loop Header: Depth=1
	v_ashrrev_i32_e32 v7, 31, v6
	v_lshlrev_b64 v[14:15], 1, v[6:7]
	v_add_co_u32_e32 v14, vcc, s16, v14
	v_addc_co_u32_e32 v15, vcc, v5, v15, vcc
	global_load_dword v7, v[14:15], off
	v_add_u32_e32 v1, 1, v1
	v_cmp_ge_i32_e32 vcc, v1, v8
	v_add_u32_e32 v6, 64, v6
	s_or_b64 s[8:9], vcc, s[8:9]
	s_waitcnt vmcnt(0)
	ds_write_b32 v3, v7
	v_add_u32_e32 v3, 0x80, v3
	s_andn2_b64 exec, exec, s[8:9]
	s_cbranch_execnz .LBB36_8
.LBB36_9:
	s_or_b64 exec, exec, s[6:7]
	s_add_i32 s18, s18, 15
	s_load_dwordx8 s[4:11], s[4:5], 0x18
	s_ashr_i32 s19, s18, 31
	s_lshr_b32 s19, s19, 28
	s_add_i32 s18, s18, s19
	s_ashr_i32 s21, s18, 4
	v_mul_lo_u32 v1, v13, s3
	v_cmp_gt_i32_e32 vcc, s21, v10
	v_lshlrev_b32_e32 v5, 1, v1
	s_and_saveexec_b64 s[18:19], vcc
	s_cbranch_execz .LBB36_12
; %bb.10:
	v_ashrrev_i32_e32 v3, 31, v2
	v_lshlrev_b64 v[6:7], 3, v[2:3]
	s_waitcnt lgkmcnt(0)
	v_mov_b32_e32 v1, s11
	v_add_co_u32_e32 v6, vcc, s10, v6
	v_addc_co_u32_e32 v7, vcc, v1, v7, vcc
	global_load_dwordx2 v[6:7], v[6:7], off
	s_ashr_i32 s22, s3, 31
	v_lshlrev_b32_e32 v3, 4, v10
	v_add3_u32 v1, v5, v3, 0
	v_mov_b32_e32 v13, s9
	s_mov_b64 s[10:11], 0
	s_waitcnt vmcnt(0)
	v_mul_lo_u32 v14, v7, s3
	v_mul_lo_u32 v15, v6, s22
	v_mad_u64_u32 v[6:7], s[22:23], v6, s3, 0
	v_add3_u32 v7, v7, v15, v14
	v_lshlrev_b64 v[6:7], 1, v[6:7]
	v_add_co_u32_e32 v3, vcc, v6, v3
	v_addc_co_u32_e32 v7, vcc, 0, v7, vcc
	v_add_co_u32_e32 v6, vcc, s8, v3
	v_addc_co_u32_e32 v7, vcc, v13, v7, vcc
	v_mov_b32_e32 v3, v10
.LBB36_11:                              ; =>This Inner Loop Header: Depth=1
	global_load_dwordx4 v[14:17], v[6:7], off
	v_add_co_u32_e32 v6, vcc, 0x200, v6
	v_add_u32_e32 v3, 32, v3
	v_addc_co_u32_e32 v7, vcc, 0, v7, vcc
	v_cmp_le_i32_e32 vcc, s21, v3
	s_or_b64 s[10:11], vcc, s[10:11]
	s_waitcnt vmcnt(0)
	ds_write_b128 v1, v[14:17]
	v_add_u32_e32 v1, 0x200, v1
	s_andn2_b64 exec, exec, s[10:11]
	s_cbranch_execnz .LBB36_11
.LBB36_12:
	s_or_b64 exec, exec, s[18:19]
	s_and_b64 exec, exec, s[0:1]
	s_cbranch_execz .LBB36_17
; %bb.13:
	s_waitcnt lgkmcnt(0)
	global_load_dword v1, v11, s[4:5]
	global_load_dword v6, v11, s[6:7]
	v_mbcnt_lo_u32_b32 v3, -1, 0
	s_lshr_b32 s0, s3, 31
	s_add_i32 s1, s14, s13
	v_add_u32_e32 v12, s2, v12
	v_mbcnt_hi_u32_b32 v3, -1, v3
	s_lshl_b32 s8, s20, 2
	s_add_i32 s0, s3, s0
	s_add_i32 s1, s1, s12
	v_add3_u32 v11, v12, v11, 0
	v_and_b32_e32 v12, 0x60, v3
	v_add3_u32 v7, 0, v5, v4
	s_ashr_i32 s2, s0, 1
	s_and_b32 s0, s0, -2
	v_xor_b32_e32 v13, 16, v3
	s_sub_i32 s1, s1, s8
	v_add_u32_e32 v12, 32, v12
	v_xor_b32_e32 v14, 8, v3
	v_cmp_gt_i32_e32 vcc, s2, v10
	v_add_u32_e32 v10, s0, v7
	v_mul_lo_u32 v2, s1, v2
	v_cmp_lt_i32_e64 s[0:1], v13, v12
	v_xor_b32_e32 v15, 4, v3
	v_cndmask_b32_e64 v13, v3, v13, s[0:1]
	v_cmp_lt_i32_e64 s[0:1], v14, v12
	v_xor_b32_e32 v16, 2, v3
	v_cndmask_b32_e64 v14, v3, v14, s[0:1]
	;; [unrolled: 3-line block ×3, first 2 shown]
	v_cmp_lt_i32_e64 s[0:1], v16, v12
	v_lshlrev_b32_e32 v5, 8, v9
	v_cndmask_b32_e64 v16, v3, v16, s[0:1]
	v_cmp_lt_i32_e64 s[0:1], v17, v12
	v_cndmask_b32_e64 v3, v3, v17, s[0:1]
	v_lshl_add_u32 v2, v2, 6, v5
	s_mov_b32 s6, 0
	s_mov_b64 s[4:5], 0
	v_mov_b32_e32 v9, s15
	s_mov_b32 s7, 0x800000
	v_lshlrev_b32_e32 v12, 2, v13
	v_lshlrev_b32_e32 v13, 2, v14
	;; [unrolled: 1-line block ×5, first 2 shown]
	v_or_b32_e32 v2, v2, v4
	v_mov_b32_e32 v19, s17
	s_waitcnt vmcnt(1)
	v_lshrrev_b32_e32 v17, 16, v1
	s_waitcnt vmcnt(0)
	v_lshrrev_b32_e32 v18, 16, v6
	s_branch .LBB36_15
.LBB36_14:                              ;   in Loop: Header=BB36_15 Depth=1
	s_or_b64 exec, exec, s[0:1]
	v_ashrrev_i32_e32 v3, 31, v2
	v_cvt_f16_f32_e32 v20, v4
	v_cvt_f16_f32_e32 v21, v5
	v_lshlrev_b64 v[4:5], 1, v[2:3]
	v_add_co_u32_e64 v4, s[0:1], s16, v4
	v_addc_co_u32_e64 v5, s[0:1], v19, v5, s[0:1]
	s_add_i32 s6, s6, 1
	v_cmp_ge_i32_e64 s[0:1], s6, v8
	v_pack_b32_f16 v3, v20, v21
	v_add_u32_e32 v2, 64, v2
	s_or_b64 s[4:5], s[0:1], s[4:5]
	v_add_u32_e32 v11, 0x80, v11
	global_store_dword v[4:5], v3, off
	s_andn2_b64 exec, exec, s[4:5]
	s_cbranch_execz .LBB36_17
.LBB36_15:                              ; =>This Inner Loop Header: Depth=1
	ds_read_b32 v3, v11
	v_mov_b32_e32 v22, v9
	s_waitcnt lgkmcnt(0)
	v_cvt_f32_f16_sdwa v5, v3 dst_sel:DWORD dst_unused:UNUSED_PAD src0_sel:WORD_1
	v_cvt_f32_f16_e32 v4, v3
	v_pk_mul_f32 v[20:21], v[4:5], v[4:5]
	v_add_f32_e32 v3, v21, v20
	ds_bpermute_b32 v20, v12, v3
	v_add_u32_e32 v21, s6, v0
	v_cmp_gt_i32_e64 s[0:1], s12, v21
	v_cndmask_b32_e64 v21, v18, v17, s[0:1]
	v_cvt_f32_f16_e32 v21, v21
	s_waitcnt lgkmcnt(0)
	v_add_f32_e32 v3, v3, v20
	ds_bpermute_b32 v20, v13, v3
	s_waitcnt lgkmcnt(0)
	v_add_f32_e32 v3, v3, v20
	ds_bpermute_b32 v20, v14, v3
	;; [unrolled: 3-line block ×4, first 2 shown]
	s_waitcnt lgkmcnt(0)
	v_add_f32_e32 v3, v3, v20
	v_fmac_f32_e32 v22, 0x3c800000, v3
	v_mul_f32_e32 v3, 0x4b800000, v22
	v_cmp_gt_f32_e64 s[2:3], s7, v22
	v_cndmask_b32_e64 v3, v22, v3, s[2:3]
	v_rsq_f32_e32 v3, v3
	v_cndmask_b32_e64 v20, v6, v1, s[0:1]
	v_cvt_f32_f16_e32 v20, v20
	v_mul_f32_e32 v22, 0x45800000, v3
	v_cndmask_b32_e64 v22, v3, v22, s[2:3]
	v_pk_mul_f32 v[20:21], v[22:23], v[20:21] op_sel_hi:[0,1]
	v_pk_mul_f32 v[4:5], v[20:21], v[4:5]
	s_and_saveexec_b64 s[0:1], vcc
	s_cbranch_execz .LBB36_14
; %bb.16:                               ;   in Loop: Header=BB36_15 Depth=1
	ds_read_u16 v3, v7
	ds_read_u16 v24, v10
	s_waitcnt lgkmcnt(1)
	v_cvt_f32_f16_e32 v21, v3
	s_waitcnt lgkmcnt(0)
	v_cvt_f32_f16_e32 v20, v24
	v_pk_mul_f32 v[22:23], v[4:5], v[20:21]
	v_mov_b32_e32 v3, v22
	v_mul_f32_e32 v23, v4, v21
	v_pk_fma_f32 v[20:21], v[4:5], v[20:21], v[2:3]
	v_fma_mix_f32 v4, -v5, v24, v23 op_sel_hi:[0,1,0]
	v_mov_b32_e32 v5, v21
	s_branch .LBB36_14
.LBB36_17:
	s_endpgm
	.section	.rodata,"a",@progbits
	.p2align	6, 0x0
	.amdhsa_kernel _ZN12tensorrt_llm7kernels32fusedQKNormRopeKernelNTokenHeadsIN3c104HalfES3_Li64ELb1ELi4EEEvPviiifPKvS6_S6_PKlii
		.amdhsa_group_segment_fixed_size 0
		.amdhsa_private_segment_fixed_size 0
		.amdhsa_kernarg_size 320
		.amdhsa_user_sgpr_count 6
		.amdhsa_user_sgpr_private_segment_buffer 1
		.amdhsa_user_sgpr_dispatch_ptr 0
		.amdhsa_user_sgpr_queue_ptr 0
		.amdhsa_user_sgpr_kernarg_segment_ptr 1
		.amdhsa_user_sgpr_dispatch_id 0
		.amdhsa_user_sgpr_flat_scratch_init 0
		.amdhsa_user_sgpr_kernarg_preload_length 0
		.amdhsa_user_sgpr_kernarg_preload_offset 0
		.amdhsa_user_sgpr_private_segment_size 0
		.amdhsa_uses_dynamic_stack 0
		.amdhsa_system_sgpr_private_segment_wavefront_offset 0
		.amdhsa_system_sgpr_workgroup_id_x 1
		.amdhsa_system_sgpr_workgroup_id_y 0
		.amdhsa_system_sgpr_workgroup_id_z 0
		.amdhsa_system_sgpr_workgroup_info 0
		.amdhsa_system_vgpr_workitem_id 0
		.amdhsa_next_free_vgpr 25
		.amdhsa_next_free_sgpr 24
		.amdhsa_accum_offset 28
		.amdhsa_reserve_vcc 1
		.amdhsa_reserve_flat_scratch 0
		.amdhsa_float_round_mode_32 0
		.amdhsa_float_round_mode_16_64 0
		.amdhsa_float_denorm_mode_32 3
		.amdhsa_float_denorm_mode_16_64 3
		.amdhsa_dx10_clamp 1
		.amdhsa_ieee_mode 1
		.amdhsa_fp16_overflow 0
		.amdhsa_tg_split 0
		.amdhsa_exception_fp_ieee_invalid_op 0
		.amdhsa_exception_fp_denorm_src 0
		.amdhsa_exception_fp_ieee_div_zero 0
		.amdhsa_exception_fp_ieee_overflow 0
		.amdhsa_exception_fp_ieee_underflow 0
		.amdhsa_exception_fp_ieee_inexact 0
		.amdhsa_exception_int_div_zero 0
	.end_amdhsa_kernel
	.section	.text._ZN12tensorrt_llm7kernels32fusedQKNormRopeKernelNTokenHeadsIN3c104HalfES3_Li64ELb1ELi4EEEvPviiifPKvS6_S6_PKlii,"axG",@progbits,_ZN12tensorrt_llm7kernels32fusedQKNormRopeKernelNTokenHeadsIN3c104HalfES3_Li64ELb1ELi4EEEvPviiifPKvS6_S6_PKlii,comdat
.Lfunc_end36:
	.size	_ZN12tensorrt_llm7kernels32fusedQKNormRopeKernelNTokenHeadsIN3c104HalfES3_Li64ELb1ELi4EEEvPviiifPKvS6_S6_PKlii, .Lfunc_end36-_ZN12tensorrt_llm7kernels32fusedQKNormRopeKernelNTokenHeadsIN3c104HalfES3_Li64ELb1ELi4EEEvPviiifPKvS6_S6_PKlii
                                        ; -- End function
	.section	.AMDGPU.csdata,"",@progbits
; Kernel info:
; codeLenInByte = 1704
; NumSgprs: 28
; NumVgprs: 25
; NumAgprs: 0
; TotalNumVgprs: 25
; ScratchSize: 0
; MemoryBound: 0
; FloatMode: 240
; IeeeMode: 1
; LDSByteSize: 0 bytes/workgroup (compile time only)
; SGPRBlocks: 3
; VGPRBlocks: 3
; NumSGPRsForWavesPerEU: 28
; NumVGPRsForWavesPerEU: 25
; AccumOffset: 28
; Occupancy: 8
; WaveLimiterHint : 0
; COMPUTE_PGM_RSRC2:SCRATCH_EN: 0
; COMPUTE_PGM_RSRC2:USER_SGPR: 6
; COMPUTE_PGM_RSRC2:TRAP_HANDLER: 0
; COMPUTE_PGM_RSRC2:TGID_X_EN: 1
; COMPUTE_PGM_RSRC2:TGID_Y_EN: 0
; COMPUTE_PGM_RSRC2:TGID_Z_EN: 0
; COMPUTE_PGM_RSRC2:TIDIG_COMP_CNT: 0
; COMPUTE_PGM_RSRC3_GFX90A:ACCUM_OFFSET: 6
; COMPUTE_PGM_RSRC3_GFX90A:TG_SPLIT: 0
	.section	.text._ZN12tensorrt_llm7kernels32fusedQKNormRopeKernelNTokenHeadsIN3c104HalfES3_Li64ELb0ELi4EEEvPviiifPKvS6_S6_PKlii,"axG",@progbits,_ZN12tensorrt_llm7kernels32fusedQKNormRopeKernelNTokenHeadsIN3c104HalfES3_Li64ELb0ELi4EEEvPviiifPKvS6_S6_PKlii,comdat
	.protected	_ZN12tensorrt_llm7kernels32fusedQKNormRopeKernelNTokenHeadsIN3c104HalfES3_Li64ELb0ELi4EEEvPviiifPKvS6_S6_PKlii ; -- Begin function _ZN12tensorrt_llm7kernels32fusedQKNormRopeKernelNTokenHeadsIN3c104HalfES3_Li64ELb0ELi4EEEvPviiifPKvS6_S6_PKlii
	.globl	_ZN12tensorrt_llm7kernels32fusedQKNormRopeKernelNTokenHeadsIN3c104HalfES3_Li64ELb0ELi4EEEvPviiifPKvS6_S6_PKlii
	.p2align	8
	.type	_ZN12tensorrt_llm7kernels32fusedQKNormRopeKernelNTokenHeadsIN3c104HalfES3_Li64ELb0ELi4EEEvPviiifPKvS6_S6_PKlii,@function
_ZN12tensorrt_llm7kernels32fusedQKNormRopeKernelNTokenHeadsIN3c104HalfES3_Li64ELb0ELi4EEEvPviiifPKvS6_S6_PKlii: ; @_ZN12tensorrt_llm7kernels32fusedQKNormRopeKernelNTokenHeadsIN3c104HalfES3_Li64ELb0ELi4EEEvPviiifPKvS6_S6_PKlii
; %bb.0:
	s_load_dwordx4 s[12:15], s[4:5], 0x8
	s_load_dwordx2 s[2:3], s[4:5], 0x38
	s_load_dword s0, s[4:5], 0x4c
	v_lshrrev_b32_e32 v12, 5, v0
	s_waitcnt lgkmcnt(0)
	s_add_i32 s19, s13, s12
	s_add_i32 s1, s19, 3
	s_ashr_i32 s7, s1, 31
	s_lshr_b32 s7, s7, 30
	s_add_i32 s1, s1, s7
	s_ashr_i32 s21, s1, 2
	s_abs_i32 s1, s21
	v_cvt_f32_u32_e32 v1, s1
	s_bfe_u32 s0, s0, 0xb0005
	s_mul_i32 s6, s6, s0
	v_add_u32_e32 v8, s6, v12
	v_rcp_iflag_f32_e32 v1, v1
	s_sub_i32 s6, 0, s1
	v_sub_u32_e32 v2, 0, v8
	v_max_i32_e32 v2, v8, v2
	v_mul_f32_e32 v1, 0x4f7ffffe, v1
	v_cvt_u32_f32_e32 v1, v1
	v_xor_b32_e32 v3, s21, v8
	v_ashrrev_i32_e32 v3, 31, v3
	v_mul_lo_u32 v4, s6, v1
	v_mul_hi_u32 v4, v1, v4
	v_add_u32_e32 v1, v1, v4
	v_mul_hi_u32 v1, v2, v1
	v_mul_lo_u32 v4, v1, s1
	v_sub_u32_e32 v2, v2, v4
	v_add_u32_e32 v4, 1, v1
	v_cmp_le_u32_e32 vcc, s1, v2
	v_cndmask_b32_e32 v1, v1, v4, vcc
	v_subrev_u32_e32 v4, s1, v2
	v_cndmask_b32_e32 v2, v2, v4, vcc
	v_add_u32_e32 v4, 1, v1
	v_cmp_le_u32_e32 vcc, s1, v2
	v_cndmask_b32_e32 v1, v1, v4, vcc
	v_xor_b32_e32 v1, v1, v3
	v_sub_u32_e32 v2, v1, v3
	v_cmp_gt_i32_e32 vcc, s2, v2
	s_and_saveexec_b64 s[6:7], vcc
	s_cbranch_execz .LBB37_17
; %bb.1:
	v_and_b32_e32 v9, 31, v0
	v_mul_lo_u32 v0, v2, s21
	v_sub_u32_e32 v0, v8, v0
	s_load_dwordx2 s[16:17], s[4:5], 0x0
	v_lshlrev_b32_e32 v0, 2, v0
	v_add_u32_e32 v1, 4, v0
	v_sub_u32_e32 v3, s19, v0
	v_cmp_lt_i32_e32 vcc, s19, v1
	v_cndmask_b32_e32 v7, 4, v3, vcc
	s_lshl_b32 s2, s3, 1
	s_mul_i32 s20, s2, s0
	v_lshlrev_b32_e32 v10, 9, v12
	v_cmp_lt_i32_e64 s[0:1], 0, v7
	v_lshlrev_b32_e32 v11, 2, v9
	s_and_saveexec_b64 s[6:7], s[0:1]
	s_cbranch_execz .LBB37_9
; %bb.2:
	s_mov_b32 s18, 1
	v_lshlrev_b32_e32 v4, 1, v9
	v_cmp_ne_u32_e32 vcc, 1, v7
	s_mov_b64 s[10:11], -1
	v_mov_b32_e32 v1, 0
	s_and_saveexec_b64 s[8:9], vcc
	s_cbranch_execz .LBB37_6
; %bb.3:
	s_add_i32 s19, s19, s14
	s_add_i32 s10, s20, 0
	v_mul_lo_u32 v6, v2, s19
	s_mov_b32 s22, 0
	v_add3_u32 v13, s10, v10, v11
	v_mov_b32_e32 v1, v0
	s_mov_b32 s19, s12
	s_mov_b32 s23, s12
	v_mov_b32_e32 v3, v6
	v_mov_b32_e32 v5, v4
	v_and_b32_e32 v14, 0x7ffffffe, v7
	s_mov_b64 s[10:11], 0
	v_mov_b32_e32 v15, s12
	v_mov_b32_e32 v16, s12
	s_waitcnt lgkmcnt(0)
	v_mov_b32_e32 v17, s17
.LBB37_4:                               ; =>This Inner Loop Header: Depth=1
	v_add_u32_e32 v19, s18, v1
	v_add_u32_e32 v18, s22, v0
	v_cmp_le_i32_e32 vcc, s23, v19
	v_cndmask_b32_e32 v20, 0, v15, vcc
	v_cmp_le_i32_e32 vcc, s19, v18
	v_cndmask_b32_e32 v21, 0, v16, vcc
	v_sub_u32_e32 v18, v18, v21
	v_sub_u32_e32 v19, v19, v20
	v_add3_u32 v18, v6, v21, v18
	v_add3_u32 v19, v3, v20, v19
	v_lshl_or_b32 v18, v18, 6, v4
	v_lshl_or_b32 v20, v19, 6, v5
	v_ashrrev_i32_e32 v19, 31, v18
	v_lshlrev_b64 v[18:19], 1, v[18:19]
	v_ashrrev_i32_e32 v21, 31, v20
	v_add_co_u32_e32 v18, vcc, s16, v18
	v_lshlrev_b64 v[20:21], 1, v[20:21]
	v_addc_co_u32_e32 v19, vcc, v17, v19, vcc
	v_add_co_u32_e32 v20, vcc, s16, v20
	v_addc_co_u32_e32 v21, vcc, v17, v21, vcc
	global_load_dword v22, v[18:19], off
	global_load_dword v23, v[20:21], off
	v_add_u32_e32 v14, -2, v14
	v_lshl_add_u32 v18, s22, 7, v13
	v_lshl_add_u32 v19, s18, 7, v13
	s_add_i32 s22, s22, 2
	s_add_i32 s18, s18, 2
	v_cmp_eq_u32_e32 vcc, 0, v14
	s_or_b64 s[10:11], vcc, s[10:11]
	s_waitcnt vmcnt(1)
	ds_write_b32 v18, v22
	s_waitcnt vmcnt(0)
	ds_write_b32 v19, v23
	s_andn2_b64 exec, exec, s[10:11]
	s_cbranch_execnz .LBB37_4
; %bb.5:
	s_or_b64 exec, exec, s[10:11]
	v_and_b32_e32 v1, 0x7ffffffe, v7
	v_cmp_ne_u32_e32 vcc, v7, v1
	s_orn2_b64 s[10:11], vcc, exec
.LBB37_6:
	s_or_b64 exec, exec, s[8:9]
	s_and_b64 exec, exec, s[10:11]
	s_cbranch_execz .LBB37_9
; %bb.7:
	s_add_i32 s8, s14, s13
	s_add_i32 s8, s8, s12
	s_lshl_b32 s9, s21, 2
	s_sub_i32 s8, s8, s9
	v_mul_lo_u32 v3, s8, v2
	v_lshlrev_b32_e32 v5, 2, v8
	v_add3_u32 v3, v1, v3, v5
	v_lshl_or_b32 v4, v3, 6, v4
	v_lshlrev_b32_e32 v3, 7, v1
	v_add3_u32 v3, s20, v10, v3
	v_add3_u32 v3, v3, v11, 0
	s_mov_b64 s[8:9], 0
	s_waitcnt lgkmcnt(0)
	v_mov_b32_e32 v6, s17
.LBB37_8:                               ; =>This Inner Loop Header: Depth=1
	v_ashrrev_i32_e32 v5, 31, v4
	v_lshlrev_b64 v[14:15], 1, v[4:5]
	v_add_co_u32_e32 v14, vcc, s16, v14
	v_addc_co_u32_e32 v15, vcc, v6, v15, vcc
	global_load_dword v5, v[14:15], off
	v_add_u32_e32 v1, 1, v1
	v_cmp_ge_i32_e32 vcc, v1, v7
	v_add_u32_e32 v4, 64, v4
	s_or_b64 s[8:9], vcc, s[8:9]
	s_waitcnt vmcnt(0)
	ds_write_b32 v3, v5
	v_add_u32_e32 v3, 0x80, v3
	s_andn2_b64 exec, exec, s[8:9]
	s_cbranch_execnz .LBB37_8
.LBB37_9:
	s_or_b64 exec, exec, s[6:7]
	s_add_i32 s2, s2, 15
	s_load_dwordx8 s[4:11], s[4:5], 0x18
	s_ashr_i32 s18, s2, 31
	s_lshr_b32 s18, s18, 28
	s_add_i32 s2, s2, s18
	s_ashr_i32 s2, s2, 4
	v_cmp_gt_i32_e32 vcc, s2, v9
	v_mul_lo_u32 v6, v12, s3
	s_and_saveexec_b64 s[18:19], vcc
	s_cbranch_execz .LBB37_12
; %bb.10:
	v_ashrrev_i32_e32 v3, 31, v2
	v_lshlrev_b64 v[4:5], 3, v[2:3]
	s_waitcnt lgkmcnt(0)
	v_mov_b32_e32 v1, s11
	v_add_co_u32_e32 v4, vcc, s10, v4
	v_addc_co_u32_e32 v5, vcc, v1, v5, vcc
	global_load_dwordx2 v[4:5], v[4:5], off
	s_ashr_i32 s22, s3, 31
	v_lshlrev_b32_e32 v1, 1, v6
	v_lshlrev_b32_e32 v3, 4, v9
	v_add3_u32 v1, v1, v3, 0
	v_mov_b32_e32 v12, s9
	s_mov_b64 s[10:11], 0
	s_waitcnt vmcnt(0)
	v_mul_lo_u32 v13, v5, s3
	v_mul_lo_u32 v14, v4, s22
	v_mad_u64_u32 v[4:5], s[22:23], v4, s3, 0
	v_add3_u32 v5, v5, v14, v13
	v_lshlrev_b64 v[4:5], 1, v[4:5]
	v_add_co_u32_e32 v3, vcc, v4, v3
	v_addc_co_u32_e32 v5, vcc, 0, v5, vcc
	v_add_co_u32_e32 v4, vcc, s8, v3
	v_addc_co_u32_e32 v5, vcc, v12, v5, vcc
	v_mov_b32_e32 v3, v9
.LBB37_11:                              ; =>This Inner Loop Header: Depth=1
	global_load_dwordx4 v[12:15], v[4:5], off
	v_add_co_u32_e32 v4, vcc, 0x200, v4
	v_add_u32_e32 v3, 32, v3
	v_addc_co_u32_e32 v5, vcc, 0, v5, vcc
	v_cmp_le_i32_e32 vcc, s2, v3
	s_or_b64 s[10:11], vcc, s[10:11]
	s_waitcnt vmcnt(0)
	ds_write_b128 v1, v[12:15]
	v_add_u32_e32 v1, 0x200, v1
	s_andn2_b64 exec, exec, s[10:11]
	s_cbranch_execnz .LBB37_11
.LBB37_12:
	s_or_b64 exec, exec, s[18:19]
	s_and_b64 exec, exec, s[0:1]
	s_cbranch_execz .LBB37_17
; %bb.13:
	s_waitcnt lgkmcnt(0)
	global_load_dword v1, v11, s[4:5]
	global_load_dword v4, v11, s[6:7]
	v_mbcnt_lo_u32_b32 v5, -1, 0
	s_abs_i32 s4, s3
	s_lshr_b32 s0, s3, 31
	v_mbcnt_hi_u32_b32 v15, -1, v5
	v_cvt_f32_u32_e32 v12, s4
	s_add_i32 s1, s14, s13
	s_add_i32 s0, s3, s0
	v_and_b32_e32 v5, 0x60, v15
	v_lshl_add_u32 v3, v6, 1, 0
	s_add_i32 s7, s1, s12
	s_ashr_i32 s1, s0, 1
	s_and_b32 s0, s0, -2
	v_xor_b32_e32 v6, 16, v15
	v_add_u32_e32 v5, 32, v5
	v_xor_b32_e32 v13, 8, v15
	v_add_u32_e32 v20, s0, v3
	v_cmp_gt_i32_e32 vcc, s1, v9
	s_lshr_b32 s2, s1, 1
	v_cmp_lt_i32_e64 s[0:1], v6, v5
	v_xor_b32_e32 v14, 4, v15
	v_cndmask_b32_e64 v6, v15, v6, s[0:1]
	v_cmp_lt_i32_e64 s[0:1], v13, v5
	v_rcp_iflag_f32_e32 v22, v12
	v_xor_b32_e32 v17, 2, v15
	v_cndmask_b32_e64 v13, v15, v13, s[0:1]
	v_cmp_lt_i32_e64 s[0:1], v14, v5
	v_cndmask_b32_e64 v14, v15, v14, s[0:1]
	v_cmp_lt_i32_e64 s[0:1], v17, v5
	v_xor_b32_e32 v18, 1, v15
	v_cndmask_b32_e64 v17, v15, v17, s[0:1]
	v_cmp_lt_i32_e64 s[0:1], v18, v5
	v_lshlrev_b32_e32 v5, 2, v6
	v_lshlrev_b32_e32 v6, 2, v13
	;; [unrolled: 1-line block ×3, first 2 shown]
	v_mul_f32_e32 v17, 0x4f7ffffe, v22
	v_cvt_u32_f32_e32 v17, v17
	s_sub_i32 s6, 0, s4
	v_cndmask_b32_e64 v18, v15, v18, s[0:1]
	v_lshlrev_b32_e32 v12, 2, v14
	v_lshlrev_b32_e32 v14, 2, v18
	v_mul_lo_u32 v18, s6, v17
	v_mul_hi_u32 v18, v17, v18
	v_add_u32_e32 v17, v17, v18
	v_or_b32_e32 v16, 2, v11
	v_and_b32_e32 v19, 64, v15
	v_mul_hi_u32 v18, v11, v17
	v_add_u32_e32 v19, 64, v19
	v_xor_b32_e32 v21, s2, v15
	v_mul_hi_u32 v17, v16, v17
	v_mul_lo_u32 v18, v18, s4
	v_cmp_gt_u32_e64 s[0:1], s2, v9
	v_cmp_lt_i32_e64 s[2:3], v21, v19
	v_mul_lo_u32 v17, v17, s4
	v_sub_u32_e32 v18, v11, v18
	v_cndmask_b32_e64 v15, v15, v21, s[2:3]
	v_sub_u32_e32 v16, v16, v17
	v_subrev_u32_e32 v17, s4, v18
	v_cmp_le_u32_e64 s[2:3], s4, v18
	v_subrev_u32_e32 v19, s4, v16
	v_cndmask_b32_e64 v17, v18, v17, s[2:3]
	v_cmp_le_u32_e64 s[2:3], s4, v16
	v_cndmask_b32_e64 v16, v16, v19, s[2:3]
	v_subrev_u32_e32 v18, s4, v17
	v_cmp_le_u32_e64 s[2:3], s4, v17
	v_subrev_u32_e32 v19, s4, v16
	v_cndmask_b32_e64 v17, v17, v18, s[2:3]
	v_cmp_le_u32_e64 s[2:3], s4, v16
	s_lshl_b32 s5, s21, 2
	v_cndmask_b32_e64 v16, v16, v19, s[2:3]
	v_and_b32_e32 v17, -2, v17
	v_and_b32_e32 v19, -2, v16
	s_sub_i32 s2, s7, s5
	v_add_u32_e32 v16, v3, v17
	v_add_u32_e32 v18, v3, v19
	v_mul_lo_u32 v2, s2, v2
	v_lshlrev_b32_e32 v3, 8, v8
	v_lshl_add_u32 v2, v2, 6, v3
	v_add_u32_e32 v3, s20, v10
	s_mov_b32 s8, 0
	v_lshlrev_b32_e32 v15, 2, v15
	v_add_u32_e32 v17, v20, v17
	v_add_u32_e32 v19, v20, v19
	s_waitcnt vmcnt(1)
	v_lshrrev_b32_e32 v20, 16, v1
	s_waitcnt vmcnt(0)
	v_lshrrev_b32_e32 v21, 16, v4
	v_lshl_or_b32 v2, v9, 1, v2
	v_add3_u32 v8, v3, v11, 0
	s_mov_b64 s[6:7], 0
	v_mov_b32_e32 v9, s15
	s_mov_b32 s9, 0x800000
	v_mov_b32_e32 v10, s17
	s_branch .LBB37_15
.LBB37_14:                              ;   in Loop: Header=BB37_15 Depth=1
	s_or_b64 exec, exec, s[2:3]
	v_cvt_f16_f32_e32 v24, v3
	v_ashrrev_i32_e32 v3, 31, v2
	v_cvt_f16_f32_e32 v11, v11
	v_lshlrev_b64 v[22:23], 1, v[2:3]
	v_add_co_u32_e64 v22, s[2:3], s16, v22
	v_addc_co_u32_e64 v23, s[2:3], v10, v23, s[2:3]
	s_add_i32 s8, s8, 1
	v_cmp_ge_i32_e64 s[2:3], s8, v7
	v_pack_b32_f16 v3, v24, v11
	v_add_u32_e32 v2, 64, v2
	s_or_b64 s[6:7], s[2:3], s[6:7]
	v_add_u32_e32 v8, 0x80, v8
	global_store_dword v[22:23], v3, off
	s_andn2_b64 exec, exec, s[6:7]
	s_cbranch_execz .LBB37_17
.LBB37_15:                              ; =>This Inner Loop Header: Depth=1
	ds_read_b32 v3, v8
	s_waitcnt lgkmcnt(0)
	v_cvt_f32_f16_sdwa v22, v3 dst_sel:DWORD dst_unused:UNUSED_PAD src0_sel:WORD_1
	v_cvt_f32_f16_e32 v23, v3
	v_pk_mul_f32 v[24:25], v[22:23], v[22:23]
	v_add_f32_e32 v3, v24, v25
	ds_bpermute_b32 v11, v5, v3
	v_mov_b32_e32 v25, v9
	v_add_u32_e32 v24, s8, v0
	v_cmp_gt_i32_e64 s[2:3], s12, v24
	v_cndmask_b32_e64 v24, v4, v1, s[2:3]
	s_waitcnt lgkmcnt(0)
	v_add_f32_e32 v3, v3, v11
	ds_bpermute_b32 v11, v6, v3
	s_waitcnt lgkmcnt(0)
	v_add_f32_e32 v3, v3, v11
	ds_bpermute_b32 v11, v12, v3
	;; [unrolled: 3-line block ×4, first 2 shown]
	s_waitcnt lgkmcnt(0)
	v_add_f32_e32 v3, v3, v11
	v_fmac_f32_e32 v25, 0x3c800000, v3
	v_mul_f32_e32 v3, 0x4b800000, v25
	v_cmp_gt_f32_e64 s[4:5], s9, v25
	v_cndmask_b32_e64 v3, v25, v3, s[4:5]
	v_rsq_f32_e32 v3, v3
	v_cvt_f32_f16_e32 v11, v24
	v_cndmask_b32_e64 v24, v21, v20, s[2:3]
	v_cvt_f32_f16_e32 v24, v24
	v_mul_f32_e32 v25, 0x45800000, v3
	v_cndmask_b32_e64 v3, v3, v25, s[4:5]
	v_mul_f32_e32 v11, v3, v11
	v_mul_f32_e32 v24, v3, v24
	;; [unrolled: 1-line block ×4, first 2 shown]
	s_and_saveexec_b64 s[2:3], vcc
	s_cbranch_execz .LBB37_14
; %bb.16:                               ;   in Loop: Header=BB37_15 Depth=1
	; wave barrier
	ds_read_u16 v22, v17
	ds_read_u16 v23, v16
	ds_bpermute_b32 v24, v15, v3
	ds_read_u16 v25, v19
	ds_read_u16 v26, v18
	ds_bpermute_b32 v27, v15, v11
	s_waitcnt lgkmcnt(5)
	v_cvt_f32_f16_e32 v22, v22
	s_waitcnt lgkmcnt(2)
	v_cvt_f32_f16_e32 v25, v25
	v_cndmask_b32_e64 v24, v24, -v24, s[0:1]
	v_mul_f32_e32 v22, v24, v22
	v_fma_mix_f32 v3, v3, v23, v22 op_sel_hi:[0,1,0]
	s_waitcnt lgkmcnt(0)
	v_cndmask_b32_e64 v22, v27, -v27, s[0:1]
	v_mul_f32_e32 v22, v22, v25
	v_fma_mix_f32 v11, v11, v26, v22 op_sel_hi:[0,1,0]
	; wave barrier
	s_branch .LBB37_14
.LBB37_17:
	s_endpgm
	.section	.rodata,"a",@progbits
	.p2align	6, 0x0
	.amdhsa_kernel _ZN12tensorrt_llm7kernels32fusedQKNormRopeKernelNTokenHeadsIN3c104HalfES3_Li64ELb0ELi4EEEvPviiifPKvS6_S6_PKlii
		.amdhsa_group_segment_fixed_size 0
		.amdhsa_private_segment_fixed_size 0
		.amdhsa_kernarg_size 320
		.amdhsa_user_sgpr_count 6
		.amdhsa_user_sgpr_private_segment_buffer 1
		.amdhsa_user_sgpr_dispatch_ptr 0
		.amdhsa_user_sgpr_queue_ptr 0
		.amdhsa_user_sgpr_kernarg_segment_ptr 1
		.amdhsa_user_sgpr_dispatch_id 0
		.amdhsa_user_sgpr_flat_scratch_init 0
		.amdhsa_user_sgpr_kernarg_preload_length 0
		.amdhsa_user_sgpr_kernarg_preload_offset 0
		.amdhsa_user_sgpr_private_segment_size 0
		.amdhsa_uses_dynamic_stack 0
		.amdhsa_system_sgpr_private_segment_wavefront_offset 0
		.amdhsa_system_sgpr_workgroup_id_x 1
		.amdhsa_system_sgpr_workgroup_id_y 0
		.amdhsa_system_sgpr_workgroup_id_z 0
		.amdhsa_system_sgpr_workgroup_info 0
		.amdhsa_system_vgpr_workitem_id 0
		.amdhsa_next_free_vgpr 28
		.amdhsa_next_free_sgpr 24
		.amdhsa_accum_offset 28
		.amdhsa_reserve_vcc 1
		.amdhsa_reserve_flat_scratch 0
		.amdhsa_float_round_mode_32 0
		.amdhsa_float_round_mode_16_64 0
		.amdhsa_float_denorm_mode_32 3
		.amdhsa_float_denorm_mode_16_64 3
		.amdhsa_dx10_clamp 1
		.amdhsa_ieee_mode 1
		.amdhsa_fp16_overflow 0
		.amdhsa_tg_split 0
		.amdhsa_exception_fp_ieee_invalid_op 0
		.amdhsa_exception_fp_denorm_src 0
		.amdhsa_exception_fp_ieee_div_zero 0
		.amdhsa_exception_fp_ieee_overflow 0
		.amdhsa_exception_fp_ieee_underflow 0
		.amdhsa_exception_fp_ieee_inexact 0
		.amdhsa_exception_int_div_zero 0
	.end_amdhsa_kernel
	.section	.text._ZN12tensorrt_llm7kernels32fusedQKNormRopeKernelNTokenHeadsIN3c104HalfES3_Li64ELb0ELi4EEEvPviiifPKvS6_S6_PKlii,"axG",@progbits,_ZN12tensorrt_llm7kernels32fusedQKNormRopeKernelNTokenHeadsIN3c104HalfES3_Li64ELb0ELi4EEEvPviiifPKvS6_S6_PKlii,comdat
.Lfunc_end37:
	.size	_ZN12tensorrt_llm7kernels32fusedQKNormRopeKernelNTokenHeadsIN3c104HalfES3_Li64ELb0ELi4EEEvPviiifPKvS6_S6_PKlii, .Lfunc_end37-_ZN12tensorrt_llm7kernels32fusedQKNormRopeKernelNTokenHeadsIN3c104HalfES3_Li64ELb0ELi4EEEvPviiifPKvS6_S6_PKlii
                                        ; -- End function
	.section	.AMDGPU.csdata,"",@progbits
; Kernel info:
; codeLenInByte = 1988
; NumSgprs: 28
; NumVgprs: 28
; NumAgprs: 0
; TotalNumVgprs: 28
; ScratchSize: 0
; MemoryBound: 0
; FloatMode: 240
; IeeeMode: 1
; LDSByteSize: 0 bytes/workgroup (compile time only)
; SGPRBlocks: 3
; VGPRBlocks: 3
; NumSGPRsForWavesPerEU: 28
; NumVGPRsForWavesPerEU: 28
; AccumOffset: 28
; Occupancy: 8
; WaveLimiterHint : 0
; COMPUTE_PGM_RSRC2:SCRATCH_EN: 0
; COMPUTE_PGM_RSRC2:USER_SGPR: 6
; COMPUTE_PGM_RSRC2:TRAP_HANDLER: 0
; COMPUTE_PGM_RSRC2:TGID_X_EN: 1
; COMPUTE_PGM_RSRC2:TGID_Y_EN: 0
; COMPUTE_PGM_RSRC2:TGID_Z_EN: 0
; COMPUTE_PGM_RSRC2:TIDIG_COMP_CNT: 0
; COMPUTE_PGM_RSRC3_GFX90A:ACCUM_OFFSET: 6
; COMPUTE_PGM_RSRC3_GFX90A:TG_SPLIT: 0
	.section	.text._ZN12tensorrt_llm7kernels32fusedQKNormRopeKernelNTokenHeadsIN3c104HalfES3_Li128ELb1ELi4EEEvPviiifPKvS6_S6_PKlii,"axG",@progbits,_ZN12tensorrt_llm7kernels32fusedQKNormRopeKernelNTokenHeadsIN3c104HalfES3_Li128ELb1ELi4EEEvPviiifPKvS6_S6_PKlii,comdat
	.protected	_ZN12tensorrt_llm7kernels32fusedQKNormRopeKernelNTokenHeadsIN3c104HalfES3_Li128ELb1ELi4EEEvPviiifPKvS6_S6_PKlii ; -- Begin function _ZN12tensorrt_llm7kernels32fusedQKNormRopeKernelNTokenHeadsIN3c104HalfES3_Li128ELb1ELi4EEEvPviiifPKvS6_S6_PKlii
	.globl	_ZN12tensorrt_llm7kernels32fusedQKNormRopeKernelNTokenHeadsIN3c104HalfES3_Li128ELb1ELi4EEEvPviiifPKvS6_S6_PKlii
	.p2align	8
	.type	_ZN12tensorrt_llm7kernels32fusedQKNormRopeKernelNTokenHeadsIN3c104HalfES3_Li128ELb1ELi4EEEvPviiifPKvS6_S6_PKlii,@function
_ZN12tensorrt_llm7kernels32fusedQKNormRopeKernelNTokenHeadsIN3c104HalfES3_Li128ELb1ELi4EEEvPviiifPKvS6_S6_PKlii: ; @_ZN12tensorrt_llm7kernels32fusedQKNormRopeKernelNTokenHeadsIN3c104HalfES3_Li128ELb1ELi4EEEvPviiifPKvS6_S6_PKlii
; %bb.0:
	s_load_dwordx4 s[12:15], s[4:5], 0x8
	s_load_dwordx2 s[16:17], s[4:5], 0x38
	s_load_dword s1, s[4:5], 0x4c
	v_lshrrev_b32_e32 v2, 5, v0
	s_waitcnt lgkmcnt(0)
	s_add_i32 s0, s13, s12
	s_add_i32 s2, s0, 3
	s_ashr_i32 s3, s2, 31
	s_lshr_b32 s3, s3, 30
	s_add_i32 s2, s2, s3
	s_ashr_i32 s20, s2, 2
	s_abs_i32 s2, s20
	v_cvt_f32_u32_e32 v1, s2
	s_bfe_u32 s1, s1, 0xb0005
	s_mul_i32 s6, s6, s1
	s_sub_i32 s3, 0, s2
	v_rcp_iflag_f32_e32 v3, v1
	v_add_u32_e32 v1, s6, v2
	v_sub_u32_e32 v4, 0, v1
	v_max_i32_e32 v4, v1, v4
	v_mul_f32_e32 v3, 0x4f7ffffe, v3
	v_cvt_u32_f32_e32 v3, v3
	v_xor_b32_e32 v5, s20, v1
	v_ashrrev_i32_e32 v5, 31, v5
	v_mul_lo_u32 v6, s3, v3
	v_mul_hi_u32 v6, v3, v6
	v_add_u32_e32 v3, v3, v6
	v_mul_hi_u32 v3, v4, v3
	v_mul_lo_u32 v6, v3, s2
	v_sub_u32_e32 v4, v4, v6
	v_add_u32_e32 v6, 1, v3
	v_cmp_le_u32_e32 vcc, s2, v4
	v_cndmask_b32_e32 v3, v3, v6, vcc
	v_subrev_u32_e32 v6, s2, v4
	v_cndmask_b32_e32 v4, v4, v6, vcc
	v_add_u32_e32 v6, 1, v3
	v_cmp_le_u32_e32 vcc, s2, v4
	v_cndmask_b32_e32 v3, v3, v6, vcc
	v_xor_b32_e32 v3, v3, v5
	v_sub_u32_e32 v4, v3, v5
	v_cmp_gt_i32_e32 vcc, s16, v4
	s_and_saveexec_b64 s[2:3], vcc
	s_cbranch_execz .LBB38_12
; %bb.1:
	v_and_b32_e32 v6, 31, v0
	v_mul_lo_u32 v0, v4, s20
	v_sub_u32_e32 v0, v1, v0
	s_load_dwordx2 s[2:3], s[4:5], 0x0
	v_lshlrev_b32_e32 v10, 2, v0
	v_add_u32_e32 v0, 4, v10
	v_sub_u32_e32 v3, s0, v10
	v_cmp_lt_i32_e32 vcc, s0, v0
	v_cndmask_b32_e32 v11, 4, v3, vcc
	s_lshl_b32 s18, s17, 1
	s_mul_i32 s16, s18, s1
	v_lshlrev_b32_e32 v9, 10, v2
	v_cmp_lt_i32_e64 s[0:1], 0, v11
	v_lshlrev_b32_e32 v8, 3, v6
	v_lshlrev_b32_e32 v7, 9, v1
	s_and_saveexec_b64 s[6:7], s[0:1]
	s_cbranch_execz .LBB38_4
; %bb.2:
	s_add_i32 s8, s16, 0
	v_add3_u32 v3, s8, v9, v8
	s_add_i32 s8, s14, s13
	s_add_i32 s8, s8, s12
	s_lshl_b32 s9, s20, 2
	s_sub_i32 s8, s8, s9
	v_mul_lo_u32 v0, s8, v4
	v_lshl_add_u32 v0, v0, 7, v7
	s_mov_b32 s10, 0
	v_lshl_or_b32 v0, v6, 2, v0
	s_mov_b64 s[8:9], 0
	s_waitcnt lgkmcnt(0)
	v_mov_b32_e32 v5, s3
.LBB38_3:                               ; =>This Inner Loop Header: Depth=1
	v_ashrrev_i32_e32 v1, 31, v0
	v_lshlrev_b64 v[12:13], 1, v[0:1]
	v_add_co_u32_e32 v12, vcc, s2, v12
	v_addc_co_u32_e32 v13, vcc, v5, v13, vcc
	global_load_dwordx2 v[12:13], v[12:13], off
	s_add_i32 s10, s10, 1
	v_cmp_ge_i32_e32 vcc, s10, v11
	v_add_u32_e32 v0, 0x80, v0
	s_or_b64 s[8:9], vcc, s[8:9]
	s_waitcnt vmcnt(0)
	ds_write_b64 v3, v[12:13]
	v_add_u32_e32 v3, 0x100, v3
	s_andn2_b64 exec, exec, s[8:9]
	s_cbranch_execnz .LBB38_3
.LBB38_4:
	s_or_b64 exec, exec, s[6:7]
	s_add_i32 s18, s18, 15
	s_load_dwordx8 s[4:11], s[4:5], 0x18
	s_ashr_i32 s19, s18, 31
	s_lshr_b32 s19, s19, 28
	s_add_i32 s18, s18, s19
	s_ashr_i32 s21, s18, 4
	v_mul_lo_u32 v0, v2, s17
	v_cmp_gt_i32_e32 vcc, s21, v6
	v_lshlrev_b32_e32 v13, 1, v0
	s_and_saveexec_b64 s[18:19], vcc
	s_cbranch_execz .LBB38_7
; %bb.5:
	v_ashrrev_i32_e32 v5, 31, v4
	v_lshlrev_b64 v[0:1], 3, v[4:5]
	s_waitcnt lgkmcnt(0)
	v_mov_b32_e32 v2, s11
	v_add_co_u32_e32 v0, vcc, s10, v0
	v_addc_co_u32_e32 v1, vcc, v2, v1, vcc
	global_load_dwordx2 v[0:1], v[0:1], off
	s_ashr_i32 s22, s17, 31
	v_lshlrev_b32_e32 v3, 4, v6
	v_mov_b32_e32 v5, s9
	s_mov_b64 s[10:11], 0
	v_add3_u32 v2, v13, v3, 0
	s_waitcnt vmcnt(0)
	v_mul_lo_u32 v12, v1, s17
	v_mul_lo_u32 v14, v0, s22
	v_mad_u64_u32 v[0:1], s[22:23], v0, s17, 0
	v_add3_u32 v1, v1, v14, v12
	v_lshlrev_b64 v[0:1], 1, v[0:1]
	v_add_co_u32_e32 v0, vcc, v0, v3
	v_addc_co_u32_e32 v1, vcc, 0, v1, vcc
	v_add_co_u32_e32 v0, vcc, s8, v0
	v_addc_co_u32_e32 v1, vcc, v5, v1, vcc
	v_mov_b32_e32 v3, v6
.LBB38_6:                               ; =>This Inner Loop Header: Depth=1
	global_load_dwordx4 v[14:17], v[0:1], off
	v_add_co_u32_e32 v0, vcc, 0x200, v0
	v_add_u32_e32 v3, 32, v3
	v_addc_co_u32_e32 v1, vcc, 0, v1, vcc
	v_cmp_le_i32_e32 vcc, s21, v3
	s_or_b64 s[10:11], vcc, s[10:11]
	s_waitcnt vmcnt(0)
	ds_write_b128 v2, v[14:17]
	v_add_u32_e32 v2, 0x200, v2
	s_andn2_b64 exec, exec, s[10:11]
	s_cbranch_execnz .LBB38_6
.LBB38_7:
	s_or_b64 exec, exec, s[18:19]
	s_and_b64 exec, exec, s[0:1]
	s_cbranch_execz .LBB38_12
; %bb.8:
	s_waitcnt lgkmcnt(0)
	global_load_dwordx2 v[0:1], v8, s[4:5]
	global_load_dwordx2 v[2:3], v8, s[6:7]
	v_mbcnt_lo_u32_b32 v14, -1, 0
	v_add_u32_e32 v9, s16, v9
	v_mbcnt_hi_u32_b32 v16, -1, v14
	v_add3_u32 v14, v9, v8, 0
	v_and_b32_e32 v8, 0x60, v16
	v_xor_b32_e32 v9, 16, v16
	v_add_u32_e32 v8, 32, v8
	v_xor_b32_e32 v17, 8, v16
	v_cmp_lt_i32_e32 vcc, v9, v8
	s_add_i32 s8, s14, s13
	v_xor_b32_e32 v18, 4, v16
	v_cndmask_b32_e32 v9, v16, v9, vcc
	v_cmp_lt_i32_e32 vcc, v17, v8
	s_ashr_i32 s1, s17, 31
	s_lshl_b32 s9, s20, 2
	s_add_i32 s8, s8, s12
	v_xor_b32_e32 v19, 2, v16
	v_cndmask_b32_e32 v17, v16, v17, vcc
	v_cmp_lt_i32_e32 vcc, v18, v8
	s_lshr_b32 s0, s17, 31
	s_lshr_b32 s1, s1, 30
	v_xor_b32_e32 v20, 1, v16
	s_sub_i32 s8, s8, s9
	v_cndmask_b32_e32 v18, v16, v18, vcc
	v_cmp_lt_i32_e32 vcc, v19, v8
	v_lshlrev_b32_e32 v5, 2, v6
	s_add_i32 s0, s17, s0
	s_add_i32 s1, s17, s1
	v_mul_lo_u32 v4, s8, v4
	v_cndmask_b32_e32 v19, v16, v19, vcc
	v_cmp_lt_i32_e32 vcc, v20, v8
	v_add3_u32 v13, 0, v13, v5
	s_and_b32 s0, s0, -2
	s_ashr_i32 s1, s1, 2
	v_cndmask_b32_e32 v8, v16, v20, vcc
	v_lshl_add_u32 v4, v4, 7, v7
	s_mov_b32 s6, 0
	s_mov_b64 s[4:5], 0
	v_mov_b32_e32 v12, s15
	s_mov_b32 s7, 0x800000
	v_add_u32_e32 v15, s0, v13
	v_cmp_gt_i32_e32 vcc, s1, v6
	v_lshlrev_b32_e32 v16, 2, v9
	v_lshlrev_b32_e32 v17, 2, v17
	;; [unrolled: 1-line block ×5, first 2 shown]
	v_or_b32_e32 v4, v4, v5
	s_waitcnt vmcnt(1)
	v_lshrrev_b32_e32 v21, 16, v0
	s_waitcnt vmcnt(0)
	v_lshrrev_b32_e32 v22, 16, v2
	v_lshrrev_b32_e32 v23, 16, v1
	;; [unrolled: 1-line block ×3, first 2 shown]
	s_branch .LBB38_10
.LBB38_9:                               ;   in Loop: Header=BB38_10 Depth=1
	s_or_b64 exec, exec, s[0:1]
	v_ashrrev_i32_e32 v5, 31, v4
	v_cvt_f16_f32_e32 v25, v6
	v_cvt_f16_f32_e32 v26, v7
	;; [unrolled: 1-line block ×4, first 2 shown]
	v_lshlrev_b64 v[6:7], 1, v[4:5]
	v_mov_b32_e32 v5, s3
	v_add_co_u32_e64 v6, s[0:1], s2, v6
	v_addc_co_u32_e64 v7, s[0:1], v5, v7, s[0:1]
	s_add_i32 s6, s6, 1
	v_cmp_ge_i32_e64 s[0:1], s6, v11
	v_pack_b32_f16 v9, v8, v9
	v_pack_b32_f16 v8, v25, v26
	v_add_u32_e32 v4, 0x80, v4
	s_or_b64 s[4:5], s[0:1], s[4:5]
	v_add_u32_e32 v14, 0x100, v14
	global_store_dwordx2 v[6:7], v[8:9], off
	s_andn2_b64 exec, exec, s[4:5]
	s_cbranch_execz .LBB38_12
.LBB38_10:                              ; =>This Inner Loop Header: Depth=1
	ds_read_b64 v[6:7], v14
	s_waitcnt lgkmcnt(0)
	v_cvt_f32_f16_sdwa v9, v7 dst_sel:DWORD dst_unused:UNUSED_PAD src0_sel:WORD_1
	v_cvt_f32_f16_e32 v8, v7
	v_cvt_f32_f16_sdwa v7, v6 dst_sel:DWORD dst_unused:UNUSED_PAD src0_sel:WORD_1
	v_cvt_f32_f16_e32 v6, v6
	v_pk_mul_f32 v[26:27], v[8:9], v[8:9]
	v_pk_mul_f32 v[28:29], v[6:7], v[6:7]
	v_add_f32_e32 v5, v28, v29
	v_add_f32_e32 v5, v5, v26
	;; [unrolled: 1-line block ×3, first 2 shown]
	ds_bpermute_b32 v25, v16, v5
	v_add_u32_e32 v26, s6, v10
	v_mov_b32_e32 v28, v12
	v_cmp_gt_i32_e64 s[0:1], s12, v26
	v_cndmask_b32_e64 v26, v22, v21, s[0:1]
	s_waitcnt lgkmcnt(0)
	v_add_f32_e32 v5, v5, v25
	ds_bpermute_b32 v25, v17, v5
	v_cndmask_b32_e64 v29, v2, v0, s[0:1]
	v_cndmask_b32_e64 v30, v24, v23, s[0:1]
	;; [unrolled: 1-line block ×3, first 2 shown]
	v_cvt_f32_f16_e32 v27, v26
	s_waitcnt lgkmcnt(0)
	v_add_f32_e32 v5, v5, v25
	ds_bpermute_b32 v25, v18, v5
	v_cvt_f32_f16_e32 v26, v29
	v_cvt_f32_f16_e32 v29, v30
	s_waitcnt lgkmcnt(0)
	v_add_f32_e32 v5, v5, v25
	ds_bpermute_b32 v25, v19, v5
	s_waitcnt lgkmcnt(0)
	v_add_f32_e32 v5, v5, v25
	ds_bpermute_b32 v25, v20, v5
	s_waitcnt lgkmcnt(0)
	v_add_f32_e32 v5, v5, v25
	v_fmac_f32_e32 v28, 0x3c000000, v5
	v_mul_f32_e32 v5, 0x4b800000, v28
	v_cmp_gt_f32_e64 s[0:1], s7, v28
	v_cndmask_b32_e64 v5, v28, v5, s[0:1]
	v_rsq_f32_e32 v5, v5
	v_cvt_f32_f16_e32 v28, v31
	v_mul_f32_e32 v25, 0x45800000, v5
	v_cndmask_b32_e64 v30, v5, v25, s[0:1]
	v_pk_mul_f32 v[26:27], v[30:31], v[26:27] op_sel_hi:[0,1]
	v_pk_mul_f32 v[28:29], v[30:31], v[28:29] op_sel_hi:[0,1]
	v_pk_mul_f32 v[6:7], v[26:27], v[6:7]
	v_pk_mul_f32 v[8:9], v[28:29], v[8:9]
	s_and_saveexec_b64 s[0:1], vcc
	s_cbranch_execz .LBB38_9
; %bb.11:                               ;   in Loop: Header=BB38_10 Depth=1
	ds_read_u16 v5, v15
	ds_read_u16 v25, v13
	ds_read_u16 v27, v13 offset:2
	ds_read_u16 v29, v15 offset:2
	s_waitcnt lgkmcnt(3)
	v_cvt_f32_f16_e32 v26, v5
	s_waitcnt lgkmcnt(2)
	v_cvt_f32_f16_e32 v28, v25
	;; [unrolled: 2-line block ×4, first 2 shown]
	v_pk_mul_f32 v[26:27], v[6:7], v[26:27] op_sel_hi:[1,0]
	v_pk_mul_f32 v[32:33], v[6:7], v[28:29] op_sel_hi:[1,0]
	v_pk_fma_f32 v[6:7], v[6:7], v[28:29], v[26:27] op_sel:[0,0,1] op_sel_hi:[1,0,0]
	v_mov_b32_e32 v26, v9
	v_mov_b32_e32 v6, v31
	v_pk_mul_f32 v[28:29], v[26:27], v[30:31]
	v_pk_mul_f32 v[34:35], v[8:9], v[30:31]
	v_pk_fma_f32 v[28:29], v[8:9], v[6:7], v[28:29] op_sel_hi:[1,0,1] neg_lo:[0,0,1] neg_hi:[0,0,1]
	v_mov_b32_e32 v6, v35
	v_pk_fma_f32 v[30:31], v[8:9], v[30:31], v[6:7]
	v_sub_f32_e32 v6, v32, v27
	v_mov_b32_e32 v8, v28
	v_mov_b32_e32 v9, v30
	s_branch .LBB38_9
.LBB38_12:
	s_endpgm
	.section	.rodata,"a",@progbits
	.p2align	6, 0x0
	.amdhsa_kernel _ZN12tensorrt_llm7kernels32fusedQKNormRopeKernelNTokenHeadsIN3c104HalfES3_Li128ELb1ELi4EEEvPviiifPKvS6_S6_PKlii
		.amdhsa_group_segment_fixed_size 0
		.amdhsa_private_segment_fixed_size 0
		.amdhsa_kernarg_size 320
		.amdhsa_user_sgpr_count 6
		.amdhsa_user_sgpr_private_segment_buffer 1
		.amdhsa_user_sgpr_dispatch_ptr 0
		.amdhsa_user_sgpr_queue_ptr 0
		.amdhsa_user_sgpr_kernarg_segment_ptr 1
		.amdhsa_user_sgpr_dispatch_id 0
		.amdhsa_user_sgpr_flat_scratch_init 0
		.amdhsa_user_sgpr_kernarg_preload_length 0
		.amdhsa_user_sgpr_kernarg_preload_offset 0
		.amdhsa_user_sgpr_private_segment_size 0
		.amdhsa_uses_dynamic_stack 0
		.amdhsa_system_sgpr_private_segment_wavefront_offset 0
		.amdhsa_system_sgpr_workgroup_id_x 1
		.amdhsa_system_sgpr_workgroup_id_y 0
		.amdhsa_system_sgpr_workgroup_id_z 0
		.amdhsa_system_sgpr_workgroup_info 0
		.amdhsa_system_vgpr_workitem_id 0
		.amdhsa_next_free_vgpr 36
		.amdhsa_next_free_sgpr 24
		.amdhsa_accum_offset 36
		.amdhsa_reserve_vcc 1
		.amdhsa_reserve_flat_scratch 0
		.amdhsa_float_round_mode_32 0
		.amdhsa_float_round_mode_16_64 0
		.amdhsa_float_denorm_mode_32 3
		.amdhsa_float_denorm_mode_16_64 3
		.amdhsa_dx10_clamp 1
		.amdhsa_ieee_mode 1
		.amdhsa_fp16_overflow 0
		.amdhsa_tg_split 0
		.amdhsa_exception_fp_ieee_invalid_op 0
		.amdhsa_exception_fp_denorm_src 0
		.amdhsa_exception_fp_ieee_div_zero 0
		.amdhsa_exception_fp_ieee_overflow 0
		.amdhsa_exception_fp_ieee_underflow 0
		.amdhsa_exception_fp_ieee_inexact 0
		.amdhsa_exception_int_div_zero 0
	.end_amdhsa_kernel
	.section	.text._ZN12tensorrt_llm7kernels32fusedQKNormRopeKernelNTokenHeadsIN3c104HalfES3_Li128ELb1ELi4EEEvPviiifPKvS6_S6_PKlii,"axG",@progbits,_ZN12tensorrt_llm7kernels32fusedQKNormRopeKernelNTokenHeadsIN3c104HalfES3_Li128ELb1ELi4EEEvPviiifPKvS6_S6_PKlii,comdat
.Lfunc_end38:
	.size	_ZN12tensorrt_llm7kernels32fusedQKNormRopeKernelNTokenHeadsIN3c104HalfES3_Li128ELb1ELi4EEEvPviiifPKvS6_S6_PKlii, .Lfunc_end38-_ZN12tensorrt_llm7kernels32fusedQKNormRopeKernelNTokenHeadsIN3c104HalfES3_Li128ELb1ELi4EEEvPviiifPKvS6_S6_PKlii
                                        ; -- End function
	.section	.AMDGPU.csdata,"",@progbits
; Kernel info:
; codeLenInByte = 1524
; NumSgprs: 28
; NumVgprs: 36
; NumAgprs: 0
; TotalNumVgprs: 36
; ScratchSize: 0
; MemoryBound: 0
; FloatMode: 240
; IeeeMode: 1
; LDSByteSize: 0 bytes/workgroup (compile time only)
; SGPRBlocks: 3
; VGPRBlocks: 4
; NumSGPRsForWavesPerEU: 28
; NumVGPRsForWavesPerEU: 36
; AccumOffset: 36
; Occupancy: 8
; WaveLimiterHint : 0
; COMPUTE_PGM_RSRC2:SCRATCH_EN: 0
; COMPUTE_PGM_RSRC2:USER_SGPR: 6
; COMPUTE_PGM_RSRC2:TRAP_HANDLER: 0
; COMPUTE_PGM_RSRC2:TGID_X_EN: 1
; COMPUTE_PGM_RSRC2:TGID_Y_EN: 0
; COMPUTE_PGM_RSRC2:TGID_Z_EN: 0
; COMPUTE_PGM_RSRC2:TIDIG_COMP_CNT: 0
; COMPUTE_PGM_RSRC3_GFX90A:ACCUM_OFFSET: 8
; COMPUTE_PGM_RSRC3_GFX90A:TG_SPLIT: 0
	.section	.text._ZN12tensorrt_llm7kernels32fusedQKNormRopeKernelNTokenHeadsIN3c104HalfES3_Li128ELb0ELi4EEEvPviiifPKvS6_S6_PKlii,"axG",@progbits,_ZN12tensorrt_llm7kernels32fusedQKNormRopeKernelNTokenHeadsIN3c104HalfES3_Li128ELb0ELi4EEEvPviiifPKvS6_S6_PKlii,comdat
	.protected	_ZN12tensorrt_llm7kernels32fusedQKNormRopeKernelNTokenHeadsIN3c104HalfES3_Li128ELb0ELi4EEEvPviiifPKvS6_S6_PKlii ; -- Begin function _ZN12tensorrt_llm7kernels32fusedQKNormRopeKernelNTokenHeadsIN3c104HalfES3_Li128ELb0ELi4EEEvPviiifPKvS6_S6_PKlii
	.globl	_ZN12tensorrt_llm7kernels32fusedQKNormRopeKernelNTokenHeadsIN3c104HalfES3_Li128ELb0ELi4EEEvPviiifPKvS6_S6_PKlii
	.p2align	8
	.type	_ZN12tensorrt_llm7kernels32fusedQKNormRopeKernelNTokenHeadsIN3c104HalfES3_Li128ELb0ELi4EEEvPviiifPKvS6_S6_PKlii,@function
_ZN12tensorrt_llm7kernels32fusedQKNormRopeKernelNTokenHeadsIN3c104HalfES3_Li128ELb0ELi4EEEvPviiifPKvS6_S6_PKlii: ; @_ZN12tensorrt_llm7kernels32fusedQKNormRopeKernelNTokenHeadsIN3c104HalfES3_Li128ELb0ELi4EEEvPviiifPKvS6_S6_PKlii
; %bb.0:
	s_load_dwordx4 s[12:15], s[4:5], 0x8
	s_load_dwordx2 s[2:3], s[4:5], 0x38
	s_load_dword s1, s[4:5], 0x4c
	v_lshrrev_b32_e32 v2, 5, v0
	s_waitcnt lgkmcnt(0)
	s_add_i32 s0, s13, s12
	s_add_i32 s7, s0, 3
	s_ashr_i32 s8, s7, 31
	s_lshr_b32 s8, s8, 30
	s_add_i32 s7, s7, s8
	s_ashr_i32 s20, s7, 2
	s_abs_i32 s7, s20
	v_cvt_f32_u32_e32 v1, s7
	s_bfe_u32 s1, s1, 0xb0005
	s_mul_i32 s6, s6, s1
	v_rcp_iflag_f32_e32 v3, v1
	v_add_u32_e32 v1, s6, v2
	s_sub_i32 s6, 0, s7
	v_sub_u32_e32 v4, 0, v1
	v_mul_f32_e32 v3, 0x4f7ffffe, v3
	v_cvt_u32_f32_e32 v3, v3
	v_max_i32_e32 v4, v1, v4
	v_xor_b32_e32 v5, s20, v1
	v_ashrrev_i32_e32 v5, 31, v5
	v_mul_lo_u32 v6, s6, v3
	v_mul_hi_u32 v6, v3, v6
	v_add_u32_e32 v3, v3, v6
	v_mul_hi_u32 v3, v4, v3
	v_mul_lo_u32 v6, v3, s7
	v_sub_u32_e32 v4, v4, v6
	v_add_u32_e32 v6, 1, v3
	v_cmp_le_u32_e32 vcc, s7, v4
	v_cndmask_b32_e32 v3, v3, v6, vcc
	v_subrev_u32_e32 v6, s7, v4
	v_cndmask_b32_e32 v4, v4, v6, vcc
	v_add_u32_e32 v6, 1, v3
	v_cmp_le_u32_e32 vcc, s7, v4
	v_cndmask_b32_e32 v3, v3, v6, vcc
	v_xor_b32_e32 v3, v3, v5
	v_sub_u32_e32 v4, v3, v5
	v_cmp_gt_i32_e32 vcc, s2, v4
	s_and_saveexec_b64 s[6:7], vcc
	s_cbranch_execz .LBB39_12
; %bb.1:
	v_and_b32_e32 v8, 31, v0
	v_mul_lo_u32 v0, v4, s20
	v_sub_u32_e32 v0, v1, v0
	s_load_dwordx2 s[16:17], s[4:5], 0x0
	v_lshlrev_b32_e32 v6, 2, v0
	v_add_u32_e32 v0, 4, v6
	v_sub_u32_e32 v3, s0, v6
	v_cmp_lt_i32_e32 vcc, s0, v0
	v_cndmask_b32_e32 v7, 4, v3, vcc
	s_lshl_b32 s2, s3, 1
	s_mul_i32 s21, s2, s1
	v_lshlrev_b32_e32 v9, 10, v2
	v_cmp_lt_i32_e64 s[0:1], 0, v7
	v_lshlrev_b32_e32 v10, 3, v8
	v_lshlrev_b32_e32 v11, 9, v1
	s_and_saveexec_b64 s[6:7], s[0:1]
	s_cbranch_execz .LBB39_4
; %bb.2:
	s_add_i32 s8, s21, 0
	v_add3_u32 v3, s8, v9, v10
	s_add_i32 s8, s14, s13
	s_add_i32 s8, s8, s12
	s_lshl_b32 s9, s20, 2
	s_sub_i32 s8, s8, s9
	v_mul_lo_u32 v0, s8, v4
	v_lshl_add_u32 v0, v0, 7, v11
	s_mov_b32 s10, 0
	v_lshl_or_b32 v0, v8, 2, v0
	s_mov_b64 s[8:9], 0
	s_waitcnt lgkmcnt(0)
	v_mov_b32_e32 v5, s17
.LBB39_3:                               ; =>This Inner Loop Header: Depth=1
	v_ashrrev_i32_e32 v1, 31, v0
	v_lshlrev_b64 v[12:13], 1, v[0:1]
	v_add_co_u32_e32 v12, vcc, s16, v12
	v_addc_co_u32_e32 v13, vcc, v5, v13, vcc
	global_load_dwordx2 v[12:13], v[12:13], off
	s_add_i32 s10, s10, 1
	v_cmp_ge_i32_e32 vcc, s10, v7
	v_add_u32_e32 v0, 0x80, v0
	s_or_b64 s[8:9], vcc, s[8:9]
	s_waitcnt vmcnt(0)
	ds_write_b64 v3, v[12:13]
	v_add_u32_e32 v3, 0x100, v3
	s_andn2_b64 exec, exec, s[8:9]
	s_cbranch_execnz .LBB39_3
.LBB39_4:
	s_or_b64 exec, exec, s[6:7]
	s_add_i32 s2, s2, 15
	s_load_dwordx8 s[4:11], s[4:5], 0x18
	s_ashr_i32 s18, s2, 31
	s_lshr_b32 s18, s18, 28
	s_add_i32 s2, s2, s18
	s_ashr_i32 s2, s2, 4
	v_cmp_gt_i32_e32 vcc, s2, v8
	v_mul_lo_u32 v12, v2, s3
	s_and_saveexec_b64 s[18:19], vcc
	s_cbranch_execz .LBB39_7
; %bb.5:
	v_ashrrev_i32_e32 v5, 31, v4
	v_lshlrev_b64 v[0:1], 3, v[4:5]
	s_waitcnt lgkmcnt(0)
	v_mov_b32_e32 v2, s11
	v_add_co_u32_e32 v0, vcc, s10, v0
	v_addc_co_u32_e32 v1, vcc, v2, v1, vcc
	global_load_dwordx2 v[0:1], v[0:1], off
	s_ashr_i32 s22, s3, 31
	v_lshlrev_b32_e32 v3, 4, v8
	v_lshlrev_b32_e32 v2, 1, v12
	v_mov_b32_e32 v5, s9
	s_mov_b64 s[10:11], 0
	v_add3_u32 v2, v2, v3, 0
	s_waitcnt vmcnt(0)
	v_mul_lo_u32 v13, v1, s3
	v_mul_lo_u32 v14, v0, s22
	v_mad_u64_u32 v[0:1], s[22:23], v0, s3, 0
	v_add3_u32 v1, v1, v14, v13
	v_lshlrev_b64 v[0:1], 1, v[0:1]
	v_add_co_u32_e32 v0, vcc, v0, v3
	v_addc_co_u32_e32 v1, vcc, 0, v1, vcc
	v_add_co_u32_e32 v0, vcc, s8, v0
	v_addc_co_u32_e32 v1, vcc, v5, v1, vcc
	v_mov_b32_e32 v3, v8
.LBB39_6:                               ; =>This Inner Loop Header: Depth=1
	global_load_dwordx4 v[14:17], v[0:1], off
	v_add_co_u32_e32 v0, vcc, 0x200, v0
	v_add_u32_e32 v3, 32, v3
	v_addc_co_u32_e32 v1, vcc, 0, v1, vcc
	v_cmp_le_i32_e32 vcc, s2, v3
	s_or_b64 s[10:11], vcc, s[10:11]
	s_waitcnt vmcnt(0)
	ds_write_b128 v2, v[14:17]
	v_add_u32_e32 v2, 0x200, v2
	s_andn2_b64 exec, exec, s[10:11]
	s_cbranch_execnz .LBB39_6
.LBB39_7:
	s_or_b64 exec, exec, s[18:19]
	s_and_b64 exec, exec, s[0:1]
	s_cbranch_execz .LBB39_12
; %bb.8:
	s_waitcnt lgkmcnt(0)
	global_load_dwordx2 v[0:1], v10, s[4:5]
	global_load_dwordx2 v[2:3], v10, s[6:7]
	v_lshl_add_u32 v5, v12, 1, 0
	v_mbcnt_lo_u32_b32 v12, -1, 0
	s_abs_i32 s4, s3
	v_mbcnt_hi_u32_b32 v17, -1, v12
	v_cvt_f32_u32_e32 v14, s4
	v_and_b32_e32 v12, 0x60, v17
	v_xor_b32_e32 v13, 16, v17
	v_add_u32_e32 v12, 32, v12
	v_xor_b32_e32 v15, 8, v17
	v_cmp_lt_i32_e32 vcc, v13, v12
	v_xor_b32_e32 v16, 4, v17
	v_cndmask_b32_e32 v13, v17, v13, vcc
	v_cmp_lt_i32_e32 vcc, v15, v12
	v_rcp_iflag_f32_e32 v23, v14
	v_xor_b32_e32 v19, 2, v17
	v_cndmask_b32_e32 v15, v17, v15, vcc
	v_cmp_lt_i32_e32 vcc, v16, v12
	v_cndmask_b32_e32 v16, v17, v16, vcc
	v_cmp_lt_i32_e32 vcc, v19, v12
	v_xor_b32_e32 v20, 1, v17
	v_cndmask_b32_e32 v19, v17, v19, vcc
	v_cmp_lt_i32_e32 vcc, v20, v12
	v_lshlrev_b32_e32 v12, 2, v13
	v_lshlrev_b32_e32 v13, 2, v15
	v_lshlrev_b32_e32 v15, 2, v19
	v_mul_f32_e32 v19, 0x4f7ffffe, v23
	v_cvt_u32_f32_e32 v19, v19
	s_sub_i32 s5, 0, s4
	v_cndmask_b32_e32 v20, v17, v20, vcc
	s_ashr_i32 s1, s3, 31
	v_lshlrev_b32_e32 v14, 2, v16
	v_lshlrev_b32_e32 v16, 2, v20
	v_mul_lo_u32 v20, s5, v19
	s_lshr_b32 s2, s1, 30
	s_lshr_b32 s1, s1, 29
	v_mul_hi_u32 v20, v19, v20
	s_lshr_b32 s0, s3, 31
	s_add_i32 s1, s3, s1
	v_add_u32_e32 v30, v19, v20
	v_or_b32_e32 v18, 2, v10
	s_add_i32 s0, s3, s0
	v_and_b32_e32 v21, 64, v17
	s_ashr_i32 s1, s1, 3
	v_mul_hi_u32 v19, v10, v30
	s_and_b32 s0, s0, -2
	s_add_i32 s2, s3, s2
	v_add_u32_e32 v21, 64, v21
	v_xor_b32_e32 v22, s1, v17
	v_mul_hi_u32 v20, v18, v30
	v_mul_lo_u32 v19, v19, s4
	v_add_u32_e32 v29, s0, v5
	s_ashr_i32 s0, s2, 2
	v_cmp_lt_i32_e64 s[2:3], v22, v21
	v_mul_lo_u32 v20, v20, s4
	v_sub_u32_e32 v19, v10, v19
	v_or_b32_e32 v26, 4, v10
	v_cndmask_b32_e64 v17, v17, v22, s[2:3]
	v_sub_u32_e32 v18, v18, v20
	v_subrev_u32_e32 v20, s4, v19
	v_cmp_le_u32_e64 s[2:3], s4, v19
	v_subrev_u32_e32 v21, s4, v18
	v_cndmask_b32_e64 v19, v19, v20, s[2:3]
	v_cmp_le_u32_e64 s[2:3], s4, v18
	v_mul_hi_u32 v27, v26, v30
	v_cndmask_b32_e64 v24, v18, v21, s[2:3]
	v_subrev_u32_e32 v18, s4, v19
	v_cmp_le_u32_e64 s[2:3], s4, v19
	v_mul_lo_u32 v27, v27, s4
	v_or_b32_e32 v28, 6, v10
	v_cndmask_b32_e64 v18, v19, v18, s[2:3]
	v_subrev_u32_e32 v25, s4, v24
	v_cmp_le_u32_e64 s[2:3], s4, v24
	v_sub_u32_e32 v26, v26, v27
	v_cndmask_b32_e64 v24, v24, v25, s[2:3]
	v_subrev_u32_e32 v27, s4, v26
	v_cmp_le_u32_e64 s[2:3], s4, v26
	v_mul_hi_u32 v30, v28, v30
	v_cndmask_b32_e64 v26, v26, v27, s[2:3]
	v_mul_lo_u32 v30, v30, s4
	v_subrev_u32_e32 v27, s4, v26
	v_cmp_le_u32_e64 s[2:3], s4, v26
	v_sub_u32_e32 v28, v28, v30
	v_cndmask_b32_e64 v26, v26, v27, s[2:3]
	v_subrev_u32_e32 v30, s4, v28
	v_cmp_le_u32_e64 s[2:3], s4, v28
	v_cndmask_b32_e64 v28, v28, v30, s[2:3]
	v_subrev_u32_e32 v30, s4, v28
	v_cmp_le_u32_e64 s[2:3], s4, v28
	v_cndmask_b32_e64 v28, v28, v30, s[2:3]
	s_add_i32 s2, s14, s13
	s_add_i32 s2, s2, s12
	s_lshl_b32 s3, s20, 2
	s_sub_i32 s2, s2, s3
	v_and_b32_e32 v19, -2, v18
	v_and_b32_e32 v25, -2, v24
	;; [unrolled: 1-line block ×4, first 2 shown]
	v_mul_lo_u32 v4, s2, v4
	v_add_u32_e32 v18, v5, v19
	v_add_u32_e32 v24, v5, v25
	;; [unrolled: 1-line block ×4, first 2 shown]
	v_lshl_add_u32 v4, v4, 7, v11
	v_add_u32_e32 v5, s21, v9
	s_mov_b32 s6, 0
	v_cmp_gt_i32_e32 vcc, s0, v8
	v_cmp_gt_i32_e64 s[0:1], s1, v8
	v_lshlrev_b32_e32 v17, 2, v17
	v_add_u32_e32 v19, v29, v19
	s_waitcnt vmcnt(1)
	v_lshrrev_b32_e32 v20, 16, v0
	v_lshrrev_b32_e32 v21, 16, v1
	s_waitcnt vmcnt(0)
	v_lshrrev_b32_e32 v22, 16, v2
	v_lshrrev_b32_e32 v23, 16, v3
	v_add_u32_e32 v25, v29, v25
	v_add_u32_e32 v27, v29, v27
	v_add_u32_e32 v29, v29, v30
	v_lshl_or_b32 v4, v8, 2, v4
	v_add3_u32 v8, v5, v10, 0
	s_mov_b64 s[4:5], 0
	s_mov_b32 s7, 0x800000
	v_mov_b32_e32 v9, s15
	s_branch .LBB39_10
.LBB39_9:                               ;   in Loop: Header=BB39_10 Depth=1
	s_or_b64 exec, exec, s[2:3]
	v_cvt_f16_f32_e32 v32, v5
	v_ashrrev_i32_e32 v5, 31, v4
	v_cvt_f16_f32_e32 v33, v10
	v_cvt_f16_f32_e32 v31, v11
	;; [unrolled: 1-line block ×3, first 2 shown]
	v_lshlrev_b64 v[10:11], 1, v[4:5]
	v_mov_b32_e32 v5, s17
	v_add_co_u32_e64 v10, s[2:3], s16, v10
	v_addc_co_u32_e64 v11, s[2:3], v5, v11, s[2:3]
	s_add_i32 s6, s6, 1
	v_cmp_ge_i32_e64 s[2:3], s6, v7
	v_pack_b32_f16 v31, v31, v30
	v_pack_b32_f16 v30, v32, v33
	v_add_u32_e32 v4, 0x80, v4
	s_or_b64 s[4:5], s[2:3], s[4:5]
	v_add_u32_e32 v8, 0x100, v8
	global_store_dwordx2 v[10:11], v[30:31], off
	s_andn2_b64 exec, exec, s[4:5]
	s_cbranch_execz .LBB39_12
.LBB39_10:                              ; =>This Inner Loop Header: Depth=1
	ds_read_b64 v[10:11], v8
	v_add_u32_e32 v32, s6, v6
	v_mov_b32_e32 v33, v9
	v_cmp_gt_i32_e64 s[2:3], s12, v32
	v_cndmask_b32_e64 v32, v2, v0, s[2:3]
	s_waitcnt lgkmcnt(0)
	v_cvt_f32_f16_sdwa v30, v10 dst_sel:DWORD dst_unused:UNUSED_PAD src0_sel:WORD_1
	v_cndmask_b32_e64 v34, v22, v20, s[2:3]
	v_cndmask_b32_e64 v35, v3, v1, s[2:3]
	;; [unrolled: 1-line block ×3, first 2 shown]
	v_mul_f32_e32 v5, v30, v30
	v_fma_mix_f32 v5, v10, v10, v5 op_sel_hi:[1,1,0]
	v_fma_mix_f32 v5, v11, v11, v5 op_sel_hi:[1,1,0]
	v_fma_mix_f32 v5, v11, v11, v5 op_sel:[1,1,0] op_sel_hi:[1,1,0]
	ds_bpermute_b32 v31, v12, v5
	v_cvt_f32_f16_e32 v32, v32
	v_cvt_f32_f16_e32 v34, v34
	;; [unrolled: 1-line block ×4, first 2 shown]
	s_waitcnt lgkmcnt(0)
	v_add_f32_e32 v5, v5, v31
	ds_bpermute_b32 v31, v13, v5
	v_cvt_f32_f16_e32 v10, v10
	s_waitcnt lgkmcnt(0)
	v_add_f32_e32 v5, v5, v31
	ds_bpermute_b32 v31, v14, v5
	s_waitcnt lgkmcnt(0)
	v_add_f32_e32 v5, v5, v31
	ds_bpermute_b32 v31, v15, v5
	;; [unrolled: 3-line block ×3, first 2 shown]
	s_waitcnt lgkmcnt(0)
	v_add_f32_e32 v5, v5, v31
	v_fmac_f32_e32 v33, 0x3c000000, v5
	v_mul_f32_e32 v5, 0x4b800000, v33
	v_cmp_gt_f32_e64 s[2:3], s7, v33
	v_cndmask_b32_e64 v5, v33, v5, s[2:3]
	v_rsq_f32_e32 v5, v5
	v_cvt_f32_f16_e32 v31, v11
	v_cvt_f32_f16_sdwa v33, v11 dst_sel:DWORD dst_unused:UNUSED_PAD src0_sel:WORD_1
	v_mul_f32_e32 v11, 0x45800000, v5
	v_cndmask_b32_e64 v5, v5, v11, s[2:3]
	v_mul_f32_e32 v11, v5, v32
	v_mul_f32_e32 v32, v5, v34
	;; [unrolled: 1-line block ×8, first 2 shown]
	s_and_saveexec_b64 s[2:3], vcc
	s_cbranch_execz .LBB39_9
; %bb.11:                               ;   in Loop: Header=BB39_10 Depth=1
	ds_bpermute_b32 v31, v17, v5
	; wave barrier
	ds_read_u16 v32, v19
	ds_read_u16 v33, v24
	;; [unrolled: 1-line block ×7, first 2 shown]
	s_waitcnt lgkmcnt(6)
	v_cvt_f32_f16_e32 v32, v32
	ds_read_u16 v39, v18
	ds_bpermute_b32 v40, v17, v10
	v_cndmask_b32_e64 v31, v31, -v31, s[0:1]
	v_mul_f32_e32 v31, v31, v32
	s_waitcnt lgkmcnt(6)
	v_cvt_f32_f16_e32 v32, v34
	ds_bpermute_b32 v34, v17, v11
	s_waitcnt lgkmcnt(2)
	v_fma_mix_f32 v5, v5, v39, v31 op_sel_hi:[0,1,0]
	s_waitcnt lgkmcnt(1)
	v_cndmask_b32_e64 v31, v40, -v40, s[0:1]
	v_mul_f32_e32 v31, v31, v32
	v_fma_mix_f32 v10, v10, v33, v31 op_sel_hi:[0,1,0]
	v_cvt_f32_f16_e32 v31, v36
	ds_bpermute_b32 v32, v17, v30
	s_waitcnt lgkmcnt(1)
	v_cndmask_b32_e64 v33, v34, -v34, s[0:1]
	v_cvt_f32_f16_e32 v34, v38
	v_mul_f32_e32 v31, v33, v31
	v_fma_mix_f32 v11, v11, v35, v31 op_sel_hi:[0,1,0]
	s_waitcnt lgkmcnt(0)
	v_cndmask_b32_e64 v31, v32, -v32, s[0:1]
	v_mul_f32_e32 v31, v31, v34
	v_fma_mix_f32 v30, v30, v37, v31 op_sel_hi:[0,1,0]
	; wave barrier
	s_branch .LBB39_9
.LBB39_12:
	s_endpgm
	.section	.rodata,"a",@progbits
	.p2align	6, 0x0
	.amdhsa_kernel _ZN12tensorrt_llm7kernels32fusedQKNormRopeKernelNTokenHeadsIN3c104HalfES3_Li128ELb0ELi4EEEvPviiifPKvS6_S6_PKlii
		.amdhsa_group_segment_fixed_size 0
		.amdhsa_private_segment_fixed_size 0
		.amdhsa_kernarg_size 320
		.amdhsa_user_sgpr_count 6
		.amdhsa_user_sgpr_private_segment_buffer 1
		.amdhsa_user_sgpr_dispatch_ptr 0
		.amdhsa_user_sgpr_queue_ptr 0
		.amdhsa_user_sgpr_kernarg_segment_ptr 1
		.amdhsa_user_sgpr_dispatch_id 0
		.amdhsa_user_sgpr_flat_scratch_init 0
		.amdhsa_user_sgpr_kernarg_preload_length 0
		.amdhsa_user_sgpr_kernarg_preload_offset 0
		.amdhsa_user_sgpr_private_segment_size 0
		.amdhsa_uses_dynamic_stack 0
		.amdhsa_system_sgpr_private_segment_wavefront_offset 0
		.amdhsa_system_sgpr_workgroup_id_x 1
		.amdhsa_system_sgpr_workgroup_id_y 0
		.amdhsa_system_sgpr_workgroup_id_z 0
		.amdhsa_system_sgpr_workgroup_info 0
		.amdhsa_system_vgpr_workitem_id 0
		.amdhsa_next_free_vgpr 41
		.amdhsa_next_free_sgpr 24
		.amdhsa_accum_offset 44
		.amdhsa_reserve_vcc 1
		.amdhsa_reserve_flat_scratch 0
		.amdhsa_float_round_mode_32 0
		.amdhsa_float_round_mode_16_64 0
		.amdhsa_float_denorm_mode_32 3
		.amdhsa_float_denorm_mode_16_64 3
		.amdhsa_dx10_clamp 1
		.amdhsa_ieee_mode 1
		.amdhsa_fp16_overflow 0
		.amdhsa_tg_split 0
		.amdhsa_exception_fp_ieee_invalid_op 0
		.amdhsa_exception_fp_denorm_src 0
		.amdhsa_exception_fp_ieee_div_zero 0
		.amdhsa_exception_fp_ieee_overflow 0
		.amdhsa_exception_fp_ieee_underflow 0
		.amdhsa_exception_fp_ieee_inexact 0
		.amdhsa_exception_int_div_zero 0
	.end_amdhsa_kernel
	.section	.text._ZN12tensorrt_llm7kernels32fusedQKNormRopeKernelNTokenHeadsIN3c104HalfES3_Li128ELb0ELi4EEEvPviiifPKvS6_S6_PKlii,"axG",@progbits,_ZN12tensorrt_llm7kernels32fusedQKNormRopeKernelNTokenHeadsIN3c104HalfES3_Li128ELb0ELi4EEEvPviiifPKvS6_S6_PKlii,comdat
.Lfunc_end39:
	.size	_ZN12tensorrt_llm7kernels32fusedQKNormRopeKernelNTokenHeadsIN3c104HalfES3_Li128ELb0ELi4EEEvPviiifPKvS6_S6_PKlii, .Lfunc_end39-_ZN12tensorrt_llm7kernels32fusedQKNormRopeKernelNTokenHeadsIN3c104HalfES3_Li128ELb0ELi4EEEvPviiifPKvS6_S6_PKlii
                                        ; -- End function
	.section	.AMDGPU.csdata,"",@progbits
; Kernel info:
; codeLenInByte = 1996
; NumSgprs: 28
; NumVgprs: 41
; NumAgprs: 0
; TotalNumVgprs: 41
; ScratchSize: 0
; MemoryBound: 0
; FloatMode: 240
; IeeeMode: 1
; LDSByteSize: 0 bytes/workgroup (compile time only)
; SGPRBlocks: 3
; VGPRBlocks: 5
; NumSGPRsForWavesPerEU: 28
; NumVGPRsForWavesPerEU: 41
; AccumOffset: 44
; Occupancy: 8
; WaveLimiterHint : 0
; COMPUTE_PGM_RSRC2:SCRATCH_EN: 0
; COMPUTE_PGM_RSRC2:USER_SGPR: 6
; COMPUTE_PGM_RSRC2:TRAP_HANDLER: 0
; COMPUTE_PGM_RSRC2:TGID_X_EN: 1
; COMPUTE_PGM_RSRC2:TGID_Y_EN: 0
; COMPUTE_PGM_RSRC2:TGID_Z_EN: 0
; COMPUTE_PGM_RSRC2:TIDIG_COMP_CNT: 0
; COMPUTE_PGM_RSRC3_GFX90A:ACCUM_OFFSET: 10
; COMPUTE_PGM_RSRC3_GFX90A:TG_SPLIT: 0
	.section	.text._ZN12tensorrt_llm7kernels32fusedQKNormRopeKernelNTokenHeadsIN3c104HalfES3_Li256ELb1ELi4EEEvPviiifPKvS6_S6_PKlii,"axG",@progbits,_ZN12tensorrt_llm7kernels32fusedQKNormRopeKernelNTokenHeadsIN3c104HalfES3_Li256ELb1ELi4EEEvPviiifPKvS6_S6_PKlii,comdat
	.protected	_ZN12tensorrt_llm7kernels32fusedQKNormRopeKernelNTokenHeadsIN3c104HalfES3_Li256ELb1ELi4EEEvPviiifPKvS6_S6_PKlii ; -- Begin function _ZN12tensorrt_llm7kernels32fusedQKNormRopeKernelNTokenHeadsIN3c104HalfES3_Li256ELb1ELi4EEEvPviiifPKvS6_S6_PKlii
	.globl	_ZN12tensorrt_llm7kernels32fusedQKNormRopeKernelNTokenHeadsIN3c104HalfES3_Li256ELb1ELi4EEEvPviiifPKvS6_S6_PKlii
	.p2align	8
	.type	_ZN12tensorrt_llm7kernels32fusedQKNormRopeKernelNTokenHeadsIN3c104HalfES3_Li256ELb1ELi4EEEvPviiifPKvS6_S6_PKlii,@function
_ZN12tensorrt_llm7kernels32fusedQKNormRopeKernelNTokenHeadsIN3c104HalfES3_Li256ELb1ELi4EEEvPviiifPKvS6_S6_PKlii: ; @_ZN12tensorrt_llm7kernels32fusedQKNormRopeKernelNTokenHeadsIN3c104HalfES3_Li256ELb1ELi4EEEvPviiifPKvS6_S6_PKlii
; %bb.0:
	s_load_dwordx4 s[12:15], s[4:5], 0x8
	s_load_dwordx2 s[16:17], s[4:5], 0x38
	s_load_dword s1, s[4:5], 0x4c
	v_lshrrev_b32_e32 v1, 5, v0
	s_waitcnt lgkmcnt(0)
	s_add_i32 s0, s13, s12
	s_add_i32 s2, s0, 3
	s_ashr_i32 s3, s2, 31
	s_lshr_b32 s3, s3, 30
	s_add_i32 s2, s2, s3
	s_ashr_i32 s20, s2, 2
	s_abs_i32 s2, s20
	v_cvt_f32_u32_e32 v2, s2
	s_bfe_u32 s1, s1, 0xb0005
	s_mul_i32 s6, s6, s1
	s_sub_i32 s3, 0, s2
	v_rcp_iflag_f32_e32 v3, v2
	v_add_u32_e32 v2, s6, v1
	v_sub_u32_e32 v4, 0, v2
	v_max_i32_e32 v4, v2, v4
	v_mul_f32_e32 v3, 0x4f7ffffe, v3
	v_cvt_u32_f32_e32 v3, v3
	v_xor_b32_e32 v5, s20, v2
	v_ashrrev_i32_e32 v5, 31, v5
	v_mul_lo_u32 v6, s3, v3
	v_mul_hi_u32 v6, v3, v6
	v_add_u32_e32 v3, v3, v6
	v_mul_hi_u32 v3, v4, v3
	v_mul_lo_u32 v6, v3, s2
	v_sub_u32_e32 v4, v4, v6
	v_add_u32_e32 v6, 1, v3
	v_cmp_le_u32_e32 vcc, s2, v4
	v_cndmask_b32_e32 v3, v3, v6, vcc
	v_subrev_u32_e32 v6, s2, v4
	v_cndmask_b32_e32 v4, v4, v6, vcc
	v_add_u32_e32 v6, 1, v3
	v_cmp_le_u32_e32 vcc, s2, v4
	v_cndmask_b32_e32 v3, v3, v6, vcc
	v_xor_b32_e32 v3, v3, v5
	v_sub_u32_e32 v8, v3, v5
	v_cmp_gt_i32_e32 vcc, s16, v8
	s_and_saveexec_b64 s[2:3], vcc
	s_cbranch_execz .LBB40_12
; %bb.1:
	v_mul_lo_u32 v3, v8, s20
	v_sub_u32_e32 v3, v2, v3
	s_load_dwordx2 s[2:3], s[4:5], 0x0
	v_lshlrev_b32_e32 v18, 2, v3
	v_add_u32_e32 v3, 4, v18
	v_sub_u32_e32 v4, s0, v18
	v_cmp_lt_i32_e32 vcc, s0, v3
	v_and_b32_e32 v10, 31, v0
	v_cndmask_b32_e32 v19, 4, v4, vcc
	s_lshl_b32 s18, s17, 1
	s_mul_i32 s16, s18, s1
	v_lshlrev_b32_e32 v13, 11, v1
	v_cmp_lt_i32_e64 s[0:1], 0, v19
	v_lshlrev_b32_e32 v12, 4, v10
	v_lshlrev_b32_e32 v11, 10, v2
	s_and_saveexec_b64 s[6:7], s[0:1]
	s_cbranch_execz .LBB40_4
; %bb.2:
	s_add_i32 s8, s16, 0
	v_add3_u32 v4, s8, v13, v12
	s_add_i32 s8, s14, s13
	s_add_i32 s8, s8, s12
	s_lshl_b32 s9, s20, 2
	s_sub_i32 s8, s8, s9
	v_mul_lo_u32 v2, s8, v8
	v_lshl_add_u32 v2, v2, 8, v11
	s_mov_b32 s10, 0
	v_lshl_or_b32 v2, v10, 3, v2
	s_mov_b64 s[8:9], 0
	s_waitcnt lgkmcnt(0)
	v_mov_b32_e32 v5, s3
.LBB40_3:                               ; =>This Inner Loop Header: Depth=1
	v_ashrrev_i32_e32 v3, 31, v2
	v_lshlrev_b64 v[6:7], 1, v[2:3]
	v_add_co_u32_e32 v6, vcc, s2, v6
	v_addc_co_u32_e32 v7, vcc, v5, v7, vcc
	global_load_dwordx4 v[14:17], v[6:7], off
	s_add_i32 s10, s10, 1
	v_cmp_ge_i32_e32 vcc, s10, v19
	v_add_u32_e32 v2, 0x100, v2
	s_or_b64 s[8:9], vcc, s[8:9]
	s_waitcnt vmcnt(0)
	ds_write_b128 v4, v[14:17]
	v_add_u32_e32 v4, 0x200, v4
	s_andn2_b64 exec, exec, s[8:9]
	s_cbranch_execnz .LBB40_3
.LBB40_4:
	s_or_b64 exec, exec, s[6:7]
	s_add_i32 s18, s18, 15
	s_load_dwordx8 s[4:11], s[4:5], 0x18
	s_ashr_i32 s19, s18, 31
	s_lshr_b32 s19, s19, 28
	s_add_i32 s18, s18, s19
	s_ashr_i32 s21, s18, 4
	v_mul_lo_u32 v1, v1, s17
	v_cmp_gt_i32_e32 vcc, s21, v10
	v_lshlrev_b32_e32 v14, 1, v1
	s_and_saveexec_b64 s[18:19], vcc
	s_cbranch_execz .LBB40_7
; %bb.5:
	v_ashrrev_i32_e32 v9, 31, v8
	v_lshlrev_b64 v[2:3], 3, v[8:9]
	s_waitcnt lgkmcnt(0)
	v_mov_b32_e32 v1, s11
	v_add_co_u32_e32 v2, vcc, s10, v2
	v_addc_co_u32_e32 v3, vcc, v1, v3, vcc
	global_load_dwordx2 v[4:5], v[2:3], off
	s_ashr_i32 s22, s17, 31
	v_and_b32_e32 v0, 31, v0
	v_lshlrev_b32_e32 v6, 4, v0
	v_mov_b32_e32 v3, s9
	v_add3_u32 v2, v14, v12, 0
	s_mov_b64 s[10:11], 0
	s_waitcnt vmcnt(0)
	v_mul_lo_u32 v5, v5, s17
	v_mul_lo_u32 v7, v4, s22
	v_mad_u64_u32 v[0:1], s[22:23], v4, s17, 0
	v_add3_u32 v1, v1, v7, v5
	v_lshlrev_b64 v[0:1], 1, v[0:1]
	v_add_co_u32_e32 v0, vcc, v0, v6
	v_addc_co_u32_e32 v1, vcc, 0, v1, vcc
	v_add_co_u32_e32 v0, vcc, s8, v0
	v_addc_co_u32_e32 v1, vcc, v3, v1, vcc
	v_mov_b32_e32 v3, v10
.LBB40_6:                               ; =>This Inner Loop Header: Depth=1
	global_load_dwordx4 v[4:7], v[0:1], off
	v_add_co_u32_e32 v0, vcc, 0x200, v0
	v_add_u32_e32 v3, 32, v3
	v_addc_co_u32_e32 v1, vcc, 0, v1, vcc
	v_cmp_le_i32_e32 vcc, s21, v3
	s_or_b64 s[10:11], vcc, s[10:11]
	s_waitcnt vmcnt(0)
	ds_write_b128 v2, v[4:7]
	v_add_u32_e32 v2, 0x200, v2
	s_andn2_b64 exec, exec, s[10:11]
	s_cbranch_execnz .LBB40_6
.LBB40_7:
	s_or_b64 exec, exec, s[18:19]
	s_and_b64 exec, exec, s[0:1]
	s_cbranch_execz .LBB40_12
; %bb.8:
	s_waitcnt lgkmcnt(0)
	global_load_dwordx4 v[0:3], v12, s[4:5]
	global_load_dwordx4 v[4:7], v12, s[6:7]
	v_mbcnt_lo_u32_b32 v15, -1, 0
	v_add_u32_e32 v13, s16, v13
	v_mbcnt_hi_u32_b32 v15, -1, v15
	v_add3_u32 v22, v13, v12, 0
	v_and_b32_e32 v12, 0x60, v15
	v_lshlrev_b32_e32 v9, 3, v10
	v_xor_b32_e32 v13, 16, v15
	v_add_u32_e32 v12, 32, v12
	v_add3_u32 v21, 0, v14, v9
	v_xor_b32_e32 v14, 8, v15
	v_cmp_lt_i32_e32 vcc, v13, v12
	s_add_i32 s8, s14, s13
	v_xor_b32_e32 v16, 4, v15
	v_cndmask_b32_e32 v13, v15, v13, vcc
	v_cmp_lt_i32_e32 vcc, v14, v12
	s_ashr_i32 s1, s17, 31
	s_lshl_b32 s9, s20, 2
	s_add_i32 s8, s8, s12
	v_xor_b32_e32 v17, 2, v15
	v_cndmask_b32_e32 v14, v15, v14, vcc
	v_cmp_lt_i32_e32 vcc, v16, v12
	s_lshr_b32 s0, s17, 31
	s_lshr_b32 s1, s1, 29
	v_xor_b32_e32 v24, 1, v15
	s_sub_i32 s8, s8, s9
	v_cndmask_b32_e32 v16, v15, v16, vcc
	v_cmp_lt_i32_e32 vcc, v17, v12
	s_add_i32 s0, s17, s0
	s_add_i32 s1, s17, s1
	v_mul_lo_u32 v8, s8, v8
	v_cndmask_b32_e32 v17, v15, v17, vcc
	v_cmp_lt_i32_e32 vcc, v24, v12
	s_and_b32 s0, s0, -2
	s_ashr_i32 s1, s1, 3
	v_cndmask_b32_e32 v12, v15, v24, vcc
	v_lshl_add_u32 v8, v8, 8, v11
	s_mov_b32 s6, 0
	s_mov_b64 s[4:5], 0
	v_mov_b32_e32 v20, s15
	s_mov_b32 s7, 0x800000
	v_add_u32_e32 v23, s0, v21
	v_cmp_gt_i32_e32 vcc, s1, v10
	v_lshlrev_b32_e32 v24, 2, v13
	v_lshlrev_b32_e32 v25, 2, v14
	;; [unrolled: 1-line block ×5, first 2 shown]
	v_or_b32_e32 v8, v8, v9
	s_waitcnt vmcnt(1)
	v_lshrrev_b32_e32 v29, 16, v0
	s_waitcnt vmcnt(0)
	v_lshrrev_b32_e32 v30, 16, v4
	v_lshrrev_b32_e32 v31, 16, v1
	;; [unrolled: 1-line block ×7, first 2 shown]
	s_branch .LBB40_10
.LBB40_9:                               ;   in Loop: Header=BB40_10 Depth=1
	s_or_b64 exec, exec, s[0:1]
	v_ashrrev_i32_e32 v9, 31, v8
	v_cvt_f16_f32_e32 v37, v10
	v_cvt_f16_f32_e32 v38, v11
	;; [unrolled: 1-line block ×8, first 2 shown]
	v_lshlrev_b64 v[10:11], 1, v[8:9]
	v_mov_b32_e32 v9, s3
	v_add_co_u32_e64 v14, s[0:1], s2, v10
	v_addc_co_u32_e64 v15, s[0:1], v9, v11, s[0:1]
	s_add_i32 s6, s6, 1
	v_cmp_ge_i32_e64 s[0:1], s6, v19
	v_pack_b32_f16 v13, v13, v16
	v_pack_b32_f16 v12, v12, v41
	;; [unrolled: 1-line block ×4, first 2 shown]
	v_add_u32_e32 v8, 0x100, v8
	s_or_b64 s[4:5], s[0:1], s[4:5]
	v_add_u32_e32 v22, 0x200, v22
	global_store_dwordx4 v[14:15], v[10:13], off
	s_andn2_b64 exec, exec, s[4:5]
	s_cbranch_execz .LBB40_12
.LBB40_10:                              ; =>This Inner Loop Header: Depth=1
	ds_read_b128 v[10:13], v22
	v_mov_b32_e32 v37, v20
	s_waitcnt lgkmcnt(0)
	v_cvt_f32_f16_sdwa v15, v10 dst_sel:DWORD dst_unused:UNUSED_PAD src0_sel:WORD_1
	v_cvt_f32_f16_e32 v14, v10
	v_cvt_f32_f16_sdwa v39, v11 dst_sel:DWORD dst_unused:UNUSED_PAD src0_sel:WORD_1
	v_cvt_f32_f16_e32 v38, v11
	;; [unrolled: 2-line block ×4, first 2 shown]
	v_pk_mul_f32 v[12:13], v[14:15], v[14:15]
	v_pk_mul_f32 v[42:43], v[38:39], v[38:39]
	v_add_f32_e32 v9, v12, v13
	v_add_f32_e32 v9, v9, v42
	v_pk_mul_f32 v[44:45], v[40:41], v[40:41]
	v_add_f32_e32 v9, v9, v43
	v_add_f32_e32 v9, v9, v44
	;; [unrolled: 3-line block ×3, first 2 shown]
	v_add_f32_e32 v9, v9, v11
	ds_bpermute_b32 v10, v24, v9
	v_add_u32_e32 v11, s6, v18
	v_cmp_gt_i32_e64 s[0:1], s12, v11
	v_cndmask_b32_e64 v11, v30, v29, s[0:1]
	v_cndmask_b32_e64 v12, v4, v0, s[0:1]
	s_waitcnt lgkmcnt(0)
	v_add_f32_e32 v9, v9, v10
	ds_bpermute_b32 v10, v25, v9
	v_cndmask_b32_e64 v13, v32, v31, s[0:1]
	v_cndmask_b32_e64 v42, v5, v1, s[0:1]
	;; [unrolled: 1-line block ×4, first 2 shown]
	s_waitcnt lgkmcnt(0)
	v_add_f32_e32 v9, v9, v10
	ds_bpermute_b32 v10, v26, v9
	v_cndmask_b32_e64 v45, v36, v35, s[0:1]
	v_cndmask_b32_e64 v47, v7, v3, s[0:1]
	v_cvt_f32_f16_e32 v11, v11
	v_cvt_f32_f16_e32 v13, v13
	s_waitcnt lgkmcnt(0)
	v_add_f32_e32 v9, v9, v10
	ds_bpermute_b32 v10, v27, v9
	v_cvt_f32_f16_e32 v43, v43
	v_cvt_f32_f16_e32 v45, v45
	s_waitcnt lgkmcnt(0)
	v_add_f32_e32 v9, v9, v10
	ds_bpermute_b32 v46, v28, v9
	v_cvt_f32_f16_e32 v10, v12
	v_cvt_f32_f16_e32 v12, v42
	;; [unrolled: 1-line block ×4, first 2 shown]
	s_waitcnt lgkmcnt(0)
	v_add_f32_e32 v9, v9, v46
	v_fmac_f32_e32 v37, 0x3b800000, v9
	v_mul_f32_e32 v9, 0x4b800000, v37
	v_cmp_gt_f32_e64 s[0:1], s7, v37
	v_cndmask_b32_e64 v9, v37, v9, s[0:1]
	v_rsq_f32_e32 v9, v9
	v_mul_f32_e32 v37, 0x45800000, v9
	v_cndmask_b32_e64 v46, v9, v37, s[0:1]
	v_pk_mul_f32 v[10:11], v[46:47], v[10:11] op_sel_hi:[0,1]
	v_pk_mul_f32 v[12:13], v[46:47], v[12:13] op_sel_hi:[0,1]
	v_pk_mul_f32 v[10:11], v[10:11], v[14:15]
	v_pk_mul_f32 v[12:13], v[12:13], v[38:39]
	v_pk_mul_f32 v[14:15], v[46:47], v[42:43] op_sel_hi:[0,1]
	v_pk_mul_f32 v[38:39], v[46:47], v[44:45] op_sel_hi:[0,1]
	v_pk_mul_f32 v[14:15], v[14:15], v[40:41]
	v_pk_mul_f32 v[16:17], v[38:39], v[16:17]
	s_and_saveexec_b64 s[0:1], vcc
	s_cbranch_execz .LBB40_9
; %bb.11:                               ;   in Loop: Header=BB40_10 Depth=1
	ds_read_b64 v[38:39], v21
	ds_read_b64 v[40:41], v23
	s_waitcnt lgkmcnt(1)
	v_cvt_f32_f16_e32 v42, v38
	s_waitcnt lgkmcnt(0)
	v_cvt_f32_f16_e32 v44, v40
	v_cvt_f32_f16_sdwa v40, v40 dst_sel:DWORD dst_unused:UNUSED_PAD src0_sel:WORD_1
	v_cvt_f32_f16_sdwa v38, v38 dst_sel:DWORD dst_unused:UNUSED_PAD src0_sel:WORD_1
	v_cvt_f32_f16_e32 v46, v41
	v_pk_mul_f32 v[44:45], v[10:11], v[44:45] op_sel_hi:[1,0]
	v_pk_mul_f32 v[48:49], v[10:11], v[42:43] op_sel_hi:[1,0]
	;; [unrolled: 1-line block ×3, first 2 shown]
	v_pk_fma_f32 v[10:11], v[10:11], v[42:43], v[44:45] op_sel:[0,0,1] op_sel_hi:[1,0,0]
	v_pk_fma_f32 v[42:43], v[12:13], v[38:39], v[50:51] op_sel:[0,0,1] op_sel_hi:[1,0,0] neg_lo:[0,0,1] neg_hi:[0,0,1]
	v_cvt_f32_f16_e32 v10, v39
	v_pk_fma_f32 v[12:13], v[12:13], v[38:39], v[50:51] op_sel:[0,0,1] op_sel_hi:[1,0,0]
	v_cvt_f32_f16_sdwa v39, v39 dst_sel:DWORD dst_unused:UNUSED_PAD src0_sel:WORD_1
	v_cvt_f32_f16_sdwa v38, v41 dst_sel:DWORD dst_unused:UNUSED_PAD src0_sel:WORD_1
	v_pk_mul_f32 v[46:47], v[14:15], v[46:47] op_sel_hi:[1,0]
	v_mov_b32_e32 v12, v17
	v_pk_fma_f32 v[50:51], v[14:15], v[10:11], v[46:47] op_sel:[0,0,1] op_sel_hi:[1,0,0] neg_lo:[0,0,1] neg_hi:[0,0,1]
	v_pk_fma_f32 v[14:15], v[14:15], v[10:11], v[46:47] op_sel:[0,0,1] op_sel_hi:[1,0,0]
	v_mov_b32_e32 v10, v39
	v_pk_mul_f32 v[40:41], v[12:13], v[38:39]
	v_pk_mul_f32 v[46:47], v[16:17], v[38:39]
	v_pk_fma_f32 v[40:41], v[16:17], v[10:11], v[40:41] op_sel_hi:[1,0,1] neg_lo:[0,0,1] neg_hi:[0,0,1]
	v_mov_b32_e32 v10, v47
	v_pk_fma_f32 v[38:39], v[16:17], v[38:39], v[10:11]
	v_sub_f32_e32 v10, v48, v45
	v_mov_b32_e32 v12, v42
	v_mov_b32_e32 v14, v50
	;; [unrolled: 1-line block ×4, first 2 shown]
	s_branch .LBB40_9
.LBB40_12:
	s_endpgm
	.section	.rodata,"a",@progbits
	.p2align	6, 0x0
	.amdhsa_kernel _ZN12tensorrt_llm7kernels32fusedQKNormRopeKernelNTokenHeadsIN3c104HalfES3_Li256ELb1ELi4EEEvPviiifPKvS6_S6_PKlii
		.amdhsa_group_segment_fixed_size 0
		.amdhsa_private_segment_fixed_size 0
		.amdhsa_kernarg_size 320
		.amdhsa_user_sgpr_count 6
		.amdhsa_user_sgpr_private_segment_buffer 1
		.amdhsa_user_sgpr_dispatch_ptr 0
		.amdhsa_user_sgpr_queue_ptr 0
		.amdhsa_user_sgpr_kernarg_segment_ptr 1
		.amdhsa_user_sgpr_dispatch_id 0
		.amdhsa_user_sgpr_flat_scratch_init 0
		.amdhsa_user_sgpr_kernarg_preload_length 0
		.amdhsa_user_sgpr_kernarg_preload_offset 0
		.amdhsa_user_sgpr_private_segment_size 0
		.amdhsa_uses_dynamic_stack 0
		.amdhsa_system_sgpr_private_segment_wavefront_offset 0
		.amdhsa_system_sgpr_workgroup_id_x 1
		.amdhsa_system_sgpr_workgroup_id_y 0
		.amdhsa_system_sgpr_workgroup_id_z 0
		.amdhsa_system_sgpr_workgroup_info 0
		.amdhsa_system_vgpr_workitem_id 0
		.amdhsa_next_free_vgpr 52
		.amdhsa_next_free_sgpr 24
		.amdhsa_accum_offset 52
		.amdhsa_reserve_vcc 1
		.amdhsa_reserve_flat_scratch 0
		.amdhsa_float_round_mode_32 0
		.amdhsa_float_round_mode_16_64 0
		.amdhsa_float_denorm_mode_32 3
		.amdhsa_float_denorm_mode_16_64 3
		.amdhsa_dx10_clamp 1
		.amdhsa_ieee_mode 1
		.amdhsa_fp16_overflow 0
		.amdhsa_tg_split 0
		.amdhsa_exception_fp_ieee_invalid_op 0
		.amdhsa_exception_fp_denorm_src 0
		.amdhsa_exception_fp_ieee_div_zero 0
		.amdhsa_exception_fp_ieee_overflow 0
		.amdhsa_exception_fp_ieee_underflow 0
		.amdhsa_exception_fp_ieee_inexact 0
		.amdhsa_exception_int_div_zero 0
	.end_amdhsa_kernel
	.section	.text._ZN12tensorrt_llm7kernels32fusedQKNormRopeKernelNTokenHeadsIN3c104HalfES3_Li256ELb1ELi4EEEvPviiifPKvS6_S6_PKlii,"axG",@progbits,_ZN12tensorrt_llm7kernels32fusedQKNormRopeKernelNTokenHeadsIN3c104HalfES3_Li256ELb1ELi4EEEvPviiifPKvS6_S6_PKlii,comdat
.Lfunc_end40:
	.size	_ZN12tensorrt_llm7kernels32fusedQKNormRopeKernelNTokenHeadsIN3c104HalfES3_Li256ELb1ELi4EEEvPviiifPKvS6_S6_PKlii, .Lfunc_end40-_ZN12tensorrt_llm7kernels32fusedQKNormRopeKernelNTokenHeadsIN3c104HalfES3_Li256ELb1ELi4EEEvPviiifPKvS6_S6_PKlii
                                        ; -- End function
	.section	.AMDGPU.csdata,"",@progbits
; Kernel info:
; codeLenInByte = 1776
; NumSgprs: 28
; NumVgprs: 52
; NumAgprs: 0
; TotalNumVgprs: 52
; ScratchSize: 0
; MemoryBound: 0
; FloatMode: 240
; IeeeMode: 1
; LDSByteSize: 0 bytes/workgroup (compile time only)
; SGPRBlocks: 3
; VGPRBlocks: 6
; NumSGPRsForWavesPerEU: 28
; NumVGPRsForWavesPerEU: 52
; AccumOffset: 52
; Occupancy: 8
; WaveLimiterHint : 0
; COMPUTE_PGM_RSRC2:SCRATCH_EN: 0
; COMPUTE_PGM_RSRC2:USER_SGPR: 6
; COMPUTE_PGM_RSRC2:TRAP_HANDLER: 0
; COMPUTE_PGM_RSRC2:TGID_X_EN: 1
; COMPUTE_PGM_RSRC2:TGID_Y_EN: 0
; COMPUTE_PGM_RSRC2:TGID_Z_EN: 0
; COMPUTE_PGM_RSRC2:TIDIG_COMP_CNT: 0
; COMPUTE_PGM_RSRC3_GFX90A:ACCUM_OFFSET: 12
; COMPUTE_PGM_RSRC3_GFX90A:TG_SPLIT: 0
	.section	.text._ZN12tensorrt_llm7kernels32fusedQKNormRopeKernelNTokenHeadsIN3c104HalfES3_Li256ELb0ELi4EEEvPviiifPKvS6_S6_PKlii,"axG",@progbits,_ZN12tensorrt_llm7kernels32fusedQKNormRopeKernelNTokenHeadsIN3c104HalfES3_Li256ELb0ELi4EEEvPviiifPKvS6_S6_PKlii,comdat
	.protected	_ZN12tensorrt_llm7kernels32fusedQKNormRopeKernelNTokenHeadsIN3c104HalfES3_Li256ELb0ELi4EEEvPviiifPKvS6_S6_PKlii ; -- Begin function _ZN12tensorrt_llm7kernels32fusedQKNormRopeKernelNTokenHeadsIN3c104HalfES3_Li256ELb0ELi4EEEvPviiifPKvS6_S6_PKlii
	.globl	_ZN12tensorrt_llm7kernels32fusedQKNormRopeKernelNTokenHeadsIN3c104HalfES3_Li256ELb0ELi4EEEvPviiifPKvS6_S6_PKlii
	.p2align	8
	.type	_ZN12tensorrt_llm7kernels32fusedQKNormRopeKernelNTokenHeadsIN3c104HalfES3_Li256ELb0ELi4EEEvPviiifPKvS6_S6_PKlii,@function
_ZN12tensorrt_llm7kernels32fusedQKNormRopeKernelNTokenHeadsIN3c104HalfES3_Li256ELb0ELi4EEEvPviiifPKvS6_S6_PKlii: ; @_ZN12tensorrt_llm7kernels32fusedQKNormRopeKernelNTokenHeadsIN3c104HalfES3_Li256ELb0ELi4EEEvPviiifPKvS6_S6_PKlii
; %bb.0:
	s_load_dwordx4 s[12:15], s[4:5], 0x8
	s_load_dwordx2 s[2:3], s[4:5], 0x38
	s_load_dword s1, s[4:5], 0x4c
	v_lshrrev_b32_e32 v1, 5, v0
	s_waitcnt lgkmcnt(0)
	s_add_i32 s0, s13, s12
	s_add_i32 s7, s0, 3
	s_ashr_i32 s8, s7, 31
	s_lshr_b32 s8, s8, 30
	s_add_i32 s7, s7, s8
	s_ashr_i32 s20, s7, 2
	s_abs_i32 s7, s20
	v_cvt_f32_u32_e32 v2, s7
	s_bfe_u32 s1, s1, 0xb0005
	s_mul_i32 s6, s6, s1
	v_rcp_iflag_f32_e32 v3, v2
	v_add_u32_e32 v2, s6, v1
	s_sub_i32 s6, 0, s7
	v_sub_u32_e32 v4, 0, v2
	v_mul_f32_e32 v3, 0x4f7ffffe, v3
	v_cvt_u32_f32_e32 v3, v3
	v_max_i32_e32 v4, v2, v4
	v_xor_b32_e32 v5, s20, v2
	v_ashrrev_i32_e32 v5, 31, v5
	v_mul_lo_u32 v6, s6, v3
	v_mul_hi_u32 v6, v3, v6
	v_add_u32_e32 v3, v3, v6
	v_mul_hi_u32 v3, v4, v3
	v_mul_lo_u32 v6, v3, s7
	v_sub_u32_e32 v4, v4, v6
	v_add_u32_e32 v6, 1, v3
	v_cmp_le_u32_e32 vcc, s7, v4
	v_cndmask_b32_e32 v3, v3, v6, vcc
	v_subrev_u32_e32 v6, s7, v4
	v_cndmask_b32_e32 v4, v4, v6, vcc
	v_add_u32_e32 v6, 1, v3
	v_cmp_le_u32_e32 vcc, s7, v4
	v_cndmask_b32_e32 v3, v3, v6, vcc
	v_xor_b32_e32 v3, v3, v5
	v_sub_u32_e32 v8, v3, v5
	v_cmp_gt_i32_e32 vcc, s2, v8
	s_and_saveexec_b64 s[6:7], vcc
	s_cbranch_execz .LBB41_12
; %bb.1:
	v_mul_lo_u32 v3, v8, s20
	v_sub_u32_e32 v3, v2, v3
	s_load_dwordx2 s[16:17], s[4:5], 0x0
	v_lshlrev_b32_e32 v10, 2, v3
	v_add_u32_e32 v3, 4, v10
	v_sub_u32_e32 v4, s0, v10
	v_cmp_lt_i32_e32 vcc, s0, v3
	v_and_b32_e32 v23, 31, v0
	v_cndmask_b32_e32 v11, 4, v4, vcc
	s_lshl_b32 s2, s3, 1
	s_mul_i32 s21, s2, s1
	v_lshlrev_b32_e32 v29, 11, v1
	v_cmp_lt_i32_e64 s[0:1], 0, v11
	v_lshlrev_b32_e32 v30, 4, v23
	v_lshlrev_b32_e32 v31, 10, v2
	s_and_saveexec_b64 s[6:7], s[0:1]
	s_cbranch_execz .LBB41_4
; %bb.2:
	s_add_i32 s8, s21, 0
	v_add3_u32 v4, s8, v29, v30
	s_add_i32 s8, s14, s13
	s_add_i32 s8, s8, s12
	s_lshl_b32 s9, s20, 2
	s_sub_i32 s8, s8, s9
	v_mul_lo_u32 v2, s8, v8
	v_lshl_add_u32 v2, v2, 8, v31
	s_mov_b32 s10, 0
	v_lshl_or_b32 v2, v23, 3, v2
	s_mov_b64 s[8:9], 0
	s_waitcnt lgkmcnt(0)
	v_mov_b32_e32 v5, s17
.LBB41_3:                               ; =>This Inner Loop Header: Depth=1
	v_ashrrev_i32_e32 v3, 31, v2
	v_lshlrev_b64 v[6:7], 1, v[2:3]
	v_add_co_u32_e32 v6, vcc, s16, v6
	v_addc_co_u32_e32 v7, vcc, v5, v7, vcc
	global_load_dwordx4 v[12:15], v[6:7], off
	s_add_i32 s10, s10, 1
	v_cmp_ge_i32_e32 vcc, s10, v11
	v_add_u32_e32 v2, 0x100, v2
	s_or_b64 s[8:9], vcc, s[8:9]
	s_waitcnt vmcnt(0)
	ds_write_b128 v4, v[12:15]
	v_add_u32_e32 v4, 0x200, v4
	s_andn2_b64 exec, exec, s[8:9]
	s_cbranch_execnz .LBB41_3
.LBB41_4:
	s_or_b64 exec, exec, s[6:7]
	s_add_i32 s2, s2, 15
	s_load_dwordx8 s[4:11], s[4:5], 0x18
	s_ashr_i32 s18, s2, 31
	s_lshr_b32 s18, s18, 28
	s_add_i32 s2, s2, s18
	s_ashr_i32 s2, s2, 4
	v_cmp_gt_i32_e32 vcc, s2, v23
	v_mul_lo_u32 v12, v1, s3
	s_and_saveexec_b64 s[18:19], vcc
	s_cbranch_execz .LBB41_7
; %bb.5:
	v_ashrrev_i32_e32 v9, 31, v8
	v_lshlrev_b64 v[2:3], 3, v[8:9]
	s_waitcnt lgkmcnt(0)
	v_mov_b32_e32 v1, s11
	v_add_co_u32_e32 v2, vcc, s10, v2
	v_addc_co_u32_e32 v3, vcc, v1, v3, vcc
	global_load_dwordx2 v[4:5], v[2:3], off
	s_ashr_i32 s22, s3, 31
	v_lshlrev_b32_e32 v1, 1, v12
	v_and_b32_e32 v0, 31, v0
	v_add3_u32 v2, v1, v30, 0
	v_lshlrev_b32_e32 v6, 4, v0
	v_mov_b32_e32 v3, s9
	s_mov_b64 s[10:11], 0
	s_waitcnt vmcnt(0)
	v_mul_lo_u32 v5, v5, s3
	v_mul_lo_u32 v7, v4, s22
	v_mad_u64_u32 v[0:1], s[22:23], v4, s3, 0
	v_add3_u32 v1, v1, v7, v5
	v_lshlrev_b64 v[0:1], 1, v[0:1]
	v_add_co_u32_e32 v0, vcc, v0, v6
	v_addc_co_u32_e32 v1, vcc, 0, v1, vcc
	v_add_co_u32_e32 v0, vcc, s8, v0
	v_addc_co_u32_e32 v1, vcc, v3, v1, vcc
	v_mov_b32_e32 v3, v23
.LBB41_6:                               ; =>This Inner Loop Header: Depth=1
	global_load_dwordx4 v[4:7], v[0:1], off
	v_add_co_u32_e32 v0, vcc, 0x200, v0
	v_add_u32_e32 v3, 32, v3
	v_addc_co_u32_e32 v1, vcc, 0, v1, vcc
	v_cmp_le_i32_e32 vcc, s2, v3
	s_or_b64 s[10:11], vcc, s[10:11]
	s_waitcnt vmcnt(0)
	ds_write_b128 v2, v[4:7]
	v_add_u32_e32 v2, 0x200, v2
	s_andn2_b64 exec, exec, s[10:11]
	s_cbranch_execnz .LBB41_6
.LBB41_7:
	s_or_b64 exec, exec, s[18:19]
	s_and_b64 exec, exec, s[0:1]
	s_cbranch_execz .LBB41_12
; %bb.8:
	s_waitcnt lgkmcnt(0)
	global_load_dwordx4 v[0:3], v30, s[4:5]
	global_load_dwordx4 v[4:7], v30, s[6:7]
	v_lshl_add_u32 v9, v12, 1, 0
	v_mbcnt_lo_u32_b32 v12, -1, 0
	s_abs_i32 s4, s3
	v_mbcnt_hi_u32_b32 v17, -1, v12
	v_cvt_f32_u32_e32 v14, s4
	v_and_b32_e32 v12, 0x60, v17
	v_xor_b32_e32 v13, 16, v17
	v_add_u32_e32 v12, 32, v12
	v_xor_b32_e32 v15, 8, v17
	v_cmp_lt_i32_e32 vcc, v13, v12
	v_xor_b32_e32 v16, 4, v17
	v_cndmask_b32_e32 v13, v17, v13, vcc
	v_cmp_lt_i32_e32 vcc, v15, v12
	v_rcp_iflag_f32_e32 v22, v14
	v_xor_b32_e32 v18, 2, v17
	v_cndmask_b32_e32 v15, v17, v15, vcc
	v_cmp_lt_i32_e32 vcc, v16, v12
	v_cndmask_b32_e32 v16, v17, v16, vcc
	v_cmp_lt_i32_e32 vcc, v18, v12
	v_xor_b32_e32 v19, 1, v17
	v_cndmask_b32_e32 v18, v17, v18, vcc
	v_cmp_lt_i32_e32 vcc, v19, v12
	v_lshlrev_b32_e32 v12, 2, v13
	v_lshlrev_b32_e32 v13, 2, v15
	;; [unrolled: 1-line block ×3, first 2 shown]
	v_mul_f32_e32 v18, 0x4f7ffffe, v22
	v_cvt_u32_f32_e32 v18, v18
	s_sub_i32 s5, 0, s4
	v_cndmask_b32_e32 v19, v17, v19, vcc
	s_ashr_i32 s1, s3, 31
	v_lshlrev_b32_e32 v14, 2, v16
	v_lshlrev_b32_e32 v16, 2, v19
	v_mul_lo_u32 v19, s5, v18
	s_lshr_b32 s2, s1, 29
	s_lshr_b32 s1, s1, 28
	v_mul_hi_u32 v19, v18, v19
	s_lshr_b32 s0, s3, 31
	s_add_i32 s1, s3, s1
	v_add_u32_e32 v46, v18, v19
	s_add_i32 s0, s3, s0
	v_and_b32_e32 v20, 64, v17
	s_ashr_i32 s1, s1, 4
	v_mul_hi_u32 v18, v30, v46
	s_and_b32 s0, s0, -2
	s_add_i32 s2, s3, s2
	v_add_u32_e32 v20, 64, v20
	v_xor_b32_e32 v21, s1, v17
	v_mul_lo_u32 v18, v18, s4
	v_or_b32_e32 v32, 2, v30
	v_add_u32_e32 v45, s0, v9
	s_ashr_i32 s0, s2, 3
	v_cmp_lt_i32_e64 s[2:3], v21, v20
	v_sub_u32_e32 v18, v30, v18
	v_cndmask_b32_e64 v17, v17, v21, s[2:3]
	v_subrev_u32_e32 v19, s4, v18
	v_cmp_le_u32_e64 s[2:3], s4, v18
	v_mul_hi_u32 v33, v32, v46
	v_cndmask_b32_e64 v18, v18, v19, s[2:3]
	v_mul_lo_u32 v33, v33, s4
	v_or_b32_e32 v34, 4, v30
	v_subrev_u32_e32 v19, s4, v18
	v_cmp_le_u32_e64 s[2:3], s4, v18
	v_sub_u32_e32 v32, v32, v33
	v_cndmask_b32_e64 v18, v18, v19, s[2:3]
	v_subrev_u32_e32 v33, s4, v32
	v_cmp_le_u32_e64 s[2:3], s4, v32
	v_mul_hi_u32 v35, v34, v46
	v_cndmask_b32_e64 v32, v32, v33, s[2:3]
	v_mul_lo_u32 v35, v35, s4
	v_or_b32_e32 v36, 6, v30
	v_subrev_u32_e32 v33, s4, v32
	v_cmp_le_u32_e64 s[2:3], s4, v32
	;; [unrolled: 10-line block ×6, first 2 shown]
	v_sub_u32_e32 v42, v42, v43
	v_cndmask_b32_e64 v40, v40, v41, s[2:3]
	v_subrev_u32_e32 v43, s4, v42
	v_cmp_le_u32_e64 s[2:3], s4, v42
	v_mul_hi_u32 v46, v44, v46
	v_cndmask_b32_e64 v42, v42, v43, s[2:3]
	v_mul_lo_u32 v46, v46, s4
	v_subrev_u32_e32 v43, s4, v42
	v_cmp_le_u32_e64 s[2:3], s4, v42
	v_sub_u32_e32 v44, v44, v46
	v_cndmask_b32_e64 v42, v42, v43, s[2:3]
	v_subrev_u32_e32 v46, s4, v44
	v_cmp_le_u32_e64 s[2:3], s4, v44
	v_cndmask_b32_e64 v44, v44, v46, s[2:3]
	v_subrev_u32_e32 v46, s4, v44
	v_cmp_le_u32_e64 s[2:3], s4, v44
	v_cndmask_b32_e64 v44, v44, v46, s[2:3]
	s_add_i32 s2, s14, s13
	s_add_i32 s2, s2, s12
	s_lshl_b32 s3, s20, 2
	s_sub_i32 s2, s2, s3
	v_and_b32_e32 v28, -2, v18
	v_and_b32_e32 v33, -2, v32
	;; [unrolled: 1-line block ×8, first 2 shown]
	v_mul_lo_u32 v8, s2, v8
	v_add_u32_e32 v27, v9, v28
	v_add_u32_e32 v32, v9, v33
	;; [unrolled: 1-line block ×8, first 2 shown]
	v_lshl_add_u32 v8, v8, 8, v31
	v_add_u32_e32 v9, s21, v29
	s_mov_b32 s8, 0
	v_cmp_gt_i32_e32 vcc, s0, v23
	v_cmp_gt_i32_e64 s[0:1], s1, v23
	v_lshlrev_b32_e32 v17, 2, v17
	s_waitcnt vmcnt(1)
	v_lshrrev_b32_e32 v18, 16, v0
	v_lshrrev_b32_e32 v19, 16, v1
	;; [unrolled: 1-line block ×4, first 2 shown]
	s_waitcnt vmcnt(0)
	v_lshrrev_b32_e32 v22, 16, v4
	v_lshrrev_b32_e32 v24, 16, v5
	;; [unrolled: 1-line block ×4, first 2 shown]
	v_add_u32_e32 v28, v45, v28
	v_add_u32_e32 v33, v45, v33
	;; [unrolled: 1-line block ×8, first 2 shown]
	v_lshl_or_b32 v8, v23, 3, v8
	v_add3_u32 v23, v9, v30, 0
	s_mov_b64 s[6:7], 0
	s_mov_b32 s9, 0x800000
	s_branch .LBB41_10
.LBB41_9:                               ;   in Loop: Header=BB41_10 Depth=1
	s_or_b64 exec, exec, s[2:3]
	v_cvt_f16_f32_e32 v50, v9
	v_ashrrev_i32_e32 v9, 31, v8
	v_cvt_f16_f32_e32 v29, v29
	v_cvt_f16_f32_e32 v51, v30
	;; [unrolled: 1-line block ×7, first 2 shown]
	v_lshlrev_b64 v[30:31], 1, v[8:9]
	v_mov_b32_e32 v9, s17
	v_add_co_u32_e64 v30, s[2:3], s16, v30
	v_addc_co_u32_e64 v31, s[2:3], v9, v31, s[2:3]
	s_add_i32 s8, s8, 1
	v_cmp_ge_i32_e64 s[2:3], s8, v11
	v_pack_b32_f16 v49, v48, v49
	v_pack_b32_f16 v48, v46, v47
	;; [unrolled: 1-line block ×4, first 2 shown]
	v_add_u32_e32 v8, 0x100, v8
	s_or_b64 s[6:7], s[2:3], s[6:7]
	v_add_u32_e32 v23, 0x200, v23
	global_store_dwordx4 v[30:31], v[46:49], off
	s_andn2_b64 exec, exec, s[6:7]
	s_cbranch_execz .LBB41_12
.LBB41_10:                              ; =>This Inner Loop Header: Depth=1
	ds_read_b128 v[46:49], v23
	s_waitcnt lgkmcnt(0)
	v_cvt_f32_f16_sdwa v29, v46 dst_sel:DWORD dst_unused:UNUSED_PAD src0_sel:WORD_1
	v_cvt_f32_f16_sdwa v31, v47 dst_sel:DWORD dst_unused:UNUSED_PAD src0_sel:WORD_1
	v_cvt_f32_f16_e32 v30, v47
	v_cvt_f32_f16_sdwa v51, v48 dst_sel:DWORD dst_unused:UNUSED_PAD src0_sel:WORD_1
	v_cvt_f32_f16_e32 v50, v48
	v_mul_f32_e32 v9, v29, v29
	v_cvt_f32_f16_sdwa v53, v49 dst_sel:DWORD dst_unused:UNUSED_PAD src0_sel:WORD_1
	v_cvt_f32_f16_e32 v52, v49
	v_pk_mul_f32 v[48:49], v[30:31], v[30:31]
	v_fma_mix_f32 v9, v46, v46, v9 op_sel_hi:[1,1,0]
	v_add_f32_e32 v9, v9, v48
	v_add_f32_e32 v9, v9, v49
	v_pk_mul_f32 v[48:49], v[50:51], v[50:51]
	v_add_f32_e32 v9, v9, v48
	v_add_f32_e32 v9, v9, v49
	v_pk_mul_f32 v[48:49], v[52:53], v[52:53]
	v_add_f32_e32 v9, v9, v48
	v_add_f32_e32 v9, v9, v49
	ds_bpermute_b32 v47, v12, v9
	v_mov_b32_e32 v49, s15
	v_add_u32_e32 v48, s8, v10
	v_cmp_gt_i32_e64 s[2:3], s12, v48
	v_cndmask_b32_e64 v48, v4, v0, s[2:3]
	s_waitcnt lgkmcnt(0)
	v_add_f32_e32 v9, v9, v47
	ds_bpermute_b32 v47, v13, v9
	v_cndmask_b32_e64 v54, v22, v18, s[2:3]
	v_cvt_f32_f16_e32 v48, v48
	v_cvt_f32_f16_e32 v54, v54
	v_cndmask_b32_e64 v56, v24, v19, s[2:3]
	s_waitcnt lgkmcnt(0)
	v_add_f32_e32 v9, v9, v47
	ds_bpermute_b32 v47, v14, v9
	v_cndmask_b32_e64 v57, v6, v2, s[2:3]
	v_cndmask_b32_e64 v58, v25, v20, s[2:3]
	v_cvt_f32_f16_e32 v46, v46
	v_cndmask_b32_e64 v55, v5, v1, s[2:3]
	s_waitcnt lgkmcnt(0)
	v_add_f32_e32 v9, v9, v47
	ds_bpermute_b32 v47, v15, v9
	v_cvt_f32_f16_e32 v55, v55
	s_waitcnt lgkmcnt(0)
	v_add_f32_e32 v9, v9, v47
	ds_bpermute_b32 v47, v16, v9
	s_waitcnt lgkmcnt(0)
	v_add_f32_e32 v9, v9, v47
	v_fmac_f32_e32 v49, 0x3b800000, v9
	v_mul_f32_e32 v9, 0x4b800000, v49
	v_cmp_gt_f32_e64 s[4:5], s9, v49
	v_cndmask_b32_e64 v9, v49, v9, s[4:5]
	v_rsq_f32_e32 v9, v9
	v_cvt_f32_f16_e32 v47, v56
	v_cvt_f32_f16_e32 v49, v57
	v_mul_f32_e32 v56, 0x45800000, v9
	v_cndmask_b32_e64 v56, v9, v56, s[4:5]
	v_mul_f32_e32 v9, v56, v48
	v_mul_f32_e32 v48, v56, v54
	;; [unrolled: 1-line block ×3, first 2 shown]
	v_cvt_f32_f16_e32 v48, v58
	v_mul_f32_e32 v47, v56, v47
	v_mul_f32_e32 v9, v9, v46
	;; [unrolled: 1-line block ×5, first 2 shown]
	v_cndmask_b32_e64 v48, v7, v3, s[2:3]
	v_cndmask_b32_e64 v49, v26, v21, s[2:3]
	v_cvt_f32_f16_e32 v48, v48
	v_cvt_f32_f16_e32 v49, v49
	v_mul_f32_e32 v54, v56, v55
	v_mul_f32_e32 v30, v54, v30
	;; [unrolled: 1-line block ×8, first 2 shown]
	s_and_saveexec_b64 s[2:3], vcc
	s_cbranch_execz .LBB41_9
; %bb.11:                               ;   in Loop: Header=BB41_10 Depth=1
	ds_bpermute_b32 v50, v17, v9
	; wave barrier
	ds_read_u16 v51, v28
	ds_read_u16 v52, v32
	ds_read_u16 v53, v33
	ds_read_u16 v54, v34
	ds_read_u16 v55, v35
	ds_read_u16 v56, v36
	ds_read_u16 v57, v37
	s_waitcnt lgkmcnt(6)
	v_cvt_f32_f16_e32 v51, v51
	ds_read_u16 v58, v27
	ds_bpermute_b32 v59, v17, v29
	v_cndmask_b32_e64 v50, v50, -v50, s[0:1]
	v_mul_f32_e32 v50, v50, v51
	s_waitcnt lgkmcnt(6)
	v_cvt_f32_f16_e32 v51, v53
	ds_bpermute_b32 v53, v17, v30
	s_waitcnt lgkmcnt(2)
	v_fma_mix_f32 v9, v9, v58, v50 op_sel_hi:[0,1,0]
	s_waitcnt lgkmcnt(1)
	v_cndmask_b32_e64 v50, v59, -v59, s[0:1]
	v_mul_f32_e32 v50, v50, v51
	v_fma_mix_f32 v29, v29, v52, v50 op_sel_hi:[0,1,0]
	v_cvt_f32_f16_e32 v50, v55
	ds_bpermute_b32 v51, v17, v31
	s_waitcnt lgkmcnt(1)
	v_cndmask_b32_e64 v52, v53, -v53, s[0:1]
	v_cvt_f32_f16_e32 v53, v57
	v_mul_f32_e32 v50, v52, v50
	v_fma_mix_f32 v30, v30, v54, v50 op_sel_hi:[0,1,0]
	s_waitcnt lgkmcnt(0)
	v_cndmask_b32_e64 v50, v51, -v51, s[0:1]
	ds_bpermute_b32 v51, v17, v46
	v_mul_f32_e32 v50, v50, v53
	ds_read_u16 v52, v38
	ds_read_u16 v53, v39
	;; [unrolled: 1-line block ×8, first 2 shown]
	s_waitcnt lgkmcnt(6)
	v_cvt_f32_f16_e32 v53, v53
	v_fma_mix_f32 v31, v31, v56, v50 op_sel_hi:[0,1,0]
	ds_bpermute_b32 v50, v17, v47
	v_cndmask_b32_e64 v51, v51, -v51, s[0:1]
	v_mul_f32_e32 v51, v51, v53
	s_waitcnt lgkmcnt(5)
	v_cvt_f32_f16_e32 v53, v55
	v_fma_mix_f32 v46, v46, v52, v51 op_sel_hi:[0,1,0]
	s_waitcnt lgkmcnt(0)
	v_cndmask_b32_e64 v50, v50, -v50, s[0:1]
	ds_bpermute_b32 v51, v17, v48
	v_mul_f32_e32 v50, v50, v53
	v_fma_mix_f32 v47, v47, v54, v50 op_sel_hi:[0,1,0]
	v_cvt_f32_f16_e32 v50, v58
	ds_bpermute_b32 v52, v17, v49
	v_cvt_f32_f16_e32 v53, v60
	s_waitcnt lgkmcnt(1)
	v_cndmask_b32_e64 v51, v51, -v51, s[0:1]
	v_mul_f32_e32 v50, v51, v50
	v_fma_mix_f32 v48, v48, v57, v50 op_sel_hi:[0,1,0]
	s_waitcnt lgkmcnt(0)
	v_cndmask_b32_e64 v50, v52, -v52, s[0:1]
	v_mul_f32_e32 v50, v50, v53
	v_fma_mix_f32 v49, v49, v59, v50 op_sel_hi:[0,1,0]
	; wave barrier
	s_branch .LBB41_9
.LBB41_12:
	s_endpgm
	.section	.rodata,"a",@progbits
	.p2align	6, 0x0
	.amdhsa_kernel _ZN12tensorrt_llm7kernels32fusedQKNormRopeKernelNTokenHeadsIN3c104HalfES3_Li256ELb0ELi4EEEvPviiifPKvS6_S6_PKlii
		.amdhsa_group_segment_fixed_size 0
		.amdhsa_private_segment_fixed_size 0
		.amdhsa_kernarg_size 320
		.amdhsa_user_sgpr_count 6
		.amdhsa_user_sgpr_private_segment_buffer 1
		.amdhsa_user_sgpr_dispatch_ptr 0
		.amdhsa_user_sgpr_queue_ptr 0
		.amdhsa_user_sgpr_kernarg_segment_ptr 1
		.amdhsa_user_sgpr_dispatch_id 0
		.amdhsa_user_sgpr_flat_scratch_init 0
		.amdhsa_user_sgpr_kernarg_preload_length 0
		.amdhsa_user_sgpr_kernarg_preload_offset 0
		.amdhsa_user_sgpr_private_segment_size 0
		.amdhsa_uses_dynamic_stack 0
		.amdhsa_system_sgpr_private_segment_wavefront_offset 0
		.amdhsa_system_sgpr_workgroup_id_x 1
		.amdhsa_system_sgpr_workgroup_id_y 0
		.amdhsa_system_sgpr_workgroup_id_z 0
		.amdhsa_system_sgpr_workgroup_info 0
		.amdhsa_system_vgpr_workitem_id 0
		.amdhsa_next_free_vgpr 61
		.amdhsa_next_free_sgpr 24
		.amdhsa_accum_offset 64
		.amdhsa_reserve_vcc 1
		.amdhsa_reserve_flat_scratch 0
		.amdhsa_float_round_mode_32 0
		.amdhsa_float_round_mode_16_64 0
		.amdhsa_float_denorm_mode_32 3
		.amdhsa_float_denorm_mode_16_64 3
		.amdhsa_dx10_clamp 1
		.amdhsa_ieee_mode 1
		.amdhsa_fp16_overflow 0
		.amdhsa_tg_split 0
		.amdhsa_exception_fp_ieee_invalid_op 0
		.amdhsa_exception_fp_denorm_src 0
		.amdhsa_exception_fp_ieee_div_zero 0
		.amdhsa_exception_fp_ieee_overflow 0
		.amdhsa_exception_fp_ieee_underflow 0
		.amdhsa_exception_fp_ieee_inexact 0
		.amdhsa_exception_int_div_zero 0
	.end_amdhsa_kernel
	.section	.text._ZN12tensorrt_llm7kernels32fusedQKNormRopeKernelNTokenHeadsIN3c104HalfES3_Li256ELb0ELi4EEEvPviiifPKvS6_S6_PKlii,"axG",@progbits,_ZN12tensorrt_llm7kernels32fusedQKNormRopeKernelNTokenHeadsIN3c104HalfES3_Li256ELb0ELi4EEEvPviiifPKvS6_S6_PKlii,comdat
.Lfunc_end41:
	.size	_ZN12tensorrt_llm7kernels32fusedQKNormRopeKernelNTokenHeadsIN3c104HalfES3_Li256ELb0ELi4EEEvPviiifPKvS6_S6_PKlii, .Lfunc_end41-_ZN12tensorrt_llm7kernels32fusedQKNormRopeKernelNTokenHeadsIN3c104HalfES3_Li256ELb0ELi4EEEvPviiifPKvS6_S6_PKlii
                                        ; -- End function
	.section	.AMDGPU.csdata,"",@progbits
; Kernel info:
; codeLenInByte = 2696
; NumSgprs: 28
; NumVgprs: 61
; NumAgprs: 0
; TotalNumVgprs: 61
; ScratchSize: 0
; MemoryBound: 0
; FloatMode: 240
; IeeeMode: 1
; LDSByteSize: 0 bytes/workgroup (compile time only)
; SGPRBlocks: 3
; VGPRBlocks: 7
; NumSGPRsForWavesPerEU: 28
; NumVGPRsForWavesPerEU: 61
; AccumOffset: 64
; Occupancy: 8
; WaveLimiterHint : 0
; COMPUTE_PGM_RSRC2:SCRATCH_EN: 0
; COMPUTE_PGM_RSRC2:USER_SGPR: 6
; COMPUTE_PGM_RSRC2:TRAP_HANDLER: 0
; COMPUTE_PGM_RSRC2:TGID_X_EN: 1
; COMPUTE_PGM_RSRC2:TGID_Y_EN: 0
; COMPUTE_PGM_RSRC2:TGID_Z_EN: 0
; COMPUTE_PGM_RSRC2:TIDIG_COMP_CNT: 0
; COMPUTE_PGM_RSRC3_GFX90A:ACCUM_OFFSET: 15
; COMPUTE_PGM_RSRC3_GFX90A:TG_SPLIT: 0
	.section	.text._ZN12tensorrt_llm7kernels32fusedQKNormRopeKernelNTokenHeadsIN3c104HalfES3_Li64ELb1ELi8EEEvPviiifPKvS6_S6_PKlii,"axG",@progbits,_ZN12tensorrt_llm7kernels32fusedQKNormRopeKernelNTokenHeadsIN3c104HalfES3_Li64ELb1ELi8EEEvPviiifPKvS6_S6_PKlii,comdat
	.protected	_ZN12tensorrt_llm7kernels32fusedQKNormRopeKernelNTokenHeadsIN3c104HalfES3_Li64ELb1ELi8EEEvPviiifPKvS6_S6_PKlii ; -- Begin function _ZN12tensorrt_llm7kernels32fusedQKNormRopeKernelNTokenHeadsIN3c104HalfES3_Li64ELb1ELi8EEEvPviiifPKvS6_S6_PKlii
	.globl	_ZN12tensorrt_llm7kernels32fusedQKNormRopeKernelNTokenHeadsIN3c104HalfES3_Li64ELb1ELi8EEEvPviiifPKvS6_S6_PKlii
	.p2align	8
	.type	_ZN12tensorrt_llm7kernels32fusedQKNormRopeKernelNTokenHeadsIN3c104HalfES3_Li64ELb1ELi8EEEvPviiifPKvS6_S6_PKlii,@function
_ZN12tensorrt_llm7kernels32fusedQKNormRopeKernelNTokenHeadsIN3c104HalfES3_Li64ELb1ELi8EEEvPviiifPKvS6_S6_PKlii: ; @_ZN12tensorrt_llm7kernels32fusedQKNormRopeKernelNTokenHeadsIN3c104HalfES3_Li64ELb1ELi8EEEvPviiifPKvS6_S6_PKlii
; %bb.0:
	s_load_dwordx4 s[12:15], s[4:5], 0x8
	s_load_dwordx2 s[2:3], s[4:5], 0x38
	s_load_dword s0, s[4:5], 0x4c
	v_lshrrev_b32_e32 v13, 5, v0
	s_waitcnt lgkmcnt(0)
	s_add_i32 s21, s13, s12
	s_add_i32 s1, s21, 7
	s_ashr_i32 s7, s1, 31
	s_lshr_b32 s7, s7, 29
	s_add_i32 s1, s1, s7
	s_ashr_i32 s20, s1, 3
	s_abs_i32 s1, s20
	v_cvt_f32_u32_e32 v1, s1
	s_bfe_u32 s0, s0, 0xb0005
	s_mul_i32 s6, s6, s0
	v_add_u32_e32 v9, s6, v13
	v_rcp_iflag_f32_e32 v1, v1
	s_sub_i32 s6, 0, s1
	v_sub_u32_e32 v2, 0, v9
	v_max_i32_e32 v2, v9, v2
	v_mul_f32_e32 v1, 0x4f7ffffe, v1
	v_cvt_u32_f32_e32 v1, v1
	v_xor_b32_e32 v3, s20, v9
	v_ashrrev_i32_e32 v3, 31, v3
	v_mul_lo_u32 v4, s6, v1
	v_mul_hi_u32 v4, v1, v4
	v_add_u32_e32 v1, v1, v4
	v_mul_hi_u32 v1, v2, v1
	v_mul_lo_u32 v4, v1, s1
	v_sub_u32_e32 v2, v2, v4
	v_add_u32_e32 v4, 1, v1
	v_cmp_le_u32_e32 vcc, s1, v2
	v_cndmask_b32_e32 v1, v1, v4, vcc
	v_subrev_u32_e32 v4, s1, v2
	v_cndmask_b32_e32 v2, v2, v4, vcc
	v_add_u32_e32 v4, 1, v1
	v_cmp_le_u32_e32 vcc, s1, v2
	v_cndmask_b32_e32 v1, v1, v4, vcc
	v_xor_b32_e32 v1, v1, v3
	v_sub_u32_e32 v2, v1, v3
	v_cmp_gt_i32_e32 vcc, s2, v2
	s_and_saveexec_b64 s[6:7], vcc
	s_cbranch_execz .LBB42_17
; %bb.1:
	v_and_b32_e32 v10, 31, v0
	v_mul_lo_u32 v0, v2, s20
	v_sub_u32_e32 v0, v9, v0
	s_load_dwordx2 s[16:17], s[4:5], 0x0
	v_lshlrev_b32_e32 v0, 3, v0
	v_add_u32_e32 v1, 8, v0
	v_sub_u32_e32 v3, s21, v0
	v_cmp_lt_i32_e32 vcc, s21, v1
	v_cndmask_b32_e32 v8, 8, v3, vcc
	s_lshl_b32 s18, s3, 1
	s_mul_i32 s2, s18, s0
	v_lshlrev_b32_e32 v12, 10, v13
	v_cmp_lt_i32_e64 s[0:1], 0, v8
	v_lshlrev_b32_e32 v4, 1, v10
	v_lshlrev_b32_e32 v11, 2, v10
	s_and_saveexec_b64 s[6:7], s[0:1]
	s_cbranch_execz .LBB42_9
; %bb.2:
	s_mov_b32 s19, 1
	v_cmp_ne_u32_e32 vcc, 1, v8
	s_mov_b64 s[10:11], -1
	v_mov_b32_e32 v1, 0
	s_and_saveexec_b64 s[8:9], vcc
	s_cbranch_execz .LBB42_6
; %bb.3:
	s_add_i32 s21, s21, s14
	s_add_i32 s10, s2, 0
	v_mul_lo_u32 v6, v2, s21
	s_mov_b32 s22, 0
	v_add3_u32 v7, s10, v12, v11
	v_mov_b32_e32 v1, v0
	s_mov_b32 s21, s12
	s_mov_b32 s23, s12
	v_mov_b32_e32 v3, v6
	v_mov_b32_e32 v5, v4
	v_and_b32_e32 v14, 0x7ffffffe, v8
	s_mov_b64 s[10:11], 0
	v_mov_b32_e32 v15, s12
	v_mov_b32_e32 v16, s12
	s_waitcnt lgkmcnt(0)
	v_mov_b32_e32 v17, s17
.LBB42_4:                               ; =>This Inner Loop Header: Depth=1
	v_add_u32_e32 v19, s19, v1
	v_add_u32_e32 v18, s22, v0
	v_cmp_le_i32_e32 vcc, s23, v19
	v_cndmask_b32_e32 v20, 0, v15, vcc
	v_cmp_le_i32_e32 vcc, s21, v18
	v_cndmask_b32_e32 v21, 0, v16, vcc
	v_sub_u32_e32 v18, v18, v21
	v_sub_u32_e32 v19, v19, v20
	v_add3_u32 v18, v6, v21, v18
	v_add3_u32 v19, v3, v20, v19
	v_lshl_or_b32 v18, v18, 6, v4
	v_lshl_or_b32 v20, v19, 6, v5
	v_ashrrev_i32_e32 v19, 31, v18
	v_lshlrev_b64 v[18:19], 1, v[18:19]
	v_ashrrev_i32_e32 v21, 31, v20
	v_add_co_u32_e32 v18, vcc, s16, v18
	v_lshlrev_b64 v[20:21], 1, v[20:21]
	v_addc_co_u32_e32 v19, vcc, v17, v19, vcc
	v_add_co_u32_e32 v20, vcc, s16, v20
	v_addc_co_u32_e32 v21, vcc, v17, v21, vcc
	global_load_dword v22, v[18:19], off
	global_load_dword v23, v[20:21], off
	v_add_u32_e32 v14, -2, v14
	v_lshl_add_u32 v18, s22, 7, v7
	v_lshl_add_u32 v19, s19, 7, v7
	s_add_i32 s22, s22, 2
	s_add_i32 s19, s19, 2
	v_cmp_eq_u32_e32 vcc, 0, v14
	s_or_b64 s[10:11], vcc, s[10:11]
	s_waitcnt vmcnt(1)
	ds_write_b32 v18, v22
	s_waitcnt vmcnt(0)
	ds_write_b32 v19, v23
	s_andn2_b64 exec, exec, s[10:11]
	s_cbranch_execnz .LBB42_4
; %bb.5:
	s_or_b64 exec, exec, s[10:11]
	v_and_b32_e32 v1, 0x7ffffffe, v8
	v_cmp_ne_u32_e32 vcc, v8, v1
	s_orn2_b64 s[10:11], vcc, exec
.LBB42_6:
	s_or_b64 exec, exec, s[8:9]
	s_and_b64 exec, exec, s[10:11]
	s_cbranch_execz .LBB42_9
; %bb.7:
	s_add_i32 s8, s14, s13
	s_add_i32 s8, s8, s12
	s_lshl_b32 s9, s20, 3
	s_sub_i32 s8, s8, s9
	v_mul_lo_u32 v3, s8, v2
	v_lshlrev_b32_e32 v5, 3, v9
	v_add3_u32 v3, v1, v3, v5
	v_lshl_or_b32 v6, v3, 6, v4
	v_lshlrev_b32_e32 v3, 7, v1
	v_add3_u32 v3, s2, v12, v3
	v_add3_u32 v3, v3, v11, 0
	s_mov_b64 s[8:9], 0
	s_waitcnt lgkmcnt(0)
	v_mov_b32_e32 v5, s17
.LBB42_8:                               ; =>This Inner Loop Header: Depth=1
	v_ashrrev_i32_e32 v7, 31, v6
	v_lshlrev_b64 v[14:15], 1, v[6:7]
	v_add_co_u32_e32 v14, vcc, s16, v14
	v_addc_co_u32_e32 v15, vcc, v5, v15, vcc
	global_load_dword v7, v[14:15], off
	v_add_u32_e32 v1, 1, v1
	v_cmp_ge_i32_e32 vcc, v1, v8
	v_add_u32_e32 v6, 64, v6
	s_or_b64 s[8:9], vcc, s[8:9]
	s_waitcnt vmcnt(0)
	ds_write_b32 v3, v7
	v_add_u32_e32 v3, 0x80, v3
	s_andn2_b64 exec, exec, s[8:9]
	s_cbranch_execnz .LBB42_8
.LBB42_9:
	s_or_b64 exec, exec, s[6:7]
	s_add_i32 s18, s18, 15
	s_load_dwordx8 s[4:11], s[4:5], 0x18
	s_ashr_i32 s19, s18, 31
	s_lshr_b32 s19, s19, 28
	s_add_i32 s18, s18, s19
	s_ashr_i32 s21, s18, 4
	v_mul_lo_u32 v1, v13, s3
	v_cmp_gt_i32_e32 vcc, s21, v10
	v_lshlrev_b32_e32 v5, 1, v1
	s_and_saveexec_b64 s[18:19], vcc
	s_cbranch_execz .LBB42_12
; %bb.10:
	v_ashrrev_i32_e32 v3, 31, v2
	v_lshlrev_b64 v[6:7], 3, v[2:3]
	s_waitcnt lgkmcnt(0)
	v_mov_b32_e32 v1, s11
	v_add_co_u32_e32 v6, vcc, s10, v6
	v_addc_co_u32_e32 v7, vcc, v1, v7, vcc
	global_load_dwordx2 v[6:7], v[6:7], off
	s_ashr_i32 s22, s3, 31
	v_lshlrev_b32_e32 v3, 4, v10
	v_add3_u32 v1, v5, v3, 0
	v_mov_b32_e32 v13, s9
	s_mov_b64 s[10:11], 0
	s_waitcnt vmcnt(0)
	v_mul_lo_u32 v14, v7, s3
	v_mul_lo_u32 v15, v6, s22
	v_mad_u64_u32 v[6:7], s[22:23], v6, s3, 0
	v_add3_u32 v7, v7, v15, v14
	v_lshlrev_b64 v[6:7], 1, v[6:7]
	v_add_co_u32_e32 v3, vcc, v6, v3
	v_addc_co_u32_e32 v7, vcc, 0, v7, vcc
	v_add_co_u32_e32 v6, vcc, s8, v3
	v_addc_co_u32_e32 v7, vcc, v13, v7, vcc
	v_mov_b32_e32 v3, v10
.LBB42_11:                              ; =>This Inner Loop Header: Depth=1
	global_load_dwordx4 v[14:17], v[6:7], off
	v_add_co_u32_e32 v6, vcc, 0x200, v6
	v_add_u32_e32 v3, 32, v3
	v_addc_co_u32_e32 v7, vcc, 0, v7, vcc
	v_cmp_le_i32_e32 vcc, s21, v3
	s_or_b64 s[10:11], vcc, s[10:11]
	s_waitcnt vmcnt(0)
	ds_write_b128 v1, v[14:17]
	v_add_u32_e32 v1, 0x200, v1
	s_andn2_b64 exec, exec, s[10:11]
	s_cbranch_execnz .LBB42_11
.LBB42_12:
	s_or_b64 exec, exec, s[18:19]
	s_and_b64 exec, exec, s[0:1]
	s_cbranch_execz .LBB42_17
; %bb.13:
	s_waitcnt lgkmcnt(0)
	global_load_dword v1, v11, s[4:5]
	global_load_dword v6, v11, s[6:7]
	v_mbcnt_lo_u32_b32 v3, -1, 0
	s_lshr_b32 s0, s3, 31
	s_add_i32 s1, s14, s13
	v_add_u32_e32 v12, s2, v12
	v_mbcnt_hi_u32_b32 v3, -1, v3
	s_lshl_b32 s8, s20, 3
	s_add_i32 s0, s3, s0
	s_add_i32 s1, s1, s12
	v_add3_u32 v11, v12, v11, 0
	v_and_b32_e32 v12, 0x60, v3
	v_add3_u32 v7, 0, v5, v4
	s_ashr_i32 s2, s0, 1
	s_and_b32 s0, s0, -2
	v_xor_b32_e32 v13, 16, v3
	s_sub_i32 s1, s1, s8
	v_add_u32_e32 v12, 32, v12
	v_xor_b32_e32 v14, 8, v3
	v_cmp_gt_i32_e32 vcc, s2, v10
	v_add_u32_e32 v10, s0, v7
	v_mul_lo_u32 v2, s1, v2
	v_cmp_lt_i32_e64 s[0:1], v13, v12
	v_xor_b32_e32 v15, 4, v3
	v_cndmask_b32_e64 v13, v3, v13, s[0:1]
	v_cmp_lt_i32_e64 s[0:1], v14, v12
	v_xor_b32_e32 v16, 2, v3
	v_cndmask_b32_e64 v14, v3, v14, s[0:1]
	;; [unrolled: 3-line block ×3, first 2 shown]
	v_cmp_lt_i32_e64 s[0:1], v16, v12
	v_lshlrev_b32_e32 v5, 9, v9
	v_cndmask_b32_e64 v16, v3, v16, s[0:1]
	v_cmp_lt_i32_e64 s[0:1], v17, v12
	v_cndmask_b32_e64 v3, v3, v17, s[0:1]
	v_lshl_add_u32 v2, v2, 6, v5
	s_mov_b32 s6, 0
	s_mov_b64 s[4:5], 0
	v_mov_b32_e32 v9, s15
	s_mov_b32 s7, 0x800000
	v_lshlrev_b32_e32 v12, 2, v13
	v_lshlrev_b32_e32 v13, 2, v14
	;; [unrolled: 1-line block ×5, first 2 shown]
	v_or_b32_e32 v2, v2, v4
	v_mov_b32_e32 v19, s17
	s_waitcnt vmcnt(1)
	v_lshrrev_b32_e32 v17, 16, v1
	s_waitcnt vmcnt(0)
	v_lshrrev_b32_e32 v18, 16, v6
	s_branch .LBB42_15
.LBB42_14:                              ;   in Loop: Header=BB42_15 Depth=1
	s_or_b64 exec, exec, s[0:1]
	v_ashrrev_i32_e32 v3, 31, v2
	v_cvt_f16_f32_e32 v20, v4
	v_cvt_f16_f32_e32 v21, v5
	v_lshlrev_b64 v[4:5], 1, v[2:3]
	v_add_co_u32_e64 v4, s[0:1], s16, v4
	v_addc_co_u32_e64 v5, s[0:1], v19, v5, s[0:1]
	s_add_i32 s6, s6, 1
	v_cmp_ge_i32_e64 s[0:1], s6, v8
	v_pack_b32_f16 v3, v20, v21
	v_add_u32_e32 v2, 64, v2
	s_or_b64 s[4:5], s[0:1], s[4:5]
	v_add_u32_e32 v11, 0x80, v11
	global_store_dword v[4:5], v3, off
	s_andn2_b64 exec, exec, s[4:5]
	s_cbranch_execz .LBB42_17
.LBB42_15:                              ; =>This Inner Loop Header: Depth=1
	ds_read_b32 v3, v11
	v_mov_b32_e32 v22, v9
	s_waitcnt lgkmcnt(0)
	v_cvt_f32_f16_sdwa v5, v3 dst_sel:DWORD dst_unused:UNUSED_PAD src0_sel:WORD_1
	v_cvt_f32_f16_e32 v4, v3
	v_pk_mul_f32 v[20:21], v[4:5], v[4:5]
	v_add_f32_e32 v3, v21, v20
	ds_bpermute_b32 v20, v12, v3
	v_add_u32_e32 v21, s6, v0
	v_cmp_gt_i32_e64 s[0:1], s12, v21
	v_cndmask_b32_e64 v21, v18, v17, s[0:1]
	v_cvt_f32_f16_e32 v21, v21
	s_waitcnt lgkmcnt(0)
	v_add_f32_e32 v3, v3, v20
	ds_bpermute_b32 v20, v13, v3
	s_waitcnt lgkmcnt(0)
	v_add_f32_e32 v3, v3, v20
	ds_bpermute_b32 v20, v14, v3
	;; [unrolled: 3-line block ×4, first 2 shown]
	s_waitcnt lgkmcnt(0)
	v_add_f32_e32 v3, v3, v20
	v_fmac_f32_e32 v22, 0x3c800000, v3
	v_mul_f32_e32 v3, 0x4b800000, v22
	v_cmp_gt_f32_e64 s[2:3], s7, v22
	v_cndmask_b32_e64 v3, v22, v3, s[2:3]
	v_rsq_f32_e32 v3, v3
	v_cndmask_b32_e64 v20, v6, v1, s[0:1]
	v_cvt_f32_f16_e32 v20, v20
	v_mul_f32_e32 v22, 0x45800000, v3
	v_cndmask_b32_e64 v22, v3, v22, s[2:3]
	v_pk_mul_f32 v[20:21], v[22:23], v[20:21] op_sel_hi:[0,1]
	v_pk_mul_f32 v[4:5], v[20:21], v[4:5]
	s_and_saveexec_b64 s[0:1], vcc
	s_cbranch_execz .LBB42_14
; %bb.16:                               ;   in Loop: Header=BB42_15 Depth=1
	ds_read_u16 v3, v7
	ds_read_u16 v24, v10
	s_waitcnt lgkmcnt(1)
	v_cvt_f32_f16_e32 v21, v3
	s_waitcnt lgkmcnt(0)
	v_cvt_f32_f16_e32 v20, v24
	v_pk_mul_f32 v[22:23], v[4:5], v[20:21]
	v_mov_b32_e32 v3, v22
	v_mul_f32_e32 v23, v4, v21
	v_pk_fma_f32 v[20:21], v[4:5], v[20:21], v[2:3]
	v_fma_mix_f32 v4, -v5, v24, v23 op_sel_hi:[0,1,0]
	v_mov_b32_e32 v5, v21
	s_branch .LBB42_14
.LBB42_17:
	s_endpgm
	.section	.rodata,"a",@progbits
	.p2align	6, 0x0
	.amdhsa_kernel _ZN12tensorrt_llm7kernels32fusedQKNormRopeKernelNTokenHeadsIN3c104HalfES3_Li64ELb1ELi8EEEvPviiifPKvS6_S6_PKlii
		.amdhsa_group_segment_fixed_size 0
		.amdhsa_private_segment_fixed_size 0
		.amdhsa_kernarg_size 320
		.amdhsa_user_sgpr_count 6
		.amdhsa_user_sgpr_private_segment_buffer 1
		.amdhsa_user_sgpr_dispatch_ptr 0
		.amdhsa_user_sgpr_queue_ptr 0
		.amdhsa_user_sgpr_kernarg_segment_ptr 1
		.amdhsa_user_sgpr_dispatch_id 0
		.amdhsa_user_sgpr_flat_scratch_init 0
		.amdhsa_user_sgpr_kernarg_preload_length 0
		.amdhsa_user_sgpr_kernarg_preload_offset 0
		.amdhsa_user_sgpr_private_segment_size 0
		.amdhsa_uses_dynamic_stack 0
		.amdhsa_system_sgpr_private_segment_wavefront_offset 0
		.amdhsa_system_sgpr_workgroup_id_x 1
		.amdhsa_system_sgpr_workgroup_id_y 0
		.amdhsa_system_sgpr_workgroup_id_z 0
		.amdhsa_system_sgpr_workgroup_info 0
		.amdhsa_system_vgpr_workitem_id 0
		.amdhsa_next_free_vgpr 25
		.amdhsa_next_free_sgpr 24
		.amdhsa_accum_offset 28
		.amdhsa_reserve_vcc 1
		.amdhsa_reserve_flat_scratch 0
		.amdhsa_float_round_mode_32 0
		.amdhsa_float_round_mode_16_64 0
		.amdhsa_float_denorm_mode_32 3
		.amdhsa_float_denorm_mode_16_64 3
		.amdhsa_dx10_clamp 1
		.amdhsa_ieee_mode 1
		.amdhsa_fp16_overflow 0
		.amdhsa_tg_split 0
		.amdhsa_exception_fp_ieee_invalid_op 0
		.amdhsa_exception_fp_denorm_src 0
		.amdhsa_exception_fp_ieee_div_zero 0
		.amdhsa_exception_fp_ieee_overflow 0
		.amdhsa_exception_fp_ieee_underflow 0
		.amdhsa_exception_fp_ieee_inexact 0
		.amdhsa_exception_int_div_zero 0
	.end_amdhsa_kernel
	.section	.text._ZN12tensorrt_llm7kernels32fusedQKNormRopeKernelNTokenHeadsIN3c104HalfES3_Li64ELb1ELi8EEEvPviiifPKvS6_S6_PKlii,"axG",@progbits,_ZN12tensorrt_llm7kernels32fusedQKNormRopeKernelNTokenHeadsIN3c104HalfES3_Li64ELb1ELi8EEEvPviiifPKvS6_S6_PKlii,comdat
.Lfunc_end42:
	.size	_ZN12tensorrt_llm7kernels32fusedQKNormRopeKernelNTokenHeadsIN3c104HalfES3_Li64ELb1ELi8EEEvPviiifPKvS6_S6_PKlii, .Lfunc_end42-_ZN12tensorrt_llm7kernels32fusedQKNormRopeKernelNTokenHeadsIN3c104HalfES3_Li64ELb1ELi8EEEvPviiifPKvS6_S6_PKlii
                                        ; -- End function
	.section	.AMDGPU.csdata,"",@progbits
; Kernel info:
; codeLenInByte = 1704
; NumSgprs: 28
; NumVgprs: 25
; NumAgprs: 0
; TotalNumVgprs: 25
; ScratchSize: 0
; MemoryBound: 0
; FloatMode: 240
; IeeeMode: 1
; LDSByteSize: 0 bytes/workgroup (compile time only)
; SGPRBlocks: 3
; VGPRBlocks: 3
; NumSGPRsForWavesPerEU: 28
; NumVGPRsForWavesPerEU: 25
; AccumOffset: 28
; Occupancy: 8
; WaveLimiterHint : 0
; COMPUTE_PGM_RSRC2:SCRATCH_EN: 0
; COMPUTE_PGM_RSRC2:USER_SGPR: 6
; COMPUTE_PGM_RSRC2:TRAP_HANDLER: 0
; COMPUTE_PGM_RSRC2:TGID_X_EN: 1
; COMPUTE_PGM_RSRC2:TGID_Y_EN: 0
; COMPUTE_PGM_RSRC2:TGID_Z_EN: 0
; COMPUTE_PGM_RSRC2:TIDIG_COMP_CNT: 0
; COMPUTE_PGM_RSRC3_GFX90A:ACCUM_OFFSET: 6
; COMPUTE_PGM_RSRC3_GFX90A:TG_SPLIT: 0
	.section	.text._ZN12tensorrt_llm7kernels32fusedQKNormRopeKernelNTokenHeadsIN3c104HalfES3_Li64ELb0ELi8EEEvPviiifPKvS6_S6_PKlii,"axG",@progbits,_ZN12tensorrt_llm7kernels32fusedQKNormRopeKernelNTokenHeadsIN3c104HalfES3_Li64ELb0ELi8EEEvPviiifPKvS6_S6_PKlii,comdat
	.protected	_ZN12tensorrt_llm7kernels32fusedQKNormRopeKernelNTokenHeadsIN3c104HalfES3_Li64ELb0ELi8EEEvPviiifPKvS6_S6_PKlii ; -- Begin function _ZN12tensorrt_llm7kernels32fusedQKNormRopeKernelNTokenHeadsIN3c104HalfES3_Li64ELb0ELi8EEEvPviiifPKvS6_S6_PKlii
	.globl	_ZN12tensorrt_llm7kernels32fusedQKNormRopeKernelNTokenHeadsIN3c104HalfES3_Li64ELb0ELi8EEEvPviiifPKvS6_S6_PKlii
	.p2align	8
	.type	_ZN12tensorrt_llm7kernels32fusedQKNormRopeKernelNTokenHeadsIN3c104HalfES3_Li64ELb0ELi8EEEvPviiifPKvS6_S6_PKlii,@function
_ZN12tensorrt_llm7kernels32fusedQKNormRopeKernelNTokenHeadsIN3c104HalfES3_Li64ELb0ELi8EEEvPviiifPKvS6_S6_PKlii: ; @_ZN12tensorrt_llm7kernels32fusedQKNormRopeKernelNTokenHeadsIN3c104HalfES3_Li64ELb0ELi8EEEvPviiifPKvS6_S6_PKlii
; %bb.0:
	s_load_dwordx4 s[12:15], s[4:5], 0x8
	s_load_dwordx2 s[2:3], s[4:5], 0x38
	s_load_dword s0, s[4:5], 0x4c
	v_lshrrev_b32_e32 v12, 5, v0
	s_waitcnt lgkmcnt(0)
	s_add_i32 s19, s13, s12
	s_add_i32 s1, s19, 7
	s_ashr_i32 s7, s1, 31
	s_lshr_b32 s7, s7, 29
	s_add_i32 s1, s1, s7
	s_ashr_i32 s21, s1, 3
	s_abs_i32 s1, s21
	v_cvt_f32_u32_e32 v1, s1
	s_bfe_u32 s0, s0, 0xb0005
	s_mul_i32 s6, s6, s0
	v_add_u32_e32 v8, s6, v12
	v_rcp_iflag_f32_e32 v1, v1
	s_sub_i32 s6, 0, s1
	v_sub_u32_e32 v2, 0, v8
	v_max_i32_e32 v2, v8, v2
	v_mul_f32_e32 v1, 0x4f7ffffe, v1
	v_cvt_u32_f32_e32 v1, v1
	v_xor_b32_e32 v3, s21, v8
	v_ashrrev_i32_e32 v3, 31, v3
	v_mul_lo_u32 v4, s6, v1
	v_mul_hi_u32 v4, v1, v4
	v_add_u32_e32 v1, v1, v4
	v_mul_hi_u32 v1, v2, v1
	v_mul_lo_u32 v4, v1, s1
	v_sub_u32_e32 v2, v2, v4
	v_add_u32_e32 v4, 1, v1
	v_cmp_le_u32_e32 vcc, s1, v2
	v_cndmask_b32_e32 v1, v1, v4, vcc
	v_subrev_u32_e32 v4, s1, v2
	v_cndmask_b32_e32 v2, v2, v4, vcc
	v_add_u32_e32 v4, 1, v1
	v_cmp_le_u32_e32 vcc, s1, v2
	v_cndmask_b32_e32 v1, v1, v4, vcc
	v_xor_b32_e32 v1, v1, v3
	v_sub_u32_e32 v2, v1, v3
	v_cmp_gt_i32_e32 vcc, s2, v2
	s_and_saveexec_b64 s[6:7], vcc
	s_cbranch_execz .LBB43_17
; %bb.1:
	v_and_b32_e32 v9, 31, v0
	v_mul_lo_u32 v0, v2, s21
	v_sub_u32_e32 v0, v8, v0
	s_load_dwordx2 s[16:17], s[4:5], 0x0
	v_lshlrev_b32_e32 v0, 3, v0
	v_add_u32_e32 v1, 8, v0
	v_sub_u32_e32 v3, s19, v0
	v_cmp_lt_i32_e32 vcc, s19, v1
	v_cndmask_b32_e32 v7, 8, v3, vcc
	s_lshl_b32 s2, s3, 1
	s_mul_i32 s20, s2, s0
	v_lshlrev_b32_e32 v10, 10, v12
	v_cmp_lt_i32_e64 s[0:1], 0, v7
	v_lshlrev_b32_e32 v11, 2, v9
	s_and_saveexec_b64 s[6:7], s[0:1]
	s_cbranch_execz .LBB43_9
; %bb.2:
	s_mov_b32 s18, 1
	v_lshlrev_b32_e32 v4, 1, v9
	v_cmp_ne_u32_e32 vcc, 1, v7
	s_mov_b64 s[10:11], -1
	v_mov_b32_e32 v1, 0
	s_and_saveexec_b64 s[8:9], vcc
	s_cbranch_execz .LBB43_6
; %bb.3:
	s_add_i32 s19, s19, s14
	s_add_i32 s10, s20, 0
	v_mul_lo_u32 v6, v2, s19
	s_mov_b32 s22, 0
	v_add3_u32 v13, s10, v10, v11
	v_mov_b32_e32 v1, v0
	s_mov_b32 s19, s12
	s_mov_b32 s23, s12
	v_mov_b32_e32 v3, v6
	v_mov_b32_e32 v5, v4
	v_and_b32_e32 v14, 0x7ffffffe, v7
	s_mov_b64 s[10:11], 0
	v_mov_b32_e32 v15, s12
	v_mov_b32_e32 v16, s12
	s_waitcnt lgkmcnt(0)
	v_mov_b32_e32 v17, s17
.LBB43_4:                               ; =>This Inner Loop Header: Depth=1
	v_add_u32_e32 v19, s18, v1
	v_add_u32_e32 v18, s22, v0
	v_cmp_le_i32_e32 vcc, s23, v19
	v_cndmask_b32_e32 v20, 0, v15, vcc
	v_cmp_le_i32_e32 vcc, s19, v18
	v_cndmask_b32_e32 v21, 0, v16, vcc
	v_sub_u32_e32 v18, v18, v21
	v_sub_u32_e32 v19, v19, v20
	v_add3_u32 v18, v6, v21, v18
	v_add3_u32 v19, v3, v20, v19
	v_lshl_or_b32 v18, v18, 6, v4
	v_lshl_or_b32 v20, v19, 6, v5
	v_ashrrev_i32_e32 v19, 31, v18
	v_lshlrev_b64 v[18:19], 1, v[18:19]
	v_ashrrev_i32_e32 v21, 31, v20
	v_add_co_u32_e32 v18, vcc, s16, v18
	v_lshlrev_b64 v[20:21], 1, v[20:21]
	v_addc_co_u32_e32 v19, vcc, v17, v19, vcc
	v_add_co_u32_e32 v20, vcc, s16, v20
	v_addc_co_u32_e32 v21, vcc, v17, v21, vcc
	global_load_dword v22, v[18:19], off
	global_load_dword v23, v[20:21], off
	v_add_u32_e32 v14, -2, v14
	v_lshl_add_u32 v18, s22, 7, v13
	v_lshl_add_u32 v19, s18, 7, v13
	s_add_i32 s22, s22, 2
	s_add_i32 s18, s18, 2
	v_cmp_eq_u32_e32 vcc, 0, v14
	s_or_b64 s[10:11], vcc, s[10:11]
	s_waitcnt vmcnt(1)
	ds_write_b32 v18, v22
	s_waitcnt vmcnt(0)
	ds_write_b32 v19, v23
	s_andn2_b64 exec, exec, s[10:11]
	s_cbranch_execnz .LBB43_4
; %bb.5:
	s_or_b64 exec, exec, s[10:11]
	v_and_b32_e32 v1, 0x7ffffffe, v7
	v_cmp_ne_u32_e32 vcc, v7, v1
	s_orn2_b64 s[10:11], vcc, exec
.LBB43_6:
	s_or_b64 exec, exec, s[8:9]
	s_and_b64 exec, exec, s[10:11]
	s_cbranch_execz .LBB43_9
; %bb.7:
	s_add_i32 s8, s14, s13
	s_add_i32 s8, s8, s12
	s_lshl_b32 s9, s21, 3
	s_sub_i32 s8, s8, s9
	v_mul_lo_u32 v3, s8, v2
	v_lshlrev_b32_e32 v5, 3, v8
	v_add3_u32 v3, v1, v3, v5
	v_lshl_or_b32 v4, v3, 6, v4
	v_lshlrev_b32_e32 v3, 7, v1
	v_add3_u32 v3, s20, v10, v3
	v_add3_u32 v3, v3, v11, 0
	s_mov_b64 s[8:9], 0
	s_waitcnt lgkmcnt(0)
	v_mov_b32_e32 v6, s17
.LBB43_8:                               ; =>This Inner Loop Header: Depth=1
	v_ashrrev_i32_e32 v5, 31, v4
	v_lshlrev_b64 v[14:15], 1, v[4:5]
	v_add_co_u32_e32 v14, vcc, s16, v14
	v_addc_co_u32_e32 v15, vcc, v6, v15, vcc
	global_load_dword v5, v[14:15], off
	v_add_u32_e32 v1, 1, v1
	v_cmp_ge_i32_e32 vcc, v1, v7
	v_add_u32_e32 v4, 64, v4
	s_or_b64 s[8:9], vcc, s[8:9]
	s_waitcnt vmcnt(0)
	ds_write_b32 v3, v5
	v_add_u32_e32 v3, 0x80, v3
	s_andn2_b64 exec, exec, s[8:9]
	s_cbranch_execnz .LBB43_8
.LBB43_9:
	s_or_b64 exec, exec, s[6:7]
	s_add_i32 s2, s2, 15
	s_load_dwordx8 s[4:11], s[4:5], 0x18
	s_ashr_i32 s18, s2, 31
	s_lshr_b32 s18, s18, 28
	s_add_i32 s2, s2, s18
	s_ashr_i32 s2, s2, 4
	v_cmp_gt_i32_e32 vcc, s2, v9
	v_mul_lo_u32 v6, v12, s3
	s_and_saveexec_b64 s[18:19], vcc
	s_cbranch_execz .LBB43_12
; %bb.10:
	v_ashrrev_i32_e32 v3, 31, v2
	v_lshlrev_b64 v[4:5], 3, v[2:3]
	s_waitcnt lgkmcnt(0)
	v_mov_b32_e32 v1, s11
	v_add_co_u32_e32 v4, vcc, s10, v4
	v_addc_co_u32_e32 v5, vcc, v1, v5, vcc
	global_load_dwordx2 v[4:5], v[4:5], off
	s_ashr_i32 s22, s3, 31
	v_lshlrev_b32_e32 v1, 1, v6
	v_lshlrev_b32_e32 v3, 4, v9
	v_add3_u32 v1, v1, v3, 0
	v_mov_b32_e32 v12, s9
	s_mov_b64 s[10:11], 0
	s_waitcnt vmcnt(0)
	v_mul_lo_u32 v13, v5, s3
	v_mul_lo_u32 v14, v4, s22
	v_mad_u64_u32 v[4:5], s[22:23], v4, s3, 0
	v_add3_u32 v5, v5, v14, v13
	v_lshlrev_b64 v[4:5], 1, v[4:5]
	v_add_co_u32_e32 v3, vcc, v4, v3
	v_addc_co_u32_e32 v5, vcc, 0, v5, vcc
	v_add_co_u32_e32 v4, vcc, s8, v3
	v_addc_co_u32_e32 v5, vcc, v12, v5, vcc
	v_mov_b32_e32 v3, v9
.LBB43_11:                              ; =>This Inner Loop Header: Depth=1
	global_load_dwordx4 v[12:15], v[4:5], off
	v_add_co_u32_e32 v4, vcc, 0x200, v4
	v_add_u32_e32 v3, 32, v3
	v_addc_co_u32_e32 v5, vcc, 0, v5, vcc
	v_cmp_le_i32_e32 vcc, s2, v3
	s_or_b64 s[10:11], vcc, s[10:11]
	s_waitcnt vmcnt(0)
	ds_write_b128 v1, v[12:15]
	v_add_u32_e32 v1, 0x200, v1
	s_andn2_b64 exec, exec, s[10:11]
	s_cbranch_execnz .LBB43_11
.LBB43_12:
	s_or_b64 exec, exec, s[18:19]
	s_and_b64 exec, exec, s[0:1]
	s_cbranch_execz .LBB43_17
; %bb.13:
	s_waitcnt lgkmcnt(0)
	global_load_dword v1, v11, s[4:5]
	global_load_dword v4, v11, s[6:7]
	v_mbcnt_lo_u32_b32 v5, -1, 0
	s_abs_i32 s4, s3
	s_lshr_b32 s0, s3, 31
	v_mbcnt_hi_u32_b32 v15, -1, v5
	v_cvt_f32_u32_e32 v12, s4
	s_add_i32 s1, s14, s13
	s_add_i32 s0, s3, s0
	v_and_b32_e32 v5, 0x60, v15
	v_lshl_add_u32 v3, v6, 1, 0
	s_add_i32 s7, s1, s12
	s_ashr_i32 s1, s0, 1
	s_and_b32 s0, s0, -2
	v_xor_b32_e32 v6, 16, v15
	v_add_u32_e32 v5, 32, v5
	v_xor_b32_e32 v13, 8, v15
	v_add_u32_e32 v20, s0, v3
	v_cmp_gt_i32_e32 vcc, s1, v9
	s_lshr_b32 s2, s1, 1
	v_cmp_lt_i32_e64 s[0:1], v6, v5
	v_xor_b32_e32 v14, 4, v15
	v_cndmask_b32_e64 v6, v15, v6, s[0:1]
	v_cmp_lt_i32_e64 s[0:1], v13, v5
	v_rcp_iflag_f32_e32 v22, v12
	v_xor_b32_e32 v17, 2, v15
	v_cndmask_b32_e64 v13, v15, v13, s[0:1]
	v_cmp_lt_i32_e64 s[0:1], v14, v5
	v_cndmask_b32_e64 v14, v15, v14, s[0:1]
	v_cmp_lt_i32_e64 s[0:1], v17, v5
	v_xor_b32_e32 v18, 1, v15
	v_cndmask_b32_e64 v17, v15, v17, s[0:1]
	v_cmp_lt_i32_e64 s[0:1], v18, v5
	v_lshlrev_b32_e32 v5, 2, v6
	v_lshlrev_b32_e32 v6, 2, v13
	;; [unrolled: 1-line block ×3, first 2 shown]
	v_mul_f32_e32 v17, 0x4f7ffffe, v22
	v_cvt_u32_f32_e32 v17, v17
	s_sub_i32 s6, 0, s4
	v_cndmask_b32_e64 v18, v15, v18, s[0:1]
	v_lshlrev_b32_e32 v12, 2, v14
	v_lshlrev_b32_e32 v14, 2, v18
	v_mul_lo_u32 v18, s6, v17
	v_mul_hi_u32 v18, v17, v18
	v_add_u32_e32 v17, v17, v18
	v_or_b32_e32 v16, 2, v11
	v_and_b32_e32 v19, 64, v15
	v_mul_hi_u32 v18, v11, v17
	v_add_u32_e32 v19, 64, v19
	v_xor_b32_e32 v21, s2, v15
	v_mul_hi_u32 v17, v16, v17
	v_mul_lo_u32 v18, v18, s4
	v_cmp_gt_u32_e64 s[0:1], s2, v9
	v_cmp_lt_i32_e64 s[2:3], v21, v19
	v_mul_lo_u32 v17, v17, s4
	v_sub_u32_e32 v18, v11, v18
	v_cndmask_b32_e64 v15, v15, v21, s[2:3]
	v_sub_u32_e32 v16, v16, v17
	v_subrev_u32_e32 v17, s4, v18
	v_cmp_le_u32_e64 s[2:3], s4, v18
	v_subrev_u32_e32 v19, s4, v16
	v_cndmask_b32_e64 v17, v18, v17, s[2:3]
	v_cmp_le_u32_e64 s[2:3], s4, v16
	v_cndmask_b32_e64 v16, v16, v19, s[2:3]
	v_subrev_u32_e32 v18, s4, v17
	v_cmp_le_u32_e64 s[2:3], s4, v17
	v_subrev_u32_e32 v19, s4, v16
	v_cndmask_b32_e64 v17, v17, v18, s[2:3]
	v_cmp_le_u32_e64 s[2:3], s4, v16
	s_lshl_b32 s5, s21, 3
	v_cndmask_b32_e64 v16, v16, v19, s[2:3]
	v_and_b32_e32 v17, -2, v17
	v_and_b32_e32 v19, -2, v16
	s_sub_i32 s2, s7, s5
	v_add_u32_e32 v16, v3, v17
	v_add_u32_e32 v18, v3, v19
	v_mul_lo_u32 v2, s2, v2
	v_lshlrev_b32_e32 v3, 9, v8
	v_lshl_add_u32 v2, v2, 6, v3
	v_add_u32_e32 v3, s20, v10
	s_mov_b32 s8, 0
	v_lshlrev_b32_e32 v15, 2, v15
	v_add_u32_e32 v17, v20, v17
	v_add_u32_e32 v19, v20, v19
	s_waitcnt vmcnt(1)
	v_lshrrev_b32_e32 v20, 16, v1
	s_waitcnt vmcnt(0)
	v_lshrrev_b32_e32 v21, 16, v4
	v_lshl_or_b32 v2, v9, 1, v2
	v_add3_u32 v8, v3, v11, 0
	s_mov_b64 s[6:7], 0
	v_mov_b32_e32 v9, s15
	s_mov_b32 s9, 0x800000
	v_mov_b32_e32 v10, s17
	s_branch .LBB43_15
.LBB43_14:                              ;   in Loop: Header=BB43_15 Depth=1
	s_or_b64 exec, exec, s[2:3]
	v_cvt_f16_f32_e32 v24, v3
	v_ashrrev_i32_e32 v3, 31, v2
	v_cvt_f16_f32_e32 v11, v11
	v_lshlrev_b64 v[22:23], 1, v[2:3]
	v_add_co_u32_e64 v22, s[2:3], s16, v22
	v_addc_co_u32_e64 v23, s[2:3], v10, v23, s[2:3]
	s_add_i32 s8, s8, 1
	v_cmp_ge_i32_e64 s[2:3], s8, v7
	v_pack_b32_f16 v3, v24, v11
	v_add_u32_e32 v2, 64, v2
	s_or_b64 s[6:7], s[2:3], s[6:7]
	v_add_u32_e32 v8, 0x80, v8
	global_store_dword v[22:23], v3, off
	s_andn2_b64 exec, exec, s[6:7]
	s_cbranch_execz .LBB43_17
.LBB43_15:                              ; =>This Inner Loop Header: Depth=1
	ds_read_b32 v3, v8
	s_waitcnt lgkmcnt(0)
	v_cvt_f32_f16_sdwa v22, v3 dst_sel:DWORD dst_unused:UNUSED_PAD src0_sel:WORD_1
	v_cvt_f32_f16_e32 v23, v3
	v_pk_mul_f32 v[24:25], v[22:23], v[22:23]
	v_add_f32_e32 v3, v24, v25
	ds_bpermute_b32 v11, v5, v3
	v_mov_b32_e32 v25, v9
	v_add_u32_e32 v24, s8, v0
	v_cmp_gt_i32_e64 s[2:3], s12, v24
	v_cndmask_b32_e64 v24, v4, v1, s[2:3]
	s_waitcnt lgkmcnt(0)
	v_add_f32_e32 v3, v3, v11
	ds_bpermute_b32 v11, v6, v3
	s_waitcnt lgkmcnt(0)
	v_add_f32_e32 v3, v3, v11
	ds_bpermute_b32 v11, v12, v3
	;; [unrolled: 3-line block ×4, first 2 shown]
	s_waitcnt lgkmcnt(0)
	v_add_f32_e32 v3, v3, v11
	v_fmac_f32_e32 v25, 0x3c800000, v3
	v_mul_f32_e32 v3, 0x4b800000, v25
	v_cmp_gt_f32_e64 s[4:5], s9, v25
	v_cndmask_b32_e64 v3, v25, v3, s[4:5]
	v_rsq_f32_e32 v3, v3
	v_cvt_f32_f16_e32 v11, v24
	v_cndmask_b32_e64 v24, v21, v20, s[2:3]
	v_cvt_f32_f16_e32 v24, v24
	v_mul_f32_e32 v25, 0x45800000, v3
	v_cndmask_b32_e64 v3, v3, v25, s[4:5]
	v_mul_f32_e32 v11, v3, v11
	v_mul_f32_e32 v24, v3, v24
	;; [unrolled: 1-line block ×4, first 2 shown]
	s_and_saveexec_b64 s[2:3], vcc
	s_cbranch_execz .LBB43_14
; %bb.16:                               ;   in Loop: Header=BB43_15 Depth=1
	; wave barrier
	ds_read_u16 v22, v17
	ds_read_u16 v23, v16
	ds_bpermute_b32 v24, v15, v3
	ds_read_u16 v25, v19
	ds_read_u16 v26, v18
	ds_bpermute_b32 v27, v15, v11
	s_waitcnt lgkmcnt(5)
	v_cvt_f32_f16_e32 v22, v22
	s_waitcnt lgkmcnt(2)
	v_cvt_f32_f16_e32 v25, v25
	v_cndmask_b32_e64 v24, v24, -v24, s[0:1]
	v_mul_f32_e32 v22, v24, v22
	v_fma_mix_f32 v3, v3, v23, v22 op_sel_hi:[0,1,0]
	s_waitcnt lgkmcnt(0)
	v_cndmask_b32_e64 v22, v27, -v27, s[0:1]
	v_mul_f32_e32 v22, v22, v25
	v_fma_mix_f32 v11, v11, v26, v22 op_sel_hi:[0,1,0]
	; wave barrier
	s_branch .LBB43_14
.LBB43_17:
	s_endpgm
	.section	.rodata,"a",@progbits
	.p2align	6, 0x0
	.amdhsa_kernel _ZN12tensorrt_llm7kernels32fusedQKNormRopeKernelNTokenHeadsIN3c104HalfES3_Li64ELb0ELi8EEEvPviiifPKvS6_S6_PKlii
		.amdhsa_group_segment_fixed_size 0
		.amdhsa_private_segment_fixed_size 0
		.amdhsa_kernarg_size 320
		.amdhsa_user_sgpr_count 6
		.amdhsa_user_sgpr_private_segment_buffer 1
		.amdhsa_user_sgpr_dispatch_ptr 0
		.amdhsa_user_sgpr_queue_ptr 0
		.amdhsa_user_sgpr_kernarg_segment_ptr 1
		.amdhsa_user_sgpr_dispatch_id 0
		.amdhsa_user_sgpr_flat_scratch_init 0
		.amdhsa_user_sgpr_kernarg_preload_length 0
		.amdhsa_user_sgpr_kernarg_preload_offset 0
		.amdhsa_user_sgpr_private_segment_size 0
		.amdhsa_uses_dynamic_stack 0
		.amdhsa_system_sgpr_private_segment_wavefront_offset 0
		.amdhsa_system_sgpr_workgroup_id_x 1
		.amdhsa_system_sgpr_workgroup_id_y 0
		.amdhsa_system_sgpr_workgroup_id_z 0
		.amdhsa_system_sgpr_workgroup_info 0
		.amdhsa_system_vgpr_workitem_id 0
		.amdhsa_next_free_vgpr 28
		.amdhsa_next_free_sgpr 24
		.amdhsa_accum_offset 28
		.amdhsa_reserve_vcc 1
		.amdhsa_reserve_flat_scratch 0
		.amdhsa_float_round_mode_32 0
		.amdhsa_float_round_mode_16_64 0
		.amdhsa_float_denorm_mode_32 3
		.amdhsa_float_denorm_mode_16_64 3
		.amdhsa_dx10_clamp 1
		.amdhsa_ieee_mode 1
		.amdhsa_fp16_overflow 0
		.amdhsa_tg_split 0
		.amdhsa_exception_fp_ieee_invalid_op 0
		.amdhsa_exception_fp_denorm_src 0
		.amdhsa_exception_fp_ieee_div_zero 0
		.amdhsa_exception_fp_ieee_overflow 0
		.amdhsa_exception_fp_ieee_underflow 0
		.amdhsa_exception_fp_ieee_inexact 0
		.amdhsa_exception_int_div_zero 0
	.end_amdhsa_kernel
	.section	.text._ZN12tensorrt_llm7kernels32fusedQKNormRopeKernelNTokenHeadsIN3c104HalfES3_Li64ELb0ELi8EEEvPviiifPKvS6_S6_PKlii,"axG",@progbits,_ZN12tensorrt_llm7kernels32fusedQKNormRopeKernelNTokenHeadsIN3c104HalfES3_Li64ELb0ELi8EEEvPviiifPKvS6_S6_PKlii,comdat
.Lfunc_end43:
	.size	_ZN12tensorrt_llm7kernels32fusedQKNormRopeKernelNTokenHeadsIN3c104HalfES3_Li64ELb0ELi8EEEvPviiifPKvS6_S6_PKlii, .Lfunc_end43-_ZN12tensorrt_llm7kernels32fusedQKNormRopeKernelNTokenHeadsIN3c104HalfES3_Li64ELb0ELi8EEEvPviiifPKvS6_S6_PKlii
                                        ; -- End function
	.section	.AMDGPU.csdata,"",@progbits
; Kernel info:
; codeLenInByte = 1988
; NumSgprs: 28
; NumVgprs: 28
; NumAgprs: 0
; TotalNumVgprs: 28
; ScratchSize: 0
; MemoryBound: 0
; FloatMode: 240
; IeeeMode: 1
; LDSByteSize: 0 bytes/workgroup (compile time only)
; SGPRBlocks: 3
; VGPRBlocks: 3
; NumSGPRsForWavesPerEU: 28
; NumVGPRsForWavesPerEU: 28
; AccumOffset: 28
; Occupancy: 8
; WaveLimiterHint : 0
; COMPUTE_PGM_RSRC2:SCRATCH_EN: 0
; COMPUTE_PGM_RSRC2:USER_SGPR: 6
; COMPUTE_PGM_RSRC2:TRAP_HANDLER: 0
; COMPUTE_PGM_RSRC2:TGID_X_EN: 1
; COMPUTE_PGM_RSRC2:TGID_Y_EN: 0
; COMPUTE_PGM_RSRC2:TGID_Z_EN: 0
; COMPUTE_PGM_RSRC2:TIDIG_COMP_CNT: 0
; COMPUTE_PGM_RSRC3_GFX90A:ACCUM_OFFSET: 6
; COMPUTE_PGM_RSRC3_GFX90A:TG_SPLIT: 0
	.section	.text._ZN12tensorrt_llm7kernels32fusedQKNormRopeKernelNTokenHeadsIN3c104HalfES3_Li128ELb1ELi8EEEvPviiifPKvS6_S6_PKlii,"axG",@progbits,_ZN12tensorrt_llm7kernels32fusedQKNormRopeKernelNTokenHeadsIN3c104HalfES3_Li128ELb1ELi8EEEvPviiifPKvS6_S6_PKlii,comdat
	.protected	_ZN12tensorrt_llm7kernels32fusedQKNormRopeKernelNTokenHeadsIN3c104HalfES3_Li128ELb1ELi8EEEvPviiifPKvS6_S6_PKlii ; -- Begin function _ZN12tensorrt_llm7kernels32fusedQKNormRopeKernelNTokenHeadsIN3c104HalfES3_Li128ELb1ELi8EEEvPviiifPKvS6_S6_PKlii
	.globl	_ZN12tensorrt_llm7kernels32fusedQKNormRopeKernelNTokenHeadsIN3c104HalfES3_Li128ELb1ELi8EEEvPviiifPKvS6_S6_PKlii
	.p2align	8
	.type	_ZN12tensorrt_llm7kernels32fusedQKNormRopeKernelNTokenHeadsIN3c104HalfES3_Li128ELb1ELi8EEEvPviiifPKvS6_S6_PKlii,@function
_ZN12tensorrt_llm7kernels32fusedQKNormRopeKernelNTokenHeadsIN3c104HalfES3_Li128ELb1ELi8EEEvPviiifPKvS6_S6_PKlii: ; @_ZN12tensorrt_llm7kernels32fusedQKNormRopeKernelNTokenHeadsIN3c104HalfES3_Li128ELb1ELi8EEEvPviiifPKvS6_S6_PKlii
; %bb.0:
	s_load_dwordx4 s[12:15], s[4:5], 0x8
	s_load_dwordx2 s[16:17], s[4:5], 0x38
	s_load_dword s1, s[4:5], 0x4c
	v_lshrrev_b32_e32 v2, 5, v0
	s_waitcnt lgkmcnt(0)
	s_add_i32 s0, s13, s12
	s_add_i32 s2, s0, 7
	s_ashr_i32 s3, s2, 31
	s_lshr_b32 s3, s3, 29
	s_add_i32 s2, s2, s3
	s_ashr_i32 s20, s2, 3
	s_abs_i32 s2, s20
	v_cvt_f32_u32_e32 v1, s2
	s_bfe_u32 s1, s1, 0xb0005
	s_mul_i32 s6, s6, s1
	s_sub_i32 s3, 0, s2
	v_rcp_iflag_f32_e32 v3, v1
	v_add_u32_e32 v1, s6, v2
	v_sub_u32_e32 v4, 0, v1
	v_max_i32_e32 v4, v1, v4
	v_mul_f32_e32 v3, 0x4f7ffffe, v3
	v_cvt_u32_f32_e32 v3, v3
	v_xor_b32_e32 v5, s20, v1
	v_ashrrev_i32_e32 v5, 31, v5
	v_mul_lo_u32 v6, s3, v3
	v_mul_hi_u32 v6, v3, v6
	v_add_u32_e32 v3, v3, v6
	v_mul_hi_u32 v3, v4, v3
	v_mul_lo_u32 v6, v3, s2
	v_sub_u32_e32 v4, v4, v6
	v_add_u32_e32 v6, 1, v3
	v_cmp_le_u32_e32 vcc, s2, v4
	v_cndmask_b32_e32 v3, v3, v6, vcc
	v_subrev_u32_e32 v6, s2, v4
	v_cndmask_b32_e32 v4, v4, v6, vcc
	v_add_u32_e32 v6, 1, v3
	v_cmp_le_u32_e32 vcc, s2, v4
	v_cndmask_b32_e32 v3, v3, v6, vcc
	v_xor_b32_e32 v3, v3, v5
	v_sub_u32_e32 v4, v3, v5
	v_cmp_gt_i32_e32 vcc, s16, v4
	s_and_saveexec_b64 s[2:3], vcc
	s_cbranch_execz .LBB44_12
; %bb.1:
	v_and_b32_e32 v6, 31, v0
	v_mul_lo_u32 v0, v4, s20
	v_sub_u32_e32 v0, v1, v0
	s_load_dwordx2 s[2:3], s[4:5], 0x0
	v_lshlrev_b32_e32 v10, 3, v0
	v_add_u32_e32 v0, 8, v10
	v_sub_u32_e32 v3, s0, v10
	v_cmp_lt_i32_e32 vcc, s0, v0
	v_cndmask_b32_e32 v11, 8, v3, vcc
	s_lshl_b32 s18, s17, 1
	s_mul_i32 s16, s18, s1
	v_lshlrev_b32_e32 v9, 11, v2
	v_cmp_lt_i32_e64 s[0:1], 0, v11
	v_lshlrev_b32_e32 v8, 3, v6
	v_lshlrev_b32_e32 v7, 10, v1
	s_and_saveexec_b64 s[6:7], s[0:1]
	s_cbranch_execz .LBB44_4
; %bb.2:
	s_add_i32 s8, s16, 0
	v_add3_u32 v3, s8, v9, v8
	s_add_i32 s8, s14, s13
	s_add_i32 s8, s8, s12
	s_lshl_b32 s9, s20, 3
	s_sub_i32 s8, s8, s9
	v_mul_lo_u32 v0, s8, v4
	v_lshl_add_u32 v0, v0, 7, v7
	s_mov_b32 s10, 0
	v_lshl_or_b32 v0, v6, 2, v0
	s_mov_b64 s[8:9], 0
	s_waitcnt lgkmcnt(0)
	v_mov_b32_e32 v5, s3
.LBB44_3:                               ; =>This Inner Loop Header: Depth=1
	v_ashrrev_i32_e32 v1, 31, v0
	v_lshlrev_b64 v[12:13], 1, v[0:1]
	v_add_co_u32_e32 v12, vcc, s2, v12
	v_addc_co_u32_e32 v13, vcc, v5, v13, vcc
	global_load_dwordx2 v[12:13], v[12:13], off
	s_add_i32 s10, s10, 1
	v_cmp_ge_i32_e32 vcc, s10, v11
	v_add_u32_e32 v0, 0x80, v0
	s_or_b64 s[8:9], vcc, s[8:9]
	s_waitcnt vmcnt(0)
	ds_write_b64 v3, v[12:13]
	v_add_u32_e32 v3, 0x100, v3
	s_andn2_b64 exec, exec, s[8:9]
	s_cbranch_execnz .LBB44_3
.LBB44_4:
	s_or_b64 exec, exec, s[6:7]
	s_add_i32 s18, s18, 15
	s_load_dwordx8 s[4:11], s[4:5], 0x18
	s_ashr_i32 s19, s18, 31
	s_lshr_b32 s19, s19, 28
	s_add_i32 s18, s18, s19
	s_ashr_i32 s21, s18, 4
	v_mul_lo_u32 v0, v2, s17
	v_cmp_gt_i32_e32 vcc, s21, v6
	v_lshlrev_b32_e32 v13, 1, v0
	s_and_saveexec_b64 s[18:19], vcc
	s_cbranch_execz .LBB44_7
; %bb.5:
	v_ashrrev_i32_e32 v5, 31, v4
	v_lshlrev_b64 v[0:1], 3, v[4:5]
	s_waitcnt lgkmcnt(0)
	v_mov_b32_e32 v2, s11
	v_add_co_u32_e32 v0, vcc, s10, v0
	v_addc_co_u32_e32 v1, vcc, v2, v1, vcc
	global_load_dwordx2 v[0:1], v[0:1], off
	s_ashr_i32 s22, s17, 31
	v_lshlrev_b32_e32 v3, 4, v6
	v_mov_b32_e32 v5, s9
	s_mov_b64 s[10:11], 0
	v_add3_u32 v2, v13, v3, 0
	s_waitcnt vmcnt(0)
	v_mul_lo_u32 v12, v1, s17
	v_mul_lo_u32 v14, v0, s22
	v_mad_u64_u32 v[0:1], s[22:23], v0, s17, 0
	v_add3_u32 v1, v1, v14, v12
	v_lshlrev_b64 v[0:1], 1, v[0:1]
	v_add_co_u32_e32 v0, vcc, v0, v3
	v_addc_co_u32_e32 v1, vcc, 0, v1, vcc
	v_add_co_u32_e32 v0, vcc, s8, v0
	v_addc_co_u32_e32 v1, vcc, v5, v1, vcc
	v_mov_b32_e32 v3, v6
.LBB44_6:                               ; =>This Inner Loop Header: Depth=1
	global_load_dwordx4 v[14:17], v[0:1], off
	v_add_co_u32_e32 v0, vcc, 0x200, v0
	v_add_u32_e32 v3, 32, v3
	v_addc_co_u32_e32 v1, vcc, 0, v1, vcc
	v_cmp_le_i32_e32 vcc, s21, v3
	s_or_b64 s[10:11], vcc, s[10:11]
	s_waitcnt vmcnt(0)
	ds_write_b128 v2, v[14:17]
	v_add_u32_e32 v2, 0x200, v2
	s_andn2_b64 exec, exec, s[10:11]
	s_cbranch_execnz .LBB44_6
.LBB44_7:
	s_or_b64 exec, exec, s[18:19]
	s_and_b64 exec, exec, s[0:1]
	s_cbranch_execz .LBB44_12
; %bb.8:
	s_waitcnt lgkmcnt(0)
	global_load_dwordx2 v[0:1], v8, s[4:5]
	global_load_dwordx2 v[2:3], v8, s[6:7]
	v_mbcnt_lo_u32_b32 v14, -1, 0
	v_add_u32_e32 v9, s16, v9
	v_mbcnt_hi_u32_b32 v16, -1, v14
	v_add3_u32 v14, v9, v8, 0
	v_and_b32_e32 v8, 0x60, v16
	v_xor_b32_e32 v9, 16, v16
	v_add_u32_e32 v8, 32, v8
	v_xor_b32_e32 v17, 8, v16
	v_cmp_lt_i32_e32 vcc, v9, v8
	s_add_i32 s8, s14, s13
	v_xor_b32_e32 v18, 4, v16
	v_cndmask_b32_e32 v9, v16, v9, vcc
	v_cmp_lt_i32_e32 vcc, v17, v8
	s_ashr_i32 s1, s17, 31
	s_lshl_b32 s9, s20, 3
	s_add_i32 s8, s8, s12
	v_xor_b32_e32 v19, 2, v16
	v_cndmask_b32_e32 v17, v16, v17, vcc
	v_cmp_lt_i32_e32 vcc, v18, v8
	s_lshr_b32 s0, s17, 31
	s_lshr_b32 s1, s1, 30
	v_xor_b32_e32 v20, 1, v16
	s_sub_i32 s8, s8, s9
	v_cndmask_b32_e32 v18, v16, v18, vcc
	v_cmp_lt_i32_e32 vcc, v19, v8
	v_lshlrev_b32_e32 v5, 2, v6
	s_add_i32 s0, s17, s0
	s_add_i32 s1, s17, s1
	v_mul_lo_u32 v4, s8, v4
	v_cndmask_b32_e32 v19, v16, v19, vcc
	v_cmp_lt_i32_e32 vcc, v20, v8
	v_add3_u32 v13, 0, v13, v5
	s_and_b32 s0, s0, -2
	s_ashr_i32 s1, s1, 2
	v_cndmask_b32_e32 v8, v16, v20, vcc
	v_lshl_add_u32 v4, v4, 7, v7
	s_mov_b32 s6, 0
	s_mov_b64 s[4:5], 0
	v_mov_b32_e32 v12, s15
	s_mov_b32 s7, 0x800000
	v_add_u32_e32 v15, s0, v13
	v_cmp_gt_i32_e32 vcc, s1, v6
	v_lshlrev_b32_e32 v16, 2, v9
	v_lshlrev_b32_e32 v17, 2, v17
	;; [unrolled: 1-line block ×5, first 2 shown]
	v_or_b32_e32 v4, v4, v5
	s_waitcnt vmcnt(1)
	v_lshrrev_b32_e32 v21, 16, v0
	s_waitcnt vmcnt(0)
	v_lshrrev_b32_e32 v22, 16, v2
	v_lshrrev_b32_e32 v23, 16, v1
	;; [unrolled: 1-line block ×3, first 2 shown]
	s_branch .LBB44_10
.LBB44_9:                               ;   in Loop: Header=BB44_10 Depth=1
	s_or_b64 exec, exec, s[0:1]
	v_ashrrev_i32_e32 v5, 31, v4
	v_cvt_f16_f32_e32 v25, v6
	v_cvt_f16_f32_e32 v26, v7
	;; [unrolled: 1-line block ×4, first 2 shown]
	v_lshlrev_b64 v[6:7], 1, v[4:5]
	v_mov_b32_e32 v5, s3
	v_add_co_u32_e64 v6, s[0:1], s2, v6
	v_addc_co_u32_e64 v7, s[0:1], v5, v7, s[0:1]
	s_add_i32 s6, s6, 1
	v_cmp_ge_i32_e64 s[0:1], s6, v11
	v_pack_b32_f16 v9, v8, v9
	v_pack_b32_f16 v8, v25, v26
	v_add_u32_e32 v4, 0x80, v4
	s_or_b64 s[4:5], s[0:1], s[4:5]
	v_add_u32_e32 v14, 0x100, v14
	global_store_dwordx2 v[6:7], v[8:9], off
	s_andn2_b64 exec, exec, s[4:5]
	s_cbranch_execz .LBB44_12
.LBB44_10:                              ; =>This Inner Loop Header: Depth=1
	ds_read_b64 v[6:7], v14
	s_waitcnt lgkmcnt(0)
	v_cvt_f32_f16_sdwa v9, v7 dst_sel:DWORD dst_unused:UNUSED_PAD src0_sel:WORD_1
	v_cvt_f32_f16_e32 v8, v7
	v_cvt_f32_f16_sdwa v7, v6 dst_sel:DWORD dst_unused:UNUSED_PAD src0_sel:WORD_1
	v_cvt_f32_f16_e32 v6, v6
	v_pk_mul_f32 v[26:27], v[8:9], v[8:9]
	v_pk_mul_f32 v[28:29], v[6:7], v[6:7]
	v_add_f32_e32 v5, v28, v29
	v_add_f32_e32 v5, v5, v26
	v_add_f32_e32 v5, v5, v27
	ds_bpermute_b32 v25, v16, v5
	v_add_u32_e32 v26, s6, v10
	v_mov_b32_e32 v28, v12
	v_cmp_gt_i32_e64 s[0:1], s12, v26
	v_cndmask_b32_e64 v26, v22, v21, s[0:1]
	s_waitcnt lgkmcnt(0)
	v_add_f32_e32 v5, v5, v25
	ds_bpermute_b32 v25, v17, v5
	v_cndmask_b32_e64 v29, v2, v0, s[0:1]
	v_cndmask_b32_e64 v30, v24, v23, s[0:1]
	;; [unrolled: 1-line block ×3, first 2 shown]
	v_cvt_f32_f16_e32 v27, v26
	s_waitcnt lgkmcnt(0)
	v_add_f32_e32 v5, v5, v25
	ds_bpermute_b32 v25, v18, v5
	v_cvt_f32_f16_e32 v26, v29
	v_cvt_f32_f16_e32 v29, v30
	s_waitcnt lgkmcnt(0)
	v_add_f32_e32 v5, v5, v25
	ds_bpermute_b32 v25, v19, v5
	s_waitcnt lgkmcnt(0)
	v_add_f32_e32 v5, v5, v25
	ds_bpermute_b32 v25, v20, v5
	s_waitcnt lgkmcnt(0)
	v_add_f32_e32 v5, v5, v25
	v_fmac_f32_e32 v28, 0x3c000000, v5
	v_mul_f32_e32 v5, 0x4b800000, v28
	v_cmp_gt_f32_e64 s[0:1], s7, v28
	v_cndmask_b32_e64 v5, v28, v5, s[0:1]
	v_rsq_f32_e32 v5, v5
	v_cvt_f32_f16_e32 v28, v31
	v_mul_f32_e32 v25, 0x45800000, v5
	v_cndmask_b32_e64 v30, v5, v25, s[0:1]
	v_pk_mul_f32 v[26:27], v[30:31], v[26:27] op_sel_hi:[0,1]
	v_pk_mul_f32 v[28:29], v[30:31], v[28:29] op_sel_hi:[0,1]
	v_pk_mul_f32 v[6:7], v[26:27], v[6:7]
	v_pk_mul_f32 v[8:9], v[28:29], v[8:9]
	s_and_saveexec_b64 s[0:1], vcc
	s_cbranch_execz .LBB44_9
; %bb.11:                               ;   in Loop: Header=BB44_10 Depth=1
	ds_read_u16 v5, v15
	ds_read_u16 v25, v13
	ds_read_u16 v27, v13 offset:2
	ds_read_u16 v29, v15 offset:2
	s_waitcnt lgkmcnt(3)
	v_cvt_f32_f16_e32 v26, v5
	s_waitcnt lgkmcnt(2)
	v_cvt_f32_f16_e32 v28, v25
	;; [unrolled: 2-line block ×4, first 2 shown]
	v_pk_mul_f32 v[26:27], v[6:7], v[26:27] op_sel_hi:[1,0]
	v_pk_mul_f32 v[32:33], v[6:7], v[28:29] op_sel_hi:[1,0]
	v_pk_fma_f32 v[6:7], v[6:7], v[28:29], v[26:27] op_sel:[0,0,1] op_sel_hi:[1,0,0]
	v_mov_b32_e32 v26, v9
	v_mov_b32_e32 v6, v31
	v_pk_mul_f32 v[28:29], v[26:27], v[30:31]
	v_pk_mul_f32 v[34:35], v[8:9], v[30:31]
	v_pk_fma_f32 v[28:29], v[8:9], v[6:7], v[28:29] op_sel_hi:[1,0,1] neg_lo:[0,0,1] neg_hi:[0,0,1]
	v_mov_b32_e32 v6, v35
	v_pk_fma_f32 v[30:31], v[8:9], v[30:31], v[6:7]
	v_sub_f32_e32 v6, v32, v27
	v_mov_b32_e32 v8, v28
	v_mov_b32_e32 v9, v30
	s_branch .LBB44_9
.LBB44_12:
	s_endpgm
	.section	.rodata,"a",@progbits
	.p2align	6, 0x0
	.amdhsa_kernel _ZN12tensorrt_llm7kernels32fusedQKNormRopeKernelNTokenHeadsIN3c104HalfES3_Li128ELb1ELi8EEEvPviiifPKvS6_S6_PKlii
		.amdhsa_group_segment_fixed_size 0
		.amdhsa_private_segment_fixed_size 0
		.amdhsa_kernarg_size 320
		.amdhsa_user_sgpr_count 6
		.amdhsa_user_sgpr_private_segment_buffer 1
		.amdhsa_user_sgpr_dispatch_ptr 0
		.amdhsa_user_sgpr_queue_ptr 0
		.amdhsa_user_sgpr_kernarg_segment_ptr 1
		.amdhsa_user_sgpr_dispatch_id 0
		.amdhsa_user_sgpr_flat_scratch_init 0
		.amdhsa_user_sgpr_kernarg_preload_length 0
		.amdhsa_user_sgpr_kernarg_preload_offset 0
		.amdhsa_user_sgpr_private_segment_size 0
		.amdhsa_uses_dynamic_stack 0
		.amdhsa_system_sgpr_private_segment_wavefront_offset 0
		.amdhsa_system_sgpr_workgroup_id_x 1
		.amdhsa_system_sgpr_workgroup_id_y 0
		.amdhsa_system_sgpr_workgroup_id_z 0
		.amdhsa_system_sgpr_workgroup_info 0
		.amdhsa_system_vgpr_workitem_id 0
		.amdhsa_next_free_vgpr 36
		.amdhsa_next_free_sgpr 24
		.amdhsa_accum_offset 36
		.amdhsa_reserve_vcc 1
		.amdhsa_reserve_flat_scratch 0
		.amdhsa_float_round_mode_32 0
		.amdhsa_float_round_mode_16_64 0
		.amdhsa_float_denorm_mode_32 3
		.amdhsa_float_denorm_mode_16_64 3
		.amdhsa_dx10_clamp 1
		.amdhsa_ieee_mode 1
		.amdhsa_fp16_overflow 0
		.amdhsa_tg_split 0
		.amdhsa_exception_fp_ieee_invalid_op 0
		.amdhsa_exception_fp_denorm_src 0
		.amdhsa_exception_fp_ieee_div_zero 0
		.amdhsa_exception_fp_ieee_overflow 0
		.amdhsa_exception_fp_ieee_underflow 0
		.amdhsa_exception_fp_ieee_inexact 0
		.amdhsa_exception_int_div_zero 0
	.end_amdhsa_kernel
	.section	.text._ZN12tensorrt_llm7kernels32fusedQKNormRopeKernelNTokenHeadsIN3c104HalfES3_Li128ELb1ELi8EEEvPviiifPKvS6_S6_PKlii,"axG",@progbits,_ZN12tensorrt_llm7kernels32fusedQKNormRopeKernelNTokenHeadsIN3c104HalfES3_Li128ELb1ELi8EEEvPviiifPKvS6_S6_PKlii,comdat
.Lfunc_end44:
	.size	_ZN12tensorrt_llm7kernels32fusedQKNormRopeKernelNTokenHeadsIN3c104HalfES3_Li128ELb1ELi8EEEvPviiifPKvS6_S6_PKlii, .Lfunc_end44-_ZN12tensorrt_llm7kernels32fusedQKNormRopeKernelNTokenHeadsIN3c104HalfES3_Li128ELb1ELi8EEEvPviiifPKvS6_S6_PKlii
                                        ; -- End function
	.section	.AMDGPU.csdata,"",@progbits
; Kernel info:
; codeLenInByte = 1524
; NumSgprs: 28
; NumVgprs: 36
; NumAgprs: 0
; TotalNumVgprs: 36
; ScratchSize: 0
; MemoryBound: 0
; FloatMode: 240
; IeeeMode: 1
; LDSByteSize: 0 bytes/workgroup (compile time only)
; SGPRBlocks: 3
; VGPRBlocks: 4
; NumSGPRsForWavesPerEU: 28
; NumVGPRsForWavesPerEU: 36
; AccumOffset: 36
; Occupancy: 8
; WaveLimiterHint : 0
; COMPUTE_PGM_RSRC2:SCRATCH_EN: 0
; COMPUTE_PGM_RSRC2:USER_SGPR: 6
; COMPUTE_PGM_RSRC2:TRAP_HANDLER: 0
; COMPUTE_PGM_RSRC2:TGID_X_EN: 1
; COMPUTE_PGM_RSRC2:TGID_Y_EN: 0
; COMPUTE_PGM_RSRC2:TGID_Z_EN: 0
; COMPUTE_PGM_RSRC2:TIDIG_COMP_CNT: 0
; COMPUTE_PGM_RSRC3_GFX90A:ACCUM_OFFSET: 8
; COMPUTE_PGM_RSRC3_GFX90A:TG_SPLIT: 0
	.section	.text._ZN12tensorrt_llm7kernels32fusedQKNormRopeKernelNTokenHeadsIN3c104HalfES3_Li128ELb0ELi8EEEvPviiifPKvS6_S6_PKlii,"axG",@progbits,_ZN12tensorrt_llm7kernels32fusedQKNormRopeKernelNTokenHeadsIN3c104HalfES3_Li128ELb0ELi8EEEvPviiifPKvS6_S6_PKlii,comdat
	.protected	_ZN12tensorrt_llm7kernels32fusedQKNormRopeKernelNTokenHeadsIN3c104HalfES3_Li128ELb0ELi8EEEvPviiifPKvS6_S6_PKlii ; -- Begin function _ZN12tensorrt_llm7kernels32fusedQKNormRopeKernelNTokenHeadsIN3c104HalfES3_Li128ELb0ELi8EEEvPviiifPKvS6_S6_PKlii
	.globl	_ZN12tensorrt_llm7kernels32fusedQKNormRopeKernelNTokenHeadsIN3c104HalfES3_Li128ELb0ELi8EEEvPviiifPKvS6_S6_PKlii
	.p2align	8
	.type	_ZN12tensorrt_llm7kernels32fusedQKNormRopeKernelNTokenHeadsIN3c104HalfES3_Li128ELb0ELi8EEEvPviiifPKvS6_S6_PKlii,@function
_ZN12tensorrt_llm7kernels32fusedQKNormRopeKernelNTokenHeadsIN3c104HalfES3_Li128ELb0ELi8EEEvPviiifPKvS6_S6_PKlii: ; @_ZN12tensorrt_llm7kernels32fusedQKNormRopeKernelNTokenHeadsIN3c104HalfES3_Li128ELb0ELi8EEEvPviiifPKvS6_S6_PKlii
; %bb.0:
	s_load_dwordx4 s[12:15], s[4:5], 0x8
	s_load_dwordx2 s[2:3], s[4:5], 0x38
	s_load_dword s1, s[4:5], 0x4c
	v_lshrrev_b32_e32 v2, 5, v0
	s_waitcnt lgkmcnt(0)
	s_add_i32 s0, s13, s12
	s_add_i32 s7, s0, 7
	s_ashr_i32 s8, s7, 31
	s_lshr_b32 s8, s8, 29
	s_add_i32 s7, s7, s8
	s_ashr_i32 s20, s7, 3
	s_abs_i32 s7, s20
	v_cvt_f32_u32_e32 v1, s7
	s_bfe_u32 s1, s1, 0xb0005
	s_mul_i32 s6, s6, s1
	v_rcp_iflag_f32_e32 v3, v1
	v_add_u32_e32 v1, s6, v2
	s_sub_i32 s6, 0, s7
	v_sub_u32_e32 v4, 0, v1
	v_mul_f32_e32 v3, 0x4f7ffffe, v3
	v_cvt_u32_f32_e32 v3, v3
	v_max_i32_e32 v4, v1, v4
	v_xor_b32_e32 v5, s20, v1
	v_ashrrev_i32_e32 v5, 31, v5
	v_mul_lo_u32 v6, s6, v3
	v_mul_hi_u32 v6, v3, v6
	v_add_u32_e32 v3, v3, v6
	v_mul_hi_u32 v3, v4, v3
	v_mul_lo_u32 v6, v3, s7
	v_sub_u32_e32 v4, v4, v6
	v_add_u32_e32 v6, 1, v3
	v_cmp_le_u32_e32 vcc, s7, v4
	v_cndmask_b32_e32 v3, v3, v6, vcc
	v_subrev_u32_e32 v6, s7, v4
	v_cndmask_b32_e32 v4, v4, v6, vcc
	v_add_u32_e32 v6, 1, v3
	v_cmp_le_u32_e32 vcc, s7, v4
	v_cndmask_b32_e32 v3, v3, v6, vcc
	v_xor_b32_e32 v3, v3, v5
	v_sub_u32_e32 v4, v3, v5
	v_cmp_gt_i32_e32 vcc, s2, v4
	s_and_saveexec_b64 s[6:7], vcc
	s_cbranch_execz .LBB45_12
; %bb.1:
	v_and_b32_e32 v8, 31, v0
	v_mul_lo_u32 v0, v4, s20
	v_sub_u32_e32 v0, v1, v0
	s_load_dwordx2 s[16:17], s[4:5], 0x0
	v_lshlrev_b32_e32 v6, 3, v0
	v_add_u32_e32 v0, 8, v6
	v_sub_u32_e32 v3, s0, v6
	v_cmp_lt_i32_e32 vcc, s0, v0
	v_cndmask_b32_e32 v7, 8, v3, vcc
	s_lshl_b32 s2, s3, 1
	s_mul_i32 s21, s2, s1
	v_lshlrev_b32_e32 v9, 11, v2
	v_cmp_lt_i32_e64 s[0:1], 0, v7
	v_lshlrev_b32_e32 v10, 3, v8
	v_lshlrev_b32_e32 v11, 10, v1
	s_and_saveexec_b64 s[6:7], s[0:1]
	s_cbranch_execz .LBB45_4
; %bb.2:
	s_add_i32 s8, s21, 0
	v_add3_u32 v3, s8, v9, v10
	s_add_i32 s8, s14, s13
	s_add_i32 s8, s8, s12
	s_lshl_b32 s9, s20, 3
	s_sub_i32 s8, s8, s9
	v_mul_lo_u32 v0, s8, v4
	v_lshl_add_u32 v0, v0, 7, v11
	s_mov_b32 s10, 0
	v_lshl_or_b32 v0, v8, 2, v0
	s_mov_b64 s[8:9], 0
	s_waitcnt lgkmcnt(0)
	v_mov_b32_e32 v5, s17
.LBB45_3:                               ; =>This Inner Loop Header: Depth=1
	v_ashrrev_i32_e32 v1, 31, v0
	v_lshlrev_b64 v[12:13], 1, v[0:1]
	v_add_co_u32_e32 v12, vcc, s16, v12
	v_addc_co_u32_e32 v13, vcc, v5, v13, vcc
	global_load_dwordx2 v[12:13], v[12:13], off
	s_add_i32 s10, s10, 1
	v_cmp_ge_i32_e32 vcc, s10, v7
	v_add_u32_e32 v0, 0x80, v0
	s_or_b64 s[8:9], vcc, s[8:9]
	s_waitcnt vmcnt(0)
	ds_write_b64 v3, v[12:13]
	v_add_u32_e32 v3, 0x100, v3
	s_andn2_b64 exec, exec, s[8:9]
	s_cbranch_execnz .LBB45_3
.LBB45_4:
	s_or_b64 exec, exec, s[6:7]
	s_add_i32 s2, s2, 15
	s_load_dwordx8 s[4:11], s[4:5], 0x18
	s_ashr_i32 s18, s2, 31
	s_lshr_b32 s18, s18, 28
	s_add_i32 s2, s2, s18
	s_ashr_i32 s2, s2, 4
	v_cmp_gt_i32_e32 vcc, s2, v8
	v_mul_lo_u32 v12, v2, s3
	s_and_saveexec_b64 s[18:19], vcc
	s_cbranch_execz .LBB45_7
; %bb.5:
	v_ashrrev_i32_e32 v5, 31, v4
	v_lshlrev_b64 v[0:1], 3, v[4:5]
	s_waitcnt lgkmcnt(0)
	v_mov_b32_e32 v2, s11
	v_add_co_u32_e32 v0, vcc, s10, v0
	v_addc_co_u32_e32 v1, vcc, v2, v1, vcc
	global_load_dwordx2 v[0:1], v[0:1], off
	s_ashr_i32 s22, s3, 31
	v_lshlrev_b32_e32 v3, 4, v8
	v_lshlrev_b32_e32 v2, 1, v12
	v_mov_b32_e32 v5, s9
	s_mov_b64 s[10:11], 0
	v_add3_u32 v2, v2, v3, 0
	s_waitcnt vmcnt(0)
	v_mul_lo_u32 v13, v1, s3
	v_mul_lo_u32 v14, v0, s22
	v_mad_u64_u32 v[0:1], s[22:23], v0, s3, 0
	v_add3_u32 v1, v1, v14, v13
	v_lshlrev_b64 v[0:1], 1, v[0:1]
	v_add_co_u32_e32 v0, vcc, v0, v3
	v_addc_co_u32_e32 v1, vcc, 0, v1, vcc
	v_add_co_u32_e32 v0, vcc, s8, v0
	v_addc_co_u32_e32 v1, vcc, v5, v1, vcc
	v_mov_b32_e32 v3, v8
.LBB45_6:                               ; =>This Inner Loop Header: Depth=1
	global_load_dwordx4 v[14:17], v[0:1], off
	v_add_co_u32_e32 v0, vcc, 0x200, v0
	v_add_u32_e32 v3, 32, v3
	v_addc_co_u32_e32 v1, vcc, 0, v1, vcc
	v_cmp_le_i32_e32 vcc, s2, v3
	s_or_b64 s[10:11], vcc, s[10:11]
	s_waitcnt vmcnt(0)
	ds_write_b128 v2, v[14:17]
	v_add_u32_e32 v2, 0x200, v2
	s_andn2_b64 exec, exec, s[10:11]
	s_cbranch_execnz .LBB45_6
.LBB45_7:
	s_or_b64 exec, exec, s[18:19]
	s_and_b64 exec, exec, s[0:1]
	s_cbranch_execz .LBB45_12
; %bb.8:
	s_waitcnt lgkmcnt(0)
	global_load_dwordx2 v[0:1], v10, s[4:5]
	global_load_dwordx2 v[2:3], v10, s[6:7]
	v_lshl_add_u32 v5, v12, 1, 0
	v_mbcnt_lo_u32_b32 v12, -1, 0
	s_abs_i32 s4, s3
	v_mbcnt_hi_u32_b32 v17, -1, v12
	v_cvt_f32_u32_e32 v14, s4
	v_and_b32_e32 v12, 0x60, v17
	v_xor_b32_e32 v13, 16, v17
	v_add_u32_e32 v12, 32, v12
	v_xor_b32_e32 v15, 8, v17
	v_cmp_lt_i32_e32 vcc, v13, v12
	v_xor_b32_e32 v16, 4, v17
	v_cndmask_b32_e32 v13, v17, v13, vcc
	v_cmp_lt_i32_e32 vcc, v15, v12
	v_rcp_iflag_f32_e32 v23, v14
	v_xor_b32_e32 v19, 2, v17
	v_cndmask_b32_e32 v15, v17, v15, vcc
	v_cmp_lt_i32_e32 vcc, v16, v12
	v_cndmask_b32_e32 v16, v17, v16, vcc
	v_cmp_lt_i32_e32 vcc, v19, v12
	v_xor_b32_e32 v20, 1, v17
	v_cndmask_b32_e32 v19, v17, v19, vcc
	v_cmp_lt_i32_e32 vcc, v20, v12
	v_lshlrev_b32_e32 v12, 2, v13
	v_lshlrev_b32_e32 v13, 2, v15
	;; [unrolled: 1-line block ×3, first 2 shown]
	v_mul_f32_e32 v19, 0x4f7ffffe, v23
	v_cvt_u32_f32_e32 v19, v19
	s_sub_i32 s5, 0, s4
	v_cndmask_b32_e32 v20, v17, v20, vcc
	s_ashr_i32 s1, s3, 31
	v_lshlrev_b32_e32 v14, 2, v16
	v_lshlrev_b32_e32 v16, 2, v20
	v_mul_lo_u32 v20, s5, v19
	s_lshr_b32 s2, s1, 30
	s_lshr_b32 s1, s1, 29
	v_mul_hi_u32 v20, v19, v20
	s_lshr_b32 s0, s3, 31
	s_add_i32 s1, s3, s1
	v_add_u32_e32 v30, v19, v20
	v_or_b32_e32 v18, 2, v10
	s_add_i32 s0, s3, s0
	v_and_b32_e32 v21, 64, v17
	s_ashr_i32 s1, s1, 3
	v_mul_hi_u32 v19, v10, v30
	s_and_b32 s0, s0, -2
	s_add_i32 s2, s3, s2
	v_add_u32_e32 v21, 64, v21
	v_xor_b32_e32 v22, s1, v17
	v_mul_hi_u32 v20, v18, v30
	v_mul_lo_u32 v19, v19, s4
	v_add_u32_e32 v29, s0, v5
	s_ashr_i32 s0, s2, 2
	v_cmp_lt_i32_e64 s[2:3], v22, v21
	v_mul_lo_u32 v20, v20, s4
	v_sub_u32_e32 v19, v10, v19
	v_or_b32_e32 v26, 4, v10
	v_cndmask_b32_e64 v17, v17, v22, s[2:3]
	v_sub_u32_e32 v18, v18, v20
	v_subrev_u32_e32 v20, s4, v19
	v_cmp_le_u32_e64 s[2:3], s4, v19
	v_subrev_u32_e32 v21, s4, v18
	v_cndmask_b32_e64 v19, v19, v20, s[2:3]
	v_cmp_le_u32_e64 s[2:3], s4, v18
	v_mul_hi_u32 v27, v26, v30
	v_cndmask_b32_e64 v24, v18, v21, s[2:3]
	v_subrev_u32_e32 v18, s4, v19
	v_cmp_le_u32_e64 s[2:3], s4, v19
	v_mul_lo_u32 v27, v27, s4
	v_or_b32_e32 v28, 6, v10
	v_cndmask_b32_e64 v18, v19, v18, s[2:3]
	v_subrev_u32_e32 v25, s4, v24
	v_cmp_le_u32_e64 s[2:3], s4, v24
	v_sub_u32_e32 v26, v26, v27
	v_cndmask_b32_e64 v24, v24, v25, s[2:3]
	v_subrev_u32_e32 v27, s4, v26
	v_cmp_le_u32_e64 s[2:3], s4, v26
	v_mul_hi_u32 v30, v28, v30
	v_cndmask_b32_e64 v26, v26, v27, s[2:3]
	v_mul_lo_u32 v30, v30, s4
	v_subrev_u32_e32 v27, s4, v26
	v_cmp_le_u32_e64 s[2:3], s4, v26
	v_sub_u32_e32 v28, v28, v30
	v_cndmask_b32_e64 v26, v26, v27, s[2:3]
	v_subrev_u32_e32 v30, s4, v28
	v_cmp_le_u32_e64 s[2:3], s4, v28
	v_cndmask_b32_e64 v28, v28, v30, s[2:3]
	v_subrev_u32_e32 v30, s4, v28
	v_cmp_le_u32_e64 s[2:3], s4, v28
	v_cndmask_b32_e64 v28, v28, v30, s[2:3]
	s_add_i32 s2, s14, s13
	s_add_i32 s2, s2, s12
	s_lshl_b32 s3, s20, 3
	s_sub_i32 s2, s2, s3
	v_and_b32_e32 v19, -2, v18
	v_and_b32_e32 v25, -2, v24
	v_and_b32_e32 v27, -2, v26
	v_and_b32_e32 v30, -2, v28
	v_mul_lo_u32 v4, s2, v4
	v_add_u32_e32 v18, v5, v19
	v_add_u32_e32 v24, v5, v25
	;; [unrolled: 1-line block ×4, first 2 shown]
	v_lshl_add_u32 v4, v4, 7, v11
	v_add_u32_e32 v5, s21, v9
	s_mov_b32 s6, 0
	v_cmp_gt_i32_e32 vcc, s0, v8
	v_cmp_gt_i32_e64 s[0:1], s1, v8
	v_lshlrev_b32_e32 v17, 2, v17
	v_add_u32_e32 v19, v29, v19
	s_waitcnt vmcnt(1)
	v_lshrrev_b32_e32 v20, 16, v0
	v_lshrrev_b32_e32 v21, 16, v1
	s_waitcnt vmcnt(0)
	v_lshrrev_b32_e32 v22, 16, v2
	v_lshrrev_b32_e32 v23, 16, v3
	v_add_u32_e32 v25, v29, v25
	v_add_u32_e32 v27, v29, v27
	;; [unrolled: 1-line block ×3, first 2 shown]
	v_lshl_or_b32 v4, v8, 2, v4
	v_add3_u32 v8, v5, v10, 0
	s_mov_b64 s[4:5], 0
	s_mov_b32 s7, 0x800000
	v_mov_b32_e32 v9, s15
	s_branch .LBB45_10
.LBB45_9:                               ;   in Loop: Header=BB45_10 Depth=1
	s_or_b64 exec, exec, s[2:3]
	v_cvt_f16_f32_e32 v32, v5
	v_ashrrev_i32_e32 v5, 31, v4
	v_cvt_f16_f32_e32 v33, v10
	v_cvt_f16_f32_e32 v31, v11
	;; [unrolled: 1-line block ×3, first 2 shown]
	v_lshlrev_b64 v[10:11], 1, v[4:5]
	v_mov_b32_e32 v5, s17
	v_add_co_u32_e64 v10, s[2:3], s16, v10
	v_addc_co_u32_e64 v11, s[2:3], v5, v11, s[2:3]
	s_add_i32 s6, s6, 1
	v_cmp_ge_i32_e64 s[2:3], s6, v7
	v_pack_b32_f16 v31, v31, v30
	v_pack_b32_f16 v30, v32, v33
	v_add_u32_e32 v4, 0x80, v4
	s_or_b64 s[4:5], s[2:3], s[4:5]
	v_add_u32_e32 v8, 0x100, v8
	global_store_dwordx2 v[10:11], v[30:31], off
	s_andn2_b64 exec, exec, s[4:5]
	s_cbranch_execz .LBB45_12
.LBB45_10:                              ; =>This Inner Loop Header: Depth=1
	ds_read_b64 v[10:11], v8
	v_add_u32_e32 v32, s6, v6
	v_mov_b32_e32 v33, v9
	v_cmp_gt_i32_e64 s[2:3], s12, v32
	v_cndmask_b32_e64 v32, v2, v0, s[2:3]
	s_waitcnt lgkmcnt(0)
	v_cvt_f32_f16_sdwa v30, v10 dst_sel:DWORD dst_unused:UNUSED_PAD src0_sel:WORD_1
	v_cndmask_b32_e64 v34, v22, v20, s[2:3]
	v_cndmask_b32_e64 v35, v3, v1, s[2:3]
	;; [unrolled: 1-line block ×3, first 2 shown]
	v_mul_f32_e32 v5, v30, v30
	v_fma_mix_f32 v5, v10, v10, v5 op_sel_hi:[1,1,0]
	v_fma_mix_f32 v5, v11, v11, v5 op_sel_hi:[1,1,0]
	v_fma_mix_f32 v5, v11, v11, v5 op_sel:[1,1,0] op_sel_hi:[1,1,0]
	ds_bpermute_b32 v31, v12, v5
	v_cvt_f32_f16_e32 v32, v32
	v_cvt_f32_f16_e32 v34, v34
	;; [unrolled: 1-line block ×4, first 2 shown]
	s_waitcnt lgkmcnt(0)
	v_add_f32_e32 v5, v5, v31
	ds_bpermute_b32 v31, v13, v5
	v_cvt_f32_f16_e32 v10, v10
	s_waitcnt lgkmcnt(0)
	v_add_f32_e32 v5, v5, v31
	ds_bpermute_b32 v31, v14, v5
	s_waitcnt lgkmcnt(0)
	v_add_f32_e32 v5, v5, v31
	ds_bpermute_b32 v31, v15, v5
	;; [unrolled: 3-line block ×3, first 2 shown]
	s_waitcnt lgkmcnt(0)
	v_add_f32_e32 v5, v5, v31
	v_fmac_f32_e32 v33, 0x3c000000, v5
	v_mul_f32_e32 v5, 0x4b800000, v33
	v_cmp_gt_f32_e64 s[2:3], s7, v33
	v_cndmask_b32_e64 v5, v33, v5, s[2:3]
	v_rsq_f32_e32 v5, v5
	v_cvt_f32_f16_e32 v31, v11
	v_cvt_f32_f16_sdwa v33, v11 dst_sel:DWORD dst_unused:UNUSED_PAD src0_sel:WORD_1
	v_mul_f32_e32 v11, 0x45800000, v5
	v_cndmask_b32_e64 v5, v5, v11, s[2:3]
	v_mul_f32_e32 v11, v5, v32
	v_mul_f32_e32 v32, v5, v34
	v_mul_f32_e32 v34, v5, v35
	v_mul_f32_e32 v35, v5, v36
	v_mul_f32_e32 v5, v11, v10
	v_mul_f32_e32 v10, v32, v30
	v_mul_f32_e32 v11, v34, v31
	v_mul_f32_e32 v30, v35, v33
	s_and_saveexec_b64 s[2:3], vcc
	s_cbranch_execz .LBB45_9
; %bb.11:                               ;   in Loop: Header=BB45_10 Depth=1
	ds_bpermute_b32 v31, v17, v5
	; wave barrier
	ds_read_u16 v32, v19
	ds_read_u16 v33, v24
	;; [unrolled: 1-line block ×7, first 2 shown]
	s_waitcnt lgkmcnt(6)
	v_cvt_f32_f16_e32 v32, v32
	ds_read_u16 v39, v18
	ds_bpermute_b32 v40, v17, v10
	v_cndmask_b32_e64 v31, v31, -v31, s[0:1]
	v_mul_f32_e32 v31, v31, v32
	s_waitcnt lgkmcnt(6)
	v_cvt_f32_f16_e32 v32, v34
	ds_bpermute_b32 v34, v17, v11
	s_waitcnt lgkmcnt(2)
	v_fma_mix_f32 v5, v5, v39, v31 op_sel_hi:[0,1,0]
	s_waitcnt lgkmcnt(1)
	v_cndmask_b32_e64 v31, v40, -v40, s[0:1]
	v_mul_f32_e32 v31, v31, v32
	v_fma_mix_f32 v10, v10, v33, v31 op_sel_hi:[0,1,0]
	v_cvt_f32_f16_e32 v31, v36
	ds_bpermute_b32 v32, v17, v30
	s_waitcnt lgkmcnt(1)
	v_cndmask_b32_e64 v33, v34, -v34, s[0:1]
	v_cvt_f32_f16_e32 v34, v38
	v_mul_f32_e32 v31, v33, v31
	v_fma_mix_f32 v11, v11, v35, v31 op_sel_hi:[0,1,0]
	s_waitcnt lgkmcnt(0)
	v_cndmask_b32_e64 v31, v32, -v32, s[0:1]
	v_mul_f32_e32 v31, v31, v34
	v_fma_mix_f32 v30, v30, v37, v31 op_sel_hi:[0,1,0]
	; wave barrier
	s_branch .LBB45_9
.LBB45_12:
	s_endpgm
	.section	.rodata,"a",@progbits
	.p2align	6, 0x0
	.amdhsa_kernel _ZN12tensorrt_llm7kernels32fusedQKNormRopeKernelNTokenHeadsIN3c104HalfES3_Li128ELb0ELi8EEEvPviiifPKvS6_S6_PKlii
		.amdhsa_group_segment_fixed_size 0
		.amdhsa_private_segment_fixed_size 0
		.amdhsa_kernarg_size 320
		.amdhsa_user_sgpr_count 6
		.amdhsa_user_sgpr_private_segment_buffer 1
		.amdhsa_user_sgpr_dispatch_ptr 0
		.amdhsa_user_sgpr_queue_ptr 0
		.amdhsa_user_sgpr_kernarg_segment_ptr 1
		.amdhsa_user_sgpr_dispatch_id 0
		.amdhsa_user_sgpr_flat_scratch_init 0
		.amdhsa_user_sgpr_kernarg_preload_length 0
		.amdhsa_user_sgpr_kernarg_preload_offset 0
		.amdhsa_user_sgpr_private_segment_size 0
		.amdhsa_uses_dynamic_stack 0
		.amdhsa_system_sgpr_private_segment_wavefront_offset 0
		.amdhsa_system_sgpr_workgroup_id_x 1
		.amdhsa_system_sgpr_workgroup_id_y 0
		.amdhsa_system_sgpr_workgroup_id_z 0
		.amdhsa_system_sgpr_workgroup_info 0
		.amdhsa_system_vgpr_workitem_id 0
		.amdhsa_next_free_vgpr 41
		.amdhsa_next_free_sgpr 24
		.amdhsa_accum_offset 44
		.amdhsa_reserve_vcc 1
		.amdhsa_reserve_flat_scratch 0
		.amdhsa_float_round_mode_32 0
		.amdhsa_float_round_mode_16_64 0
		.amdhsa_float_denorm_mode_32 3
		.amdhsa_float_denorm_mode_16_64 3
		.amdhsa_dx10_clamp 1
		.amdhsa_ieee_mode 1
		.amdhsa_fp16_overflow 0
		.amdhsa_tg_split 0
		.amdhsa_exception_fp_ieee_invalid_op 0
		.amdhsa_exception_fp_denorm_src 0
		.amdhsa_exception_fp_ieee_div_zero 0
		.amdhsa_exception_fp_ieee_overflow 0
		.amdhsa_exception_fp_ieee_underflow 0
		.amdhsa_exception_fp_ieee_inexact 0
		.amdhsa_exception_int_div_zero 0
	.end_amdhsa_kernel
	.section	.text._ZN12tensorrt_llm7kernels32fusedQKNormRopeKernelNTokenHeadsIN3c104HalfES3_Li128ELb0ELi8EEEvPviiifPKvS6_S6_PKlii,"axG",@progbits,_ZN12tensorrt_llm7kernels32fusedQKNormRopeKernelNTokenHeadsIN3c104HalfES3_Li128ELb0ELi8EEEvPviiifPKvS6_S6_PKlii,comdat
.Lfunc_end45:
	.size	_ZN12tensorrt_llm7kernels32fusedQKNormRopeKernelNTokenHeadsIN3c104HalfES3_Li128ELb0ELi8EEEvPviiifPKvS6_S6_PKlii, .Lfunc_end45-_ZN12tensorrt_llm7kernels32fusedQKNormRopeKernelNTokenHeadsIN3c104HalfES3_Li128ELb0ELi8EEEvPviiifPKvS6_S6_PKlii
                                        ; -- End function
	.section	.AMDGPU.csdata,"",@progbits
; Kernel info:
; codeLenInByte = 1996
; NumSgprs: 28
; NumVgprs: 41
; NumAgprs: 0
; TotalNumVgprs: 41
; ScratchSize: 0
; MemoryBound: 0
; FloatMode: 240
; IeeeMode: 1
; LDSByteSize: 0 bytes/workgroup (compile time only)
; SGPRBlocks: 3
; VGPRBlocks: 5
; NumSGPRsForWavesPerEU: 28
; NumVGPRsForWavesPerEU: 41
; AccumOffset: 44
; Occupancy: 8
; WaveLimiterHint : 0
; COMPUTE_PGM_RSRC2:SCRATCH_EN: 0
; COMPUTE_PGM_RSRC2:USER_SGPR: 6
; COMPUTE_PGM_RSRC2:TRAP_HANDLER: 0
; COMPUTE_PGM_RSRC2:TGID_X_EN: 1
; COMPUTE_PGM_RSRC2:TGID_Y_EN: 0
; COMPUTE_PGM_RSRC2:TGID_Z_EN: 0
; COMPUTE_PGM_RSRC2:TIDIG_COMP_CNT: 0
; COMPUTE_PGM_RSRC3_GFX90A:ACCUM_OFFSET: 10
; COMPUTE_PGM_RSRC3_GFX90A:TG_SPLIT: 0
	.section	.text._ZN12tensorrt_llm7kernels32fusedQKNormRopeKernelNTokenHeadsIN3c104HalfES3_Li256ELb1ELi8EEEvPviiifPKvS6_S6_PKlii,"axG",@progbits,_ZN12tensorrt_llm7kernels32fusedQKNormRopeKernelNTokenHeadsIN3c104HalfES3_Li256ELb1ELi8EEEvPviiifPKvS6_S6_PKlii,comdat
	.protected	_ZN12tensorrt_llm7kernels32fusedQKNormRopeKernelNTokenHeadsIN3c104HalfES3_Li256ELb1ELi8EEEvPviiifPKvS6_S6_PKlii ; -- Begin function _ZN12tensorrt_llm7kernels32fusedQKNormRopeKernelNTokenHeadsIN3c104HalfES3_Li256ELb1ELi8EEEvPviiifPKvS6_S6_PKlii
	.globl	_ZN12tensorrt_llm7kernels32fusedQKNormRopeKernelNTokenHeadsIN3c104HalfES3_Li256ELb1ELi8EEEvPviiifPKvS6_S6_PKlii
	.p2align	8
	.type	_ZN12tensorrt_llm7kernels32fusedQKNormRopeKernelNTokenHeadsIN3c104HalfES3_Li256ELb1ELi8EEEvPviiifPKvS6_S6_PKlii,@function
_ZN12tensorrt_llm7kernels32fusedQKNormRopeKernelNTokenHeadsIN3c104HalfES3_Li256ELb1ELi8EEEvPviiifPKvS6_S6_PKlii: ; @_ZN12tensorrt_llm7kernels32fusedQKNormRopeKernelNTokenHeadsIN3c104HalfES3_Li256ELb1ELi8EEEvPviiifPKvS6_S6_PKlii
; %bb.0:
	s_load_dwordx4 s[12:15], s[4:5], 0x8
	s_load_dwordx2 s[16:17], s[4:5], 0x38
	s_load_dword s1, s[4:5], 0x4c
	v_lshrrev_b32_e32 v1, 5, v0
	s_waitcnt lgkmcnt(0)
	s_add_i32 s0, s13, s12
	s_add_i32 s2, s0, 7
	s_ashr_i32 s3, s2, 31
	s_lshr_b32 s3, s3, 29
	s_add_i32 s2, s2, s3
	s_ashr_i32 s20, s2, 3
	s_abs_i32 s2, s20
	v_cvt_f32_u32_e32 v2, s2
	s_bfe_u32 s1, s1, 0xb0005
	s_mul_i32 s6, s6, s1
	s_sub_i32 s3, 0, s2
	v_rcp_iflag_f32_e32 v3, v2
	v_add_u32_e32 v2, s6, v1
	v_sub_u32_e32 v4, 0, v2
	v_max_i32_e32 v4, v2, v4
	v_mul_f32_e32 v3, 0x4f7ffffe, v3
	v_cvt_u32_f32_e32 v3, v3
	v_xor_b32_e32 v5, s20, v2
	v_ashrrev_i32_e32 v5, 31, v5
	v_mul_lo_u32 v6, s3, v3
	v_mul_hi_u32 v6, v3, v6
	v_add_u32_e32 v3, v3, v6
	v_mul_hi_u32 v3, v4, v3
	v_mul_lo_u32 v6, v3, s2
	v_sub_u32_e32 v4, v4, v6
	v_add_u32_e32 v6, 1, v3
	v_cmp_le_u32_e32 vcc, s2, v4
	v_cndmask_b32_e32 v3, v3, v6, vcc
	v_subrev_u32_e32 v6, s2, v4
	v_cndmask_b32_e32 v4, v4, v6, vcc
	v_add_u32_e32 v6, 1, v3
	v_cmp_le_u32_e32 vcc, s2, v4
	v_cndmask_b32_e32 v3, v3, v6, vcc
	v_xor_b32_e32 v3, v3, v5
	v_sub_u32_e32 v8, v3, v5
	v_cmp_gt_i32_e32 vcc, s16, v8
	s_and_saveexec_b64 s[2:3], vcc
	s_cbranch_execz .LBB46_12
; %bb.1:
	v_mul_lo_u32 v3, v8, s20
	v_sub_u32_e32 v3, v2, v3
	s_load_dwordx2 s[2:3], s[4:5], 0x0
	v_lshlrev_b32_e32 v18, 3, v3
	v_add_u32_e32 v3, 8, v18
	v_sub_u32_e32 v4, s0, v18
	v_cmp_lt_i32_e32 vcc, s0, v3
	v_and_b32_e32 v10, 31, v0
	v_cndmask_b32_e32 v19, 8, v4, vcc
	s_lshl_b32 s18, s17, 1
	s_mul_i32 s16, s18, s1
	v_lshlrev_b32_e32 v13, 12, v1
	v_cmp_lt_i32_e64 s[0:1], 0, v19
	v_lshlrev_b32_e32 v12, 4, v10
	v_lshlrev_b32_e32 v11, 11, v2
	s_and_saveexec_b64 s[6:7], s[0:1]
	s_cbranch_execz .LBB46_4
; %bb.2:
	s_add_i32 s8, s16, 0
	v_add3_u32 v4, s8, v13, v12
	s_add_i32 s8, s14, s13
	s_add_i32 s8, s8, s12
	s_lshl_b32 s9, s20, 3
	s_sub_i32 s8, s8, s9
	v_mul_lo_u32 v2, s8, v8
	v_lshl_add_u32 v2, v2, 8, v11
	s_mov_b32 s10, 0
	v_lshl_or_b32 v2, v10, 3, v2
	s_mov_b64 s[8:9], 0
	s_waitcnt lgkmcnt(0)
	v_mov_b32_e32 v5, s3
.LBB46_3:                               ; =>This Inner Loop Header: Depth=1
	v_ashrrev_i32_e32 v3, 31, v2
	v_lshlrev_b64 v[6:7], 1, v[2:3]
	v_add_co_u32_e32 v6, vcc, s2, v6
	v_addc_co_u32_e32 v7, vcc, v5, v7, vcc
	global_load_dwordx4 v[14:17], v[6:7], off
	s_add_i32 s10, s10, 1
	v_cmp_ge_i32_e32 vcc, s10, v19
	v_add_u32_e32 v2, 0x100, v2
	s_or_b64 s[8:9], vcc, s[8:9]
	s_waitcnt vmcnt(0)
	ds_write_b128 v4, v[14:17]
	v_add_u32_e32 v4, 0x200, v4
	s_andn2_b64 exec, exec, s[8:9]
	s_cbranch_execnz .LBB46_3
.LBB46_4:
	s_or_b64 exec, exec, s[6:7]
	s_add_i32 s18, s18, 15
	s_load_dwordx8 s[4:11], s[4:5], 0x18
	s_ashr_i32 s19, s18, 31
	s_lshr_b32 s19, s19, 28
	s_add_i32 s18, s18, s19
	s_ashr_i32 s21, s18, 4
	v_mul_lo_u32 v1, v1, s17
	v_cmp_gt_i32_e32 vcc, s21, v10
	v_lshlrev_b32_e32 v14, 1, v1
	s_and_saveexec_b64 s[18:19], vcc
	s_cbranch_execz .LBB46_7
; %bb.5:
	v_ashrrev_i32_e32 v9, 31, v8
	v_lshlrev_b64 v[2:3], 3, v[8:9]
	s_waitcnt lgkmcnt(0)
	v_mov_b32_e32 v1, s11
	v_add_co_u32_e32 v2, vcc, s10, v2
	v_addc_co_u32_e32 v3, vcc, v1, v3, vcc
	global_load_dwordx2 v[4:5], v[2:3], off
	s_ashr_i32 s22, s17, 31
	v_and_b32_e32 v0, 31, v0
	v_lshlrev_b32_e32 v6, 4, v0
	v_mov_b32_e32 v3, s9
	v_add3_u32 v2, v14, v12, 0
	s_mov_b64 s[10:11], 0
	s_waitcnt vmcnt(0)
	v_mul_lo_u32 v5, v5, s17
	v_mul_lo_u32 v7, v4, s22
	v_mad_u64_u32 v[0:1], s[22:23], v4, s17, 0
	v_add3_u32 v1, v1, v7, v5
	v_lshlrev_b64 v[0:1], 1, v[0:1]
	v_add_co_u32_e32 v0, vcc, v0, v6
	v_addc_co_u32_e32 v1, vcc, 0, v1, vcc
	v_add_co_u32_e32 v0, vcc, s8, v0
	v_addc_co_u32_e32 v1, vcc, v3, v1, vcc
	v_mov_b32_e32 v3, v10
.LBB46_6:                               ; =>This Inner Loop Header: Depth=1
	global_load_dwordx4 v[4:7], v[0:1], off
	v_add_co_u32_e32 v0, vcc, 0x200, v0
	v_add_u32_e32 v3, 32, v3
	v_addc_co_u32_e32 v1, vcc, 0, v1, vcc
	v_cmp_le_i32_e32 vcc, s21, v3
	s_or_b64 s[10:11], vcc, s[10:11]
	s_waitcnt vmcnt(0)
	ds_write_b128 v2, v[4:7]
	v_add_u32_e32 v2, 0x200, v2
	s_andn2_b64 exec, exec, s[10:11]
	s_cbranch_execnz .LBB46_6
.LBB46_7:
	s_or_b64 exec, exec, s[18:19]
	s_and_b64 exec, exec, s[0:1]
	s_cbranch_execz .LBB46_12
; %bb.8:
	s_waitcnt lgkmcnt(0)
	global_load_dwordx4 v[0:3], v12, s[4:5]
	global_load_dwordx4 v[4:7], v12, s[6:7]
	v_mbcnt_lo_u32_b32 v15, -1, 0
	v_add_u32_e32 v13, s16, v13
	v_mbcnt_hi_u32_b32 v15, -1, v15
	v_add3_u32 v22, v13, v12, 0
	v_and_b32_e32 v12, 0x60, v15
	v_lshlrev_b32_e32 v9, 3, v10
	v_xor_b32_e32 v13, 16, v15
	v_add_u32_e32 v12, 32, v12
	v_add3_u32 v21, 0, v14, v9
	v_xor_b32_e32 v14, 8, v15
	v_cmp_lt_i32_e32 vcc, v13, v12
	s_add_i32 s8, s14, s13
	v_xor_b32_e32 v16, 4, v15
	v_cndmask_b32_e32 v13, v15, v13, vcc
	v_cmp_lt_i32_e32 vcc, v14, v12
	s_ashr_i32 s1, s17, 31
	s_lshl_b32 s9, s20, 3
	s_add_i32 s8, s8, s12
	v_xor_b32_e32 v17, 2, v15
	v_cndmask_b32_e32 v14, v15, v14, vcc
	v_cmp_lt_i32_e32 vcc, v16, v12
	s_lshr_b32 s0, s17, 31
	s_lshr_b32 s1, s1, 29
	v_xor_b32_e32 v24, 1, v15
	s_sub_i32 s8, s8, s9
	v_cndmask_b32_e32 v16, v15, v16, vcc
	v_cmp_lt_i32_e32 vcc, v17, v12
	s_add_i32 s0, s17, s0
	s_add_i32 s1, s17, s1
	v_mul_lo_u32 v8, s8, v8
	v_cndmask_b32_e32 v17, v15, v17, vcc
	v_cmp_lt_i32_e32 vcc, v24, v12
	s_and_b32 s0, s0, -2
	s_ashr_i32 s1, s1, 3
	v_cndmask_b32_e32 v12, v15, v24, vcc
	v_lshl_add_u32 v8, v8, 8, v11
	s_mov_b32 s6, 0
	s_mov_b64 s[4:5], 0
	v_mov_b32_e32 v20, s15
	s_mov_b32 s7, 0x800000
	v_add_u32_e32 v23, s0, v21
	v_cmp_gt_i32_e32 vcc, s1, v10
	v_lshlrev_b32_e32 v24, 2, v13
	v_lshlrev_b32_e32 v25, 2, v14
	;; [unrolled: 1-line block ×5, first 2 shown]
	v_or_b32_e32 v8, v8, v9
	s_waitcnt vmcnt(1)
	v_lshrrev_b32_e32 v29, 16, v0
	s_waitcnt vmcnt(0)
	v_lshrrev_b32_e32 v30, 16, v4
	v_lshrrev_b32_e32 v31, 16, v1
	;; [unrolled: 1-line block ×7, first 2 shown]
	s_branch .LBB46_10
.LBB46_9:                               ;   in Loop: Header=BB46_10 Depth=1
	s_or_b64 exec, exec, s[0:1]
	v_ashrrev_i32_e32 v9, 31, v8
	v_cvt_f16_f32_e32 v37, v10
	v_cvt_f16_f32_e32 v38, v11
	;; [unrolled: 1-line block ×8, first 2 shown]
	v_lshlrev_b64 v[10:11], 1, v[8:9]
	v_mov_b32_e32 v9, s3
	v_add_co_u32_e64 v14, s[0:1], s2, v10
	v_addc_co_u32_e64 v15, s[0:1], v9, v11, s[0:1]
	s_add_i32 s6, s6, 1
	v_cmp_ge_i32_e64 s[0:1], s6, v19
	v_pack_b32_f16 v13, v13, v16
	v_pack_b32_f16 v12, v12, v41
	;; [unrolled: 1-line block ×4, first 2 shown]
	v_add_u32_e32 v8, 0x100, v8
	s_or_b64 s[4:5], s[0:1], s[4:5]
	v_add_u32_e32 v22, 0x200, v22
	global_store_dwordx4 v[14:15], v[10:13], off
	s_andn2_b64 exec, exec, s[4:5]
	s_cbranch_execz .LBB46_12
.LBB46_10:                              ; =>This Inner Loop Header: Depth=1
	ds_read_b128 v[10:13], v22
	v_mov_b32_e32 v37, v20
	s_waitcnt lgkmcnt(0)
	v_cvt_f32_f16_sdwa v15, v10 dst_sel:DWORD dst_unused:UNUSED_PAD src0_sel:WORD_1
	v_cvt_f32_f16_e32 v14, v10
	v_cvt_f32_f16_sdwa v39, v11 dst_sel:DWORD dst_unused:UNUSED_PAD src0_sel:WORD_1
	v_cvt_f32_f16_e32 v38, v11
	;; [unrolled: 2-line block ×4, first 2 shown]
	v_pk_mul_f32 v[12:13], v[14:15], v[14:15]
	v_pk_mul_f32 v[42:43], v[38:39], v[38:39]
	v_add_f32_e32 v9, v12, v13
	v_add_f32_e32 v9, v9, v42
	v_pk_mul_f32 v[44:45], v[40:41], v[40:41]
	v_add_f32_e32 v9, v9, v43
	v_add_f32_e32 v9, v9, v44
	;; [unrolled: 3-line block ×3, first 2 shown]
	v_add_f32_e32 v9, v9, v11
	ds_bpermute_b32 v10, v24, v9
	v_add_u32_e32 v11, s6, v18
	v_cmp_gt_i32_e64 s[0:1], s12, v11
	v_cndmask_b32_e64 v11, v30, v29, s[0:1]
	v_cndmask_b32_e64 v12, v4, v0, s[0:1]
	s_waitcnt lgkmcnt(0)
	v_add_f32_e32 v9, v9, v10
	ds_bpermute_b32 v10, v25, v9
	v_cndmask_b32_e64 v13, v32, v31, s[0:1]
	v_cndmask_b32_e64 v42, v5, v1, s[0:1]
	v_cndmask_b32_e64 v43, v34, v33, s[0:1]
	v_cndmask_b32_e64 v44, v6, v2, s[0:1]
	s_waitcnt lgkmcnt(0)
	v_add_f32_e32 v9, v9, v10
	ds_bpermute_b32 v10, v26, v9
	v_cndmask_b32_e64 v45, v36, v35, s[0:1]
	v_cndmask_b32_e64 v47, v7, v3, s[0:1]
	v_cvt_f32_f16_e32 v11, v11
	v_cvt_f32_f16_e32 v13, v13
	s_waitcnt lgkmcnt(0)
	v_add_f32_e32 v9, v9, v10
	ds_bpermute_b32 v10, v27, v9
	v_cvt_f32_f16_e32 v43, v43
	v_cvt_f32_f16_e32 v45, v45
	s_waitcnt lgkmcnt(0)
	v_add_f32_e32 v9, v9, v10
	ds_bpermute_b32 v46, v28, v9
	v_cvt_f32_f16_e32 v10, v12
	v_cvt_f32_f16_e32 v12, v42
	;; [unrolled: 1-line block ×4, first 2 shown]
	s_waitcnt lgkmcnt(0)
	v_add_f32_e32 v9, v9, v46
	v_fmac_f32_e32 v37, 0x3b800000, v9
	v_mul_f32_e32 v9, 0x4b800000, v37
	v_cmp_gt_f32_e64 s[0:1], s7, v37
	v_cndmask_b32_e64 v9, v37, v9, s[0:1]
	v_rsq_f32_e32 v9, v9
	v_mul_f32_e32 v37, 0x45800000, v9
	v_cndmask_b32_e64 v46, v9, v37, s[0:1]
	v_pk_mul_f32 v[10:11], v[46:47], v[10:11] op_sel_hi:[0,1]
	v_pk_mul_f32 v[12:13], v[46:47], v[12:13] op_sel_hi:[0,1]
	v_pk_mul_f32 v[10:11], v[10:11], v[14:15]
	v_pk_mul_f32 v[12:13], v[12:13], v[38:39]
	v_pk_mul_f32 v[14:15], v[46:47], v[42:43] op_sel_hi:[0,1]
	v_pk_mul_f32 v[38:39], v[46:47], v[44:45] op_sel_hi:[0,1]
	v_pk_mul_f32 v[14:15], v[14:15], v[40:41]
	v_pk_mul_f32 v[16:17], v[38:39], v[16:17]
	s_and_saveexec_b64 s[0:1], vcc
	s_cbranch_execz .LBB46_9
; %bb.11:                               ;   in Loop: Header=BB46_10 Depth=1
	ds_read_b64 v[38:39], v21
	ds_read_b64 v[40:41], v23
	s_waitcnt lgkmcnt(1)
	v_cvt_f32_f16_e32 v42, v38
	s_waitcnt lgkmcnt(0)
	v_cvt_f32_f16_e32 v44, v40
	v_cvt_f32_f16_sdwa v40, v40 dst_sel:DWORD dst_unused:UNUSED_PAD src0_sel:WORD_1
	v_cvt_f32_f16_sdwa v38, v38 dst_sel:DWORD dst_unused:UNUSED_PAD src0_sel:WORD_1
	v_cvt_f32_f16_e32 v46, v41
	v_pk_mul_f32 v[44:45], v[10:11], v[44:45] op_sel_hi:[1,0]
	v_pk_mul_f32 v[48:49], v[10:11], v[42:43] op_sel_hi:[1,0]
	;; [unrolled: 1-line block ×3, first 2 shown]
	v_pk_fma_f32 v[10:11], v[10:11], v[42:43], v[44:45] op_sel:[0,0,1] op_sel_hi:[1,0,0]
	v_pk_fma_f32 v[42:43], v[12:13], v[38:39], v[50:51] op_sel:[0,0,1] op_sel_hi:[1,0,0] neg_lo:[0,0,1] neg_hi:[0,0,1]
	v_cvt_f32_f16_e32 v10, v39
	v_pk_fma_f32 v[12:13], v[12:13], v[38:39], v[50:51] op_sel:[0,0,1] op_sel_hi:[1,0,0]
	v_cvt_f32_f16_sdwa v39, v39 dst_sel:DWORD dst_unused:UNUSED_PAD src0_sel:WORD_1
	v_cvt_f32_f16_sdwa v38, v41 dst_sel:DWORD dst_unused:UNUSED_PAD src0_sel:WORD_1
	v_pk_mul_f32 v[46:47], v[14:15], v[46:47] op_sel_hi:[1,0]
	v_mov_b32_e32 v12, v17
	v_pk_fma_f32 v[50:51], v[14:15], v[10:11], v[46:47] op_sel:[0,0,1] op_sel_hi:[1,0,0] neg_lo:[0,0,1] neg_hi:[0,0,1]
	v_pk_fma_f32 v[14:15], v[14:15], v[10:11], v[46:47] op_sel:[0,0,1] op_sel_hi:[1,0,0]
	v_mov_b32_e32 v10, v39
	v_pk_mul_f32 v[40:41], v[12:13], v[38:39]
	v_pk_mul_f32 v[46:47], v[16:17], v[38:39]
	v_pk_fma_f32 v[40:41], v[16:17], v[10:11], v[40:41] op_sel_hi:[1,0,1] neg_lo:[0,0,1] neg_hi:[0,0,1]
	v_mov_b32_e32 v10, v47
	v_pk_fma_f32 v[38:39], v[16:17], v[38:39], v[10:11]
	v_sub_f32_e32 v10, v48, v45
	v_mov_b32_e32 v12, v42
	v_mov_b32_e32 v14, v50
	;; [unrolled: 1-line block ×4, first 2 shown]
	s_branch .LBB46_9
.LBB46_12:
	s_endpgm
	.section	.rodata,"a",@progbits
	.p2align	6, 0x0
	.amdhsa_kernel _ZN12tensorrt_llm7kernels32fusedQKNormRopeKernelNTokenHeadsIN3c104HalfES3_Li256ELb1ELi8EEEvPviiifPKvS6_S6_PKlii
		.amdhsa_group_segment_fixed_size 0
		.amdhsa_private_segment_fixed_size 0
		.amdhsa_kernarg_size 320
		.amdhsa_user_sgpr_count 6
		.amdhsa_user_sgpr_private_segment_buffer 1
		.amdhsa_user_sgpr_dispatch_ptr 0
		.amdhsa_user_sgpr_queue_ptr 0
		.amdhsa_user_sgpr_kernarg_segment_ptr 1
		.amdhsa_user_sgpr_dispatch_id 0
		.amdhsa_user_sgpr_flat_scratch_init 0
		.amdhsa_user_sgpr_kernarg_preload_length 0
		.amdhsa_user_sgpr_kernarg_preload_offset 0
		.amdhsa_user_sgpr_private_segment_size 0
		.amdhsa_uses_dynamic_stack 0
		.amdhsa_system_sgpr_private_segment_wavefront_offset 0
		.amdhsa_system_sgpr_workgroup_id_x 1
		.amdhsa_system_sgpr_workgroup_id_y 0
		.amdhsa_system_sgpr_workgroup_id_z 0
		.amdhsa_system_sgpr_workgroup_info 0
		.amdhsa_system_vgpr_workitem_id 0
		.amdhsa_next_free_vgpr 52
		.amdhsa_next_free_sgpr 24
		.amdhsa_accum_offset 52
		.amdhsa_reserve_vcc 1
		.amdhsa_reserve_flat_scratch 0
		.amdhsa_float_round_mode_32 0
		.amdhsa_float_round_mode_16_64 0
		.amdhsa_float_denorm_mode_32 3
		.amdhsa_float_denorm_mode_16_64 3
		.amdhsa_dx10_clamp 1
		.amdhsa_ieee_mode 1
		.amdhsa_fp16_overflow 0
		.amdhsa_tg_split 0
		.amdhsa_exception_fp_ieee_invalid_op 0
		.amdhsa_exception_fp_denorm_src 0
		.amdhsa_exception_fp_ieee_div_zero 0
		.amdhsa_exception_fp_ieee_overflow 0
		.amdhsa_exception_fp_ieee_underflow 0
		.amdhsa_exception_fp_ieee_inexact 0
		.amdhsa_exception_int_div_zero 0
	.end_amdhsa_kernel
	.section	.text._ZN12tensorrt_llm7kernels32fusedQKNormRopeKernelNTokenHeadsIN3c104HalfES3_Li256ELb1ELi8EEEvPviiifPKvS6_S6_PKlii,"axG",@progbits,_ZN12tensorrt_llm7kernels32fusedQKNormRopeKernelNTokenHeadsIN3c104HalfES3_Li256ELb1ELi8EEEvPviiifPKvS6_S6_PKlii,comdat
.Lfunc_end46:
	.size	_ZN12tensorrt_llm7kernels32fusedQKNormRopeKernelNTokenHeadsIN3c104HalfES3_Li256ELb1ELi8EEEvPviiifPKvS6_S6_PKlii, .Lfunc_end46-_ZN12tensorrt_llm7kernels32fusedQKNormRopeKernelNTokenHeadsIN3c104HalfES3_Li256ELb1ELi8EEEvPviiifPKvS6_S6_PKlii
                                        ; -- End function
	.section	.AMDGPU.csdata,"",@progbits
; Kernel info:
; codeLenInByte = 1776
; NumSgprs: 28
; NumVgprs: 52
; NumAgprs: 0
; TotalNumVgprs: 52
; ScratchSize: 0
; MemoryBound: 0
; FloatMode: 240
; IeeeMode: 1
; LDSByteSize: 0 bytes/workgroup (compile time only)
; SGPRBlocks: 3
; VGPRBlocks: 6
; NumSGPRsForWavesPerEU: 28
; NumVGPRsForWavesPerEU: 52
; AccumOffset: 52
; Occupancy: 8
; WaveLimiterHint : 0
; COMPUTE_PGM_RSRC2:SCRATCH_EN: 0
; COMPUTE_PGM_RSRC2:USER_SGPR: 6
; COMPUTE_PGM_RSRC2:TRAP_HANDLER: 0
; COMPUTE_PGM_RSRC2:TGID_X_EN: 1
; COMPUTE_PGM_RSRC2:TGID_Y_EN: 0
; COMPUTE_PGM_RSRC2:TGID_Z_EN: 0
; COMPUTE_PGM_RSRC2:TIDIG_COMP_CNT: 0
; COMPUTE_PGM_RSRC3_GFX90A:ACCUM_OFFSET: 12
; COMPUTE_PGM_RSRC3_GFX90A:TG_SPLIT: 0
	.section	.text._ZN12tensorrt_llm7kernels32fusedQKNormRopeKernelNTokenHeadsIN3c104HalfES3_Li256ELb0ELi8EEEvPviiifPKvS6_S6_PKlii,"axG",@progbits,_ZN12tensorrt_llm7kernels32fusedQKNormRopeKernelNTokenHeadsIN3c104HalfES3_Li256ELb0ELi8EEEvPviiifPKvS6_S6_PKlii,comdat
	.protected	_ZN12tensorrt_llm7kernels32fusedQKNormRopeKernelNTokenHeadsIN3c104HalfES3_Li256ELb0ELi8EEEvPviiifPKvS6_S6_PKlii ; -- Begin function _ZN12tensorrt_llm7kernels32fusedQKNormRopeKernelNTokenHeadsIN3c104HalfES3_Li256ELb0ELi8EEEvPviiifPKvS6_S6_PKlii
	.globl	_ZN12tensorrt_llm7kernels32fusedQKNormRopeKernelNTokenHeadsIN3c104HalfES3_Li256ELb0ELi8EEEvPviiifPKvS6_S6_PKlii
	.p2align	8
	.type	_ZN12tensorrt_llm7kernels32fusedQKNormRopeKernelNTokenHeadsIN3c104HalfES3_Li256ELb0ELi8EEEvPviiifPKvS6_S6_PKlii,@function
_ZN12tensorrt_llm7kernels32fusedQKNormRopeKernelNTokenHeadsIN3c104HalfES3_Li256ELb0ELi8EEEvPviiifPKvS6_S6_PKlii: ; @_ZN12tensorrt_llm7kernels32fusedQKNormRopeKernelNTokenHeadsIN3c104HalfES3_Li256ELb0ELi8EEEvPviiifPKvS6_S6_PKlii
; %bb.0:
	s_load_dwordx4 s[12:15], s[4:5], 0x8
	s_load_dwordx2 s[2:3], s[4:5], 0x38
	s_load_dword s1, s[4:5], 0x4c
	v_lshrrev_b32_e32 v1, 5, v0
	s_waitcnt lgkmcnt(0)
	s_add_i32 s0, s13, s12
	s_add_i32 s7, s0, 7
	s_ashr_i32 s8, s7, 31
	s_lshr_b32 s8, s8, 29
	s_add_i32 s7, s7, s8
	s_ashr_i32 s20, s7, 3
	s_abs_i32 s7, s20
	v_cvt_f32_u32_e32 v2, s7
	s_bfe_u32 s1, s1, 0xb0005
	s_mul_i32 s6, s6, s1
	v_rcp_iflag_f32_e32 v3, v2
	v_add_u32_e32 v2, s6, v1
	s_sub_i32 s6, 0, s7
	v_sub_u32_e32 v4, 0, v2
	v_mul_f32_e32 v3, 0x4f7ffffe, v3
	v_cvt_u32_f32_e32 v3, v3
	v_max_i32_e32 v4, v2, v4
	v_xor_b32_e32 v5, s20, v2
	v_ashrrev_i32_e32 v5, 31, v5
	v_mul_lo_u32 v6, s6, v3
	v_mul_hi_u32 v6, v3, v6
	v_add_u32_e32 v3, v3, v6
	v_mul_hi_u32 v3, v4, v3
	v_mul_lo_u32 v6, v3, s7
	v_sub_u32_e32 v4, v4, v6
	v_add_u32_e32 v6, 1, v3
	v_cmp_le_u32_e32 vcc, s7, v4
	v_cndmask_b32_e32 v3, v3, v6, vcc
	v_subrev_u32_e32 v6, s7, v4
	v_cndmask_b32_e32 v4, v4, v6, vcc
	v_add_u32_e32 v6, 1, v3
	v_cmp_le_u32_e32 vcc, s7, v4
	v_cndmask_b32_e32 v3, v3, v6, vcc
	v_xor_b32_e32 v3, v3, v5
	v_sub_u32_e32 v8, v3, v5
	v_cmp_gt_i32_e32 vcc, s2, v8
	s_and_saveexec_b64 s[6:7], vcc
	s_cbranch_execz .LBB47_12
; %bb.1:
	v_mul_lo_u32 v3, v8, s20
	v_sub_u32_e32 v3, v2, v3
	s_load_dwordx2 s[16:17], s[4:5], 0x0
	v_lshlrev_b32_e32 v10, 3, v3
	v_add_u32_e32 v3, 8, v10
	v_sub_u32_e32 v4, s0, v10
	v_cmp_lt_i32_e32 vcc, s0, v3
	v_and_b32_e32 v23, 31, v0
	v_cndmask_b32_e32 v11, 8, v4, vcc
	s_lshl_b32 s2, s3, 1
	s_mul_i32 s21, s2, s1
	v_lshlrev_b32_e32 v29, 12, v1
	v_cmp_lt_i32_e64 s[0:1], 0, v11
	v_lshlrev_b32_e32 v30, 4, v23
	v_lshlrev_b32_e32 v31, 11, v2
	s_and_saveexec_b64 s[6:7], s[0:1]
	s_cbranch_execz .LBB47_4
; %bb.2:
	s_add_i32 s8, s21, 0
	v_add3_u32 v4, s8, v29, v30
	s_add_i32 s8, s14, s13
	s_add_i32 s8, s8, s12
	s_lshl_b32 s9, s20, 3
	s_sub_i32 s8, s8, s9
	v_mul_lo_u32 v2, s8, v8
	v_lshl_add_u32 v2, v2, 8, v31
	s_mov_b32 s10, 0
	v_lshl_or_b32 v2, v23, 3, v2
	s_mov_b64 s[8:9], 0
	s_waitcnt lgkmcnt(0)
	v_mov_b32_e32 v5, s17
.LBB47_3:                               ; =>This Inner Loop Header: Depth=1
	v_ashrrev_i32_e32 v3, 31, v2
	v_lshlrev_b64 v[6:7], 1, v[2:3]
	v_add_co_u32_e32 v6, vcc, s16, v6
	v_addc_co_u32_e32 v7, vcc, v5, v7, vcc
	global_load_dwordx4 v[12:15], v[6:7], off
	s_add_i32 s10, s10, 1
	v_cmp_ge_i32_e32 vcc, s10, v11
	v_add_u32_e32 v2, 0x100, v2
	s_or_b64 s[8:9], vcc, s[8:9]
	s_waitcnt vmcnt(0)
	ds_write_b128 v4, v[12:15]
	v_add_u32_e32 v4, 0x200, v4
	s_andn2_b64 exec, exec, s[8:9]
	s_cbranch_execnz .LBB47_3
.LBB47_4:
	s_or_b64 exec, exec, s[6:7]
	s_add_i32 s2, s2, 15
	s_load_dwordx8 s[4:11], s[4:5], 0x18
	s_ashr_i32 s18, s2, 31
	s_lshr_b32 s18, s18, 28
	s_add_i32 s2, s2, s18
	s_ashr_i32 s2, s2, 4
	v_cmp_gt_i32_e32 vcc, s2, v23
	v_mul_lo_u32 v12, v1, s3
	s_and_saveexec_b64 s[18:19], vcc
	s_cbranch_execz .LBB47_7
; %bb.5:
	v_ashrrev_i32_e32 v9, 31, v8
	v_lshlrev_b64 v[2:3], 3, v[8:9]
	s_waitcnt lgkmcnt(0)
	v_mov_b32_e32 v1, s11
	v_add_co_u32_e32 v2, vcc, s10, v2
	v_addc_co_u32_e32 v3, vcc, v1, v3, vcc
	global_load_dwordx2 v[4:5], v[2:3], off
	s_ashr_i32 s22, s3, 31
	v_lshlrev_b32_e32 v1, 1, v12
	v_and_b32_e32 v0, 31, v0
	v_add3_u32 v2, v1, v30, 0
	v_lshlrev_b32_e32 v6, 4, v0
	v_mov_b32_e32 v3, s9
	s_mov_b64 s[10:11], 0
	s_waitcnt vmcnt(0)
	v_mul_lo_u32 v5, v5, s3
	v_mul_lo_u32 v7, v4, s22
	v_mad_u64_u32 v[0:1], s[22:23], v4, s3, 0
	v_add3_u32 v1, v1, v7, v5
	v_lshlrev_b64 v[0:1], 1, v[0:1]
	v_add_co_u32_e32 v0, vcc, v0, v6
	v_addc_co_u32_e32 v1, vcc, 0, v1, vcc
	v_add_co_u32_e32 v0, vcc, s8, v0
	v_addc_co_u32_e32 v1, vcc, v3, v1, vcc
	v_mov_b32_e32 v3, v23
.LBB47_6:                               ; =>This Inner Loop Header: Depth=1
	global_load_dwordx4 v[4:7], v[0:1], off
	v_add_co_u32_e32 v0, vcc, 0x200, v0
	v_add_u32_e32 v3, 32, v3
	v_addc_co_u32_e32 v1, vcc, 0, v1, vcc
	v_cmp_le_i32_e32 vcc, s2, v3
	s_or_b64 s[10:11], vcc, s[10:11]
	s_waitcnt vmcnt(0)
	ds_write_b128 v2, v[4:7]
	v_add_u32_e32 v2, 0x200, v2
	s_andn2_b64 exec, exec, s[10:11]
	s_cbranch_execnz .LBB47_6
.LBB47_7:
	s_or_b64 exec, exec, s[18:19]
	s_and_b64 exec, exec, s[0:1]
	s_cbranch_execz .LBB47_12
; %bb.8:
	s_waitcnt lgkmcnt(0)
	global_load_dwordx4 v[0:3], v30, s[4:5]
	global_load_dwordx4 v[4:7], v30, s[6:7]
	v_lshl_add_u32 v9, v12, 1, 0
	v_mbcnt_lo_u32_b32 v12, -1, 0
	s_abs_i32 s4, s3
	v_mbcnt_hi_u32_b32 v17, -1, v12
	v_cvt_f32_u32_e32 v14, s4
	v_and_b32_e32 v12, 0x60, v17
	v_xor_b32_e32 v13, 16, v17
	v_add_u32_e32 v12, 32, v12
	v_xor_b32_e32 v15, 8, v17
	v_cmp_lt_i32_e32 vcc, v13, v12
	v_xor_b32_e32 v16, 4, v17
	v_cndmask_b32_e32 v13, v17, v13, vcc
	v_cmp_lt_i32_e32 vcc, v15, v12
	v_rcp_iflag_f32_e32 v22, v14
	v_xor_b32_e32 v18, 2, v17
	v_cndmask_b32_e32 v15, v17, v15, vcc
	v_cmp_lt_i32_e32 vcc, v16, v12
	v_cndmask_b32_e32 v16, v17, v16, vcc
	v_cmp_lt_i32_e32 vcc, v18, v12
	v_xor_b32_e32 v19, 1, v17
	v_cndmask_b32_e32 v18, v17, v18, vcc
	v_cmp_lt_i32_e32 vcc, v19, v12
	v_lshlrev_b32_e32 v12, 2, v13
	v_lshlrev_b32_e32 v13, 2, v15
	;; [unrolled: 1-line block ×3, first 2 shown]
	v_mul_f32_e32 v18, 0x4f7ffffe, v22
	v_cvt_u32_f32_e32 v18, v18
	s_sub_i32 s5, 0, s4
	v_cndmask_b32_e32 v19, v17, v19, vcc
	s_ashr_i32 s1, s3, 31
	v_lshlrev_b32_e32 v14, 2, v16
	v_lshlrev_b32_e32 v16, 2, v19
	v_mul_lo_u32 v19, s5, v18
	s_lshr_b32 s2, s1, 29
	s_lshr_b32 s1, s1, 28
	v_mul_hi_u32 v19, v18, v19
	s_lshr_b32 s0, s3, 31
	s_add_i32 s1, s3, s1
	v_add_u32_e32 v46, v18, v19
	s_add_i32 s0, s3, s0
	v_and_b32_e32 v20, 64, v17
	s_ashr_i32 s1, s1, 4
	v_mul_hi_u32 v18, v30, v46
	s_and_b32 s0, s0, -2
	s_add_i32 s2, s3, s2
	v_add_u32_e32 v20, 64, v20
	v_xor_b32_e32 v21, s1, v17
	v_mul_lo_u32 v18, v18, s4
	v_or_b32_e32 v32, 2, v30
	v_add_u32_e32 v45, s0, v9
	s_ashr_i32 s0, s2, 3
	v_cmp_lt_i32_e64 s[2:3], v21, v20
	v_sub_u32_e32 v18, v30, v18
	v_cndmask_b32_e64 v17, v17, v21, s[2:3]
	v_subrev_u32_e32 v19, s4, v18
	v_cmp_le_u32_e64 s[2:3], s4, v18
	v_mul_hi_u32 v33, v32, v46
	v_cndmask_b32_e64 v18, v18, v19, s[2:3]
	v_mul_lo_u32 v33, v33, s4
	v_or_b32_e32 v34, 4, v30
	v_subrev_u32_e32 v19, s4, v18
	v_cmp_le_u32_e64 s[2:3], s4, v18
	v_sub_u32_e32 v32, v32, v33
	v_cndmask_b32_e64 v18, v18, v19, s[2:3]
	v_subrev_u32_e32 v33, s4, v32
	v_cmp_le_u32_e64 s[2:3], s4, v32
	v_mul_hi_u32 v35, v34, v46
	v_cndmask_b32_e64 v32, v32, v33, s[2:3]
	v_mul_lo_u32 v35, v35, s4
	v_or_b32_e32 v36, 6, v30
	v_subrev_u32_e32 v33, s4, v32
	v_cmp_le_u32_e64 s[2:3], s4, v32
	;; [unrolled: 10-line block ×6, first 2 shown]
	v_sub_u32_e32 v42, v42, v43
	v_cndmask_b32_e64 v40, v40, v41, s[2:3]
	v_subrev_u32_e32 v43, s4, v42
	v_cmp_le_u32_e64 s[2:3], s4, v42
	v_mul_hi_u32 v46, v44, v46
	v_cndmask_b32_e64 v42, v42, v43, s[2:3]
	v_mul_lo_u32 v46, v46, s4
	v_subrev_u32_e32 v43, s4, v42
	v_cmp_le_u32_e64 s[2:3], s4, v42
	v_sub_u32_e32 v44, v44, v46
	v_cndmask_b32_e64 v42, v42, v43, s[2:3]
	v_subrev_u32_e32 v46, s4, v44
	v_cmp_le_u32_e64 s[2:3], s4, v44
	v_cndmask_b32_e64 v44, v44, v46, s[2:3]
	v_subrev_u32_e32 v46, s4, v44
	v_cmp_le_u32_e64 s[2:3], s4, v44
	v_cndmask_b32_e64 v44, v44, v46, s[2:3]
	s_add_i32 s2, s14, s13
	s_add_i32 s2, s2, s12
	s_lshl_b32 s3, s20, 3
	s_sub_i32 s2, s2, s3
	v_and_b32_e32 v28, -2, v18
	v_and_b32_e32 v33, -2, v32
	;; [unrolled: 1-line block ×8, first 2 shown]
	v_mul_lo_u32 v8, s2, v8
	v_add_u32_e32 v27, v9, v28
	v_add_u32_e32 v32, v9, v33
	;; [unrolled: 1-line block ×8, first 2 shown]
	v_lshl_add_u32 v8, v8, 8, v31
	v_add_u32_e32 v9, s21, v29
	s_mov_b32 s8, 0
	v_cmp_gt_i32_e32 vcc, s0, v23
	v_cmp_gt_i32_e64 s[0:1], s1, v23
	v_lshlrev_b32_e32 v17, 2, v17
	s_waitcnt vmcnt(1)
	v_lshrrev_b32_e32 v18, 16, v0
	v_lshrrev_b32_e32 v19, 16, v1
	;; [unrolled: 1-line block ×4, first 2 shown]
	s_waitcnt vmcnt(0)
	v_lshrrev_b32_e32 v22, 16, v4
	v_lshrrev_b32_e32 v24, 16, v5
	v_lshrrev_b32_e32 v25, 16, v6
	v_lshrrev_b32_e32 v26, 16, v7
	v_add_u32_e32 v28, v45, v28
	v_add_u32_e32 v33, v45, v33
	v_add_u32_e32 v35, v45, v35
	v_add_u32_e32 v37, v45, v37
	v_add_u32_e32 v39, v45, v39
	v_add_u32_e32 v41, v45, v41
	v_add_u32_e32 v43, v45, v43
	v_add_u32_e32 v45, v45, v46
	v_lshl_or_b32 v8, v23, 3, v8
	v_add3_u32 v23, v9, v30, 0
	s_mov_b64 s[6:7], 0
	s_mov_b32 s9, 0x800000
	s_branch .LBB47_10
.LBB47_9:                               ;   in Loop: Header=BB47_10 Depth=1
	s_or_b64 exec, exec, s[2:3]
	v_cvt_f16_f32_e32 v50, v9
	v_ashrrev_i32_e32 v9, 31, v8
	v_cvt_f16_f32_e32 v29, v29
	v_cvt_f16_f32_e32 v51, v30
	;; [unrolled: 1-line block ×7, first 2 shown]
	v_lshlrev_b64 v[30:31], 1, v[8:9]
	v_mov_b32_e32 v9, s17
	v_add_co_u32_e64 v30, s[2:3], s16, v30
	v_addc_co_u32_e64 v31, s[2:3], v9, v31, s[2:3]
	s_add_i32 s8, s8, 1
	v_cmp_ge_i32_e64 s[2:3], s8, v11
	v_pack_b32_f16 v49, v48, v49
	v_pack_b32_f16 v48, v46, v47
	;; [unrolled: 1-line block ×4, first 2 shown]
	v_add_u32_e32 v8, 0x100, v8
	s_or_b64 s[6:7], s[2:3], s[6:7]
	v_add_u32_e32 v23, 0x200, v23
	global_store_dwordx4 v[30:31], v[46:49], off
	s_andn2_b64 exec, exec, s[6:7]
	s_cbranch_execz .LBB47_12
.LBB47_10:                              ; =>This Inner Loop Header: Depth=1
	ds_read_b128 v[46:49], v23
	s_waitcnt lgkmcnt(0)
	v_cvt_f32_f16_sdwa v29, v46 dst_sel:DWORD dst_unused:UNUSED_PAD src0_sel:WORD_1
	v_cvt_f32_f16_sdwa v31, v47 dst_sel:DWORD dst_unused:UNUSED_PAD src0_sel:WORD_1
	v_cvt_f32_f16_e32 v30, v47
	v_cvt_f32_f16_sdwa v51, v48 dst_sel:DWORD dst_unused:UNUSED_PAD src0_sel:WORD_1
	v_cvt_f32_f16_e32 v50, v48
	v_mul_f32_e32 v9, v29, v29
	v_cvt_f32_f16_sdwa v53, v49 dst_sel:DWORD dst_unused:UNUSED_PAD src0_sel:WORD_1
	v_cvt_f32_f16_e32 v52, v49
	v_pk_mul_f32 v[48:49], v[30:31], v[30:31]
	v_fma_mix_f32 v9, v46, v46, v9 op_sel_hi:[1,1,0]
	v_add_f32_e32 v9, v9, v48
	v_add_f32_e32 v9, v9, v49
	v_pk_mul_f32 v[48:49], v[50:51], v[50:51]
	v_add_f32_e32 v9, v9, v48
	v_add_f32_e32 v9, v9, v49
	v_pk_mul_f32 v[48:49], v[52:53], v[52:53]
	v_add_f32_e32 v9, v9, v48
	v_add_f32_e32 v9, v9, v49
	ds_bpermute_b32 v47, v12, v9
	v_mov_b32_e32 v49, s15
	v_add_u32_e32 v48, s8, v10
	v_cmp_gt_i32_e64 s[2:3], s12, v48
	v_cndmask_b32_e64 v48, v4, v0, s[2:3]
	s_waitcnt lgkmcnt(0)
	v_add_f32_e32 v9, v9, v47
	ds_bpermute_b32 v47, v13, v9
	v_cndmask_b32_e64 v54, v22, v18, s[2:3]
	v_cvt_f32_f16_e32 v48, v48
	v_cvt_f32_f16_e32 v54, v54
	v_cndmask_b32_e64 v56, v24, v19, s[2:3]
	s_waitcnt lgkmcnt(0)
	v_add_f32_e32 v9, v9, v47
	ds_bpermute_b32 v47, v14, v9
	v_cndmask_b32_e64 v57, v6, v2, s[2:3]
	v_cndmask_b32_e64 v58, v25, v20, s[2:3]
	v_cvt_f32_f16_e32 v46, v46
	v_cndmask_b32_e64 v55, v5, v1, s[2:3]
	s_waitcnt lgkmcnt(0)
	v_add_f32_e32 v9, v9, v47
	ds_bpermute_b32 v47, v15, v9
	v_cvt_f32_f16_e32 v55, v55
	s_waitcnt lgkmcnt(0)
	v_add_f32_e32 v9, v9, v47
	ds_bpermute_b32 v47, v16, v9
	s_waitcnt lgkmcnt(0)
	v_add_f32_e32 v9, v9, v47
	v_fmac_f32_e32 v49, 0x3b800000, v9
	v_mul_f32_e32 v9, 0x4b800000, v49
	v_cmp_gt_f32_e64 s[4:5], s9, v49
	v_cndmask_b32_e64 v9, v49, v9, s[4:5]
	v_rsq_f32_e32 v9, v9
	v_cvt_f32_f16_e32 v47, v56
	v_cvt_f32_f16_e32 v49, v57
	v_mul_f32_e32 v56, 0x45800000, v9
	v_cndmask_b32_e64 v56, v9, v56, s[4:5]
	v_mul_f32_e32 v9, v56, v48
	v_mul_f32_e32 v48, v56, v54
	;; [unrolled: 1-line block ×3, first 2 shown]
	v_cvt_f32_f16_e32 v48, v58
	v_mul_f32_e32 v47, v56, v47
	v_mul_f32_e32 v9, v9, v46
	;; [unrolled: 1-line block ×5, first 2 shown]
	v_cndmask_b32_e64 v48, v7, v3, s[2:3]
	v_cndmask_b32_e64 v49, v26, v21, s[2:3]
	v_cvt_f32_f16_e32 v48, v48
	v_cvt_f32_f16_e32 v49, v49
	v_mul_f32_e32 v54, v56, v55
	v_mul_f32_e32 v30, v54, v30
	;; [unrolled: 1-line block ×8, first 2 shown]
	s_and_saveexec_b64 s[2:3], vcc
	s_cbranch_execz .LBB47_9
; %bb.11:                               ;   in Loop: Header=BB47_10 Depth=1
	ds_bpermute_b32 v50, v17, v9
	; wave barrier
	ds_read_u16 v51, v28
	ds_read_u16 v52, v32
	;; [unrolled: 1-line block ×7, first 2 shown]
	s_waitcnt lgkmcnt(6)
	v_cvt_f32_f16_e32 v51, v51
	ds_read_u16 v58, v27
	ds_bpermute_b32 v59, v17, v29
	v_cndmask_b32_e64 v50, v50, -v50, s[0:1]
	v_mul_f32_e32 v50, v50, v51
	s_waitcnt lgkmcnt(6)
	v_cvt_f32_f16_e32 v51, v53
	ds_bpermute_b32 v53, v17, v30
	s_waitcnt lgkmcnt(2)
	v_fma_mix_f32 v9, v9, v58, v50 op_sel_hi:[0,1,0]
	s_waitcnt lgkmcnt(1)
	v_cndmask_b32_e64 v50, v59, -v59, s[0:1]
	v_mul_f32_e32 v50, v50, v51
	v_fma_mix_f32 v29, v29, v52, v50 op_sel_hi:[0,1,0]
	v_cvt_f32_f16_e32 v50, v55
	ds_bpermute_b32 v51, v17, v31
	s_waitcnt lgkmcnt(1)
	v_cndmask_b32_e64 v52, v53, -v53, s[0:1]
	v_cvt_f32_f16_e32 v53, v57
	v_mul_f32_e32 v50, v52, v50
	v_fma_mix_f32 v30, v30, v54, v50 op_sel_hi:[0,1,0]
	s_waitcnt lgkmcnt(0)
	v_cndmask_b32_e64 v50, v51, -v51, s[0:1]
	ds_bpermute_b32 v51, v17, v46
	v_mul_f32_e32 v50, v50, v53
	ds_read_u16 v52, v38
	ds_read_u16 v53, v39
	;; [unrolled: 1-line block ×8, first 2 shown]
	s_waitcnt lgkmcnt(6)
	v_cvt_f32_f16_e32 v53, v53
	v_fma_mix_f32 v31, v31, v56, v50 op_sel_hi:[0,1,0]
	ds_bpermute_b32 v50, v17, v47
	v_cndmask_b32_e64 v51, v51, -v51, s[0:1]
	v_mul_f32_e32 v51, v51, v53
	s_waitcnt lgkmcnt(5)
	v_cvt_f32_f16_e32 v53, v55
	v_fma_mix_f32 v46, v46, v52, v51 op_sel_hi:[0,1,0]
	s_waitcnt lgkmcnt(0)
	v_cndmask_b32_e64 v50, v50, -v50, s[0:1]
	ds_bpermute_b32 v51, v17, v48
	v_mul_f32_e32 v50, v50, v53
	v_fma_mix_f32 v47, v47, v54, v50 op_sel_hi:[0,1,0]
	v_cvt_f32_f16_e32 v50, v58
	ds_bpermute_b32 v52, v17, v49
	v_cvt_f32_f16_e32 v53, v60
	s_waitcnt lgkmcnt(1)
	v_cndmask_b32_e64 v51, v51, -v51, s[0:1]
	v_mul_f32_e32 v50, v51, v50
	v_fma_mix_f32 v48, v48, v57, v50 op_sel_hi:[0,1,0]
	s_waitcnt lgkmcnt(0)
	v_cndmask_b32_e64 v50, v52, -v52, s[0:1]
	v_mul_f32_e32 v50, v50, v53
	v_fma_mix_f32 v49, v49, v59, v50 op_sel_hi:[0,1,0]
	; wave barrier
	s_branch .LBB47_9
.LBB47_12:
	s_endpgm
	.section	.rodata,"a",@progbits
	.p2align	6, 0x0
	.amdhsa_kernel _ZN12tensorrt_llm7kernels32fusedQKNormRopeKernelNTokenHeadsIN3c104HalfES3_Li256ELb0ELi8EEEvPviiifPKvS6_S6_PKlii
		.amdhsa_group_segment_fixed_size 0
		.amdhsa_private_segment_fixed_size 0
		.amdhsa_kernarg_size 320
		.amdhsa_user_sgpr_count 6
		.amdhsa_user_sgpr_private_segment_buffer 1
		.amdhsa_user_sgpr_dispatch_ptr 0
		.amdhsa_user_sgpr_queue_ptr 0
		.amdhsa_user_sgpr_kernarg_segment_ptr 1
		.amdhsa_user_sgpr_dispatch_id 0
		.amdhsa_user_sgpr_flat_scratch_init 0
		.amdhsa_user_sgpr_kernarg_preload_length 0
		.amdhsa_user_sgpr_kernarg_preload_offset 0
		.amdhsa_user_sgpr_private_segment_size 0
		.amdhsa_uses_dynamic_stack 0
		.amdhsa_system_sgpr_private_segment_wavefront_offset 0
		.amdhsa_system_sgpr_workgroup_id_x 1
		.amdhsa_system_sgpr_workgroup_id_y 0
		.amdhsa_system_sgpr_workgroup_id_z 0
		.amdhsa_system_sgpr_workgroup_info 0
		.amdhsa_system_vgpr_workitem_id 0
		.amdhsa_next_free_vgpr 61
		.amdhsa_next_free_sgpr 24
		.amdhsa_accum_offset 64
		.amdhsa_reserve_vcc 1
		.amdhsa_reserve_flat_scratch 0
		.amdhsa_float_round_mode_32 0
		.amdhsa_float_round_mode_16_64 0
		.amdhsa_float_denorm_mode_32 3
		.amdhsa_float_denorm_mode_16_64 3
		.amdhsa_dx10_clamp 1
		.amdhsa_ieee_mode 1
		.amdhsa_fp16_overflow 0
		.amdhsa_tg_split 0
		.amdhsa_exception_fp_ieee_invalid_op 0
		.amdhsa_exception_fp_denorm_src 0
		.amdhsa_exception_fp_ieee_div_zero 0
		.amdhsa_exception_fp_ieee_overflow 0
		.amdhsa_exception_fp_ieee_underflow 0
		.amdhsa_exception_fp_ieee_inexact 0
		.amdhsa_exception_int_div_zero 0
	.end_amdhsa_kernel
	.section	.text._ZN12tensorrt_llm7kernels32fusedQKNormRopeKernelNTokenHeadsIN3c104HalfES3_Li256ELb0ELi8EEEvPviiifPKvS6_S6_PKlii,"axG",@progbits,_ZN12tensorrt_llm7kernels32fusedQKNormRopeKernelNTokenHeadsIN3c104HalfES3_Li256ELb0ELi8EEEvPviiifPKvS6_S6_PKlii,comdat
.Lfunc_end47:
	.size	_ZN12tensorrt_llm7kernels32fusedQKNormRopeKernelNTokenHeadsIN3c104HalfES3_Li256ELb0ELi8EEEvPviiifPKvS6_S6_PKlii, .Lfunc_end47-_ZN12tensorrt_llm7kernels32fusedQKNormRopeKernelNTokenHeadsIN3c104HalfES3_Li256ELb0ELi8EEEvPviiifPKvS6_S6_PKlii
                                        ; -- End function
	.section	.AMDGPU.csdata,"",@progbits
; Kernel info:
; codeLenInByte = 2696
; NumSgprs: 28
; NumVgprs: 61
; NumAgprs: 0
; TotalNumVgprs: 61
; ScratchSize: 0
; MemoryBound: 0
; FloatMode: 240
; IeeeMode: 1
; LDSByteSize: 0 bytes/workgroup (compile time only)
; SGPRBlocks: 3
; VGPRBlocks: 7
; NumSGPRsForWavesPerEU: 28
; NumVGPRsForWavesPerEU: 61
; AccumOffset: 64
; Occupancy: 8
; WaveLimiterHint : 0
; COMPUTE_PGM_RSRC2:SCRATCH_EN: 0
; COMPUTE_PGM_RSRC2:USER_SGPR: 6
; COMPUTE_PGM_RSRC2:TRAP_HANDLER: 0
; COMPUTE_PGM_RSRC2:TGID_X_EN: 1
; COMPUTE_PGM_RSRC2:TGID_Y_EN: 0
; COMPUTE_PGM_RSRC2:TGID_Z_EN: 0
; COMPUTE_PGM_RSRC2:TIDIG_COMP_CNT: 0
; COMPUTE_PGM_RSRC3_GFX90A:ACCUM_OFFSET: 15
; COMPUTE_PGM_RSRC3_GFX90A:TG_SPLIT: 0
	.section	.text._ZN12tensorrt_llm7kernels21fusedQKNormRopeKernelIN3c104HalfENS2_8BFloat16ELi64ELb1EEEvPviiifPKvS7_S7_PKlii,"axG",@progbits,_ZN12tensorrt_llm7kernels21fusedQKNormRopeKernelIN3c104HalfENS2_8BFloat16ELi64ELb1EEEvPviiifPKvS7_S7_PKlii,comdat
	.protected	_ZN12tensorrt_llm7kernels21fusedQKNormRopeKernelIN3c104HalfENS2_8BFloat16ELi64ELb1EEEvPviiifPKvS7_S7_PKlii ; -- Begin function _ZN12tensorrt_llm7kernels21fusedQKNormRopeKernelIN3c104HalfENS2_8BFloat16ELi64ELb1EEEvPviiifPKvS7_S7_PKlii
	.globl	_ZN12tensorrt_llm7kernels21fusedQKNormRopeKernelIN3c104HalfENS2_8BFloat16ELi64ELb1EEEvPviiifPKvS7_S7_PKlii
	.p2align	8
	.type	_ZN12tensorrt_llm7kernels21fusedQKNormRopeKernelIN3c104HalfENS2_8BFloat16ELi64ELb1EEEvPviiifPKvS7_S7_PKlii,@function
_ZN12tensorrt_llm7kernels21fusedQKNormRopeKernelIN3c104HalfENS2_8BFloat16ELi64ELb1EEEvPviiifPKvS7_S7_PKlii: ; @_ZN12tensorrt_llm7kernels21fusedQKNormRopeKernelIN3c104HalfENS2_8BFloat16ELi64ELb1EEEvPviiifPKvS7_S7_PKlii
; %bb.0:
	s_load_dwordx4 s[8:11], s[4:5], 0x8
	s_load_dwordx2 s[12:13], s[4:5], 0x38
	s_load_dword s1, s[4:5], 0x4c
	v_lshrrev_b32_e32 v2, 5, v0
	s_waitcnt lgkmcnt(0)
	s_add_i32 s0, s9, s8
	s_abs_i32 s2, s0
	v_cvt_f32_u32_e32 v1, s2
	s_bfe_u32 s1, s1, 0xb0005
	s_mul_i32 s6, s6, s1
	s_sub_i32 s1, 0, s2
	v_rcp_iflag_f32_e32 v3, v1
	v_add_u32_e32 v1, s6, v2
	v_sub_u32_e32 v4, 0, v1
	v_max_i32_e32 v4, v1, v4
	v_mul_f32_e32 v3, 0x4f7ffffe, v3
	v_cvt_u32_f32_e32 v3, v3
	v_xor_b32_e32 v2, s0, v1
	v_ashrrev_i32_e32 v2, 31, v2
	v_mul_lo_u32 v5, s1, v3
	v_mul_hi_u32 v5, v3, v5
	v_add_u32_e32 v3, v3, v5
	v_mul_hi_u32 v3, v4, v3
	v_mul_lo_u32 v5, v3, s2
	v_sub_u32_e32 v4, v4, v5
	v_add_u32_e32 v5, 1, v3
	v_cmp_le_u32_e32 vcc, s2, v4
	v_cndmask_b32_e32 v3, v3, v5, vcc
	v_subrev_u32_e32 v5, s2, v4
	v_cndmask_b32_e32 v4, v4, v5, vcc
	v_add_u32_e32 v5, 1, v3
	v_cmp_le_u32_e32 vcc, s2, v4
	v_cndmask_b32_e32 v3, v3, v5, vcc
	v_xor_b32_e32 v3, v3, v2
	v_sub_u32_e32 v2, v3, v2
	v_cmp_gt_i32_e32 vcc, s12, v2
	s_and_saveexec_b64 s[2:3], vcc
	s_cbranch_execz .LBB48_4
; %bb.1:
	v_and_b32_e32 v3, 31, v0
	v_mul_lo_u32 v0, v2, s0
	v_sub_u32_e32 v0, v1, v0
	v_mov_b32_e32 v1, s8
	v_cmp_gt_i32_e32 vcc, s8, v0
	v_cndmask_b32_e64 v1, v1, 0, vcc
	s_add_i32 s0, s0, s10
	s_load_dwordx2 s[2:3], s[4:5], 0x0
	v_sub_u32_e32 v0, v0, v1
	v_mul_lo_u32 v4, v2, s0
	v_add3_u32 v0, v4, v1, v0
	v_lshlrev_b32_e32 v6, 1, v3
	v_lshl_or_b32 v0, v0, 6, v6
	v_ashrrev_i32_e32 v1, 31, v0
	v_lshlrev_b64 v[0:1], 1, v[0:1]
	s_waitcnt lgkmcnt(0)
	v_mov_b32_e32 v4, s3
	v_add_co_u32_e64 v0, s[0:1], s2, v0
	v_addc_co_u32_e64 v1, s[0:1], v4, v1, s[0:1]
	global_load_dword v7, v[0:1], off
	s_load_dwordx8 s[0:7], s[4:5], 0x18
	v_lshlrev_b32_e32 v4, 2, v3
	s_waitcnt lgkmcnt(0)
	v_mov_b32_e32 v5, s3
	v_mov_b32_e32 v8, s1
	;; [unrolled: 1-line block ×4, first 2 shown]
	v_cndmask_b32_e32 v5, v5, v8, vcc
	v_cndmask_b32_e32 v8, v9, v10, vcc
	v_add_co_u32_e32 v4, vcc, v8, v4
	v_addc_co_u32_e32 v5, vcc, 0, v5, vcc
	global_load_dword v10, v[4:5], off
	v_mbcnt_lo_u32_b32 v4, -1, 0
	v_mbcnt_hi_u32_b32 v11, -1, v4
	v_and_b32_e32 v4, 0x60, v11
	v_add_u32_e32 v12, 32, v4
	v_xor_b32_e32 v8, 16, v11
	v_cmp_lt_i32_e32 vcc, v8, v12
	s_mov_b32 s0, 0x800000
	s_lshr_b32 s2, s13, 31
	s_add_i32 s2, s13, s2
	s_mov_b32 s1, 0
	s_waitcnt vmcnt(1)
	v_cvt_f32_f16_e32 v4, v7
	v_cvt_f32_f16_sdwa v5, v7 dst_sel:DWORD dst_unused:UNUSED_PAD src0_sel:WORD_1
	v_cndmask_b32_e32 v7, v11, v8, vcc
	v_lshlrev_b32_e32 v7, 2, v7
	v_pk_mul_f32 v[8:9], v[4:5], v[4:5]
	v_add_f32_e32 v8, v9, v8
	ds_bpermute_b32 v7, v7, v8
	v_xor_b32_e32 v9, 8, v11
	v_cmp_lt_i32_e32 vcc, v9, v12
	v_cndmask_b32_e32 v9, v11, v9, vcc
	v_lshlrev_b32_e32 v9, 2, v9
	s_waitcnt lgkmcnt(0)
	v_add_f32_e32 v7, v8, v7
	ds_bpermute_b32 v8, v9, v7
	v_xor_b32_e32 v9, 4, v11
	v_cmp_lt_i32_e32 vcc, v9, v12
	v_cndmask_b32_e32 v9, v11, v9, vcc
	v_lshlrev_b32_e32 v9, 2, v9
	s_waitcnt lgkmcnt(0)
	;; [unrolled: 7-line block ×4, first 2 shown]
	v_add_f32_e32 v7, v7, v8
	ds_bpermute_b32 v8, v9, v7
	v_mov_b32_e32 v9, s11
	s_waitcnt lgkmcnt(0)
	v_add_f32_e32 v7, v7, v8
	v_fmac_f32_e32 v9, 0x3c800000, v7
	v_mul_f32_e32 v7, 0x4b800000, v9
	v_cmp_gt_f32_e32 vcc, s0, v9
	v_cndmask_b32_e32 v7, v9, v7, vcc
	v_rsq_f32_e32 v7, v7
	s_waitcnt vmcnt(0)
	v_cvt_f32_f16_e32 v8, v10
	v_cvt_f32_f16_sdwa v9, v10 dst_sel:DWORD dst_unused:UNUSED_PAD src0_sel:WORD_1
	s_ashr_i32 s0, s2, 1
	v_mul_f32_e32 v10, 0x45800000, v7
	v_cndmask_b32_e32 v10, v7, v10, vcc
	v_pk_mul_f32 v[8:9], v[10:11], v[8:9] op_sel_hi:[0,1]
	v_pk_mul_f32 v[4:5], v[8:9], v[4:5]
	v_cmp_gt_i32_e32 vcc, s0, v3
	s_and_saveexec_b64 s[2:3], vcc
	s_cbranch_execz .LBB48_3
; %bb.2:
	v_ashrrev_i32_e32 v3, 31, v2
	v_lshlrev_b64 v[2:3], 3, v[2:3]
	v_mov_b32_e32 v7, s7
	v_add_co_u32_e32 v2, vcc, s6, v2
	v_addc_co_u32_e32 v3, vcc, v7, v3, vcc
	global_load_dwordx2 v[2:3], v[2:3], off
	s_ashr_i32 s6, s13, 31
	v_mov_b32_e32 v7, s5
	s_lshl_b64 s[0:1], s[0:1], 1
	v_mov_b32_e32 v8, s1
	s_waitcnt vmcnt(0)
	v_mul_lo_u32 v9, v3, s13
	v_mul_lo_u32 v10, v2, s6
	v_mad_u64_u32 v[2:3], s[6:7], v2, s13, 0
	v_add3_u32 v3, v3, v10, v9
	v_lshlrev_b64 v[2:3], 1, v[2:3]
	v_add_co_u32_e32 v2, vcc, s4, v2
	v_addc_co_u32_e32 v3, vcc, v7, v3, vcc
	v_add_co_u32_e32 v2, vcc, v2, v6
	v_addc_co_u32_e32 v3, vcc, 0, v3, vcc
	;; [unrolled: 2-line block ×3, first 2 shown]
	global_load_ushort v8, v[2:3], off
	global_load_ushort v9, v[6:7], off
	s_waitcnt vmcnt(1)
	v_lshlrev_b32_e32 v3, 16, v8
	s_waitcnt vmcnt(0)
	v_lshlrev_b32_e32 v2, 16, v9
	v_pk_mul_f32 v[6:7], v[4:5], v[2:3]
	v_mov_b32_e32 v7, v6
	v_mul_f32_e32 v8, v4, v3
	v_pk_fma_f32 v[6:7], v[4:5], v[2:3], v[6:7]
	v_fma_f32 v4, -v5, v2, v8
	v_mov_b32_e32 v5, v7
.LBB48_3:
	s_or_b64 exec, exec, s[2:3]
	v_cvt_f16_f32_e32 v2, v4
	v_cvt_f16_f32_e32 v3, v5
	v_pack_b32_f16 v2, v2, v3
	global_store_dword v[0:1], v2, off
.LBB48_4:
	s_endpgm
	.section	.rodata,"a",@progbits
	.p2align	6, 0x0
	.amdhsa_kernel _ZN12tensorrt_llm7kernels21fusedQKNormRopeKernelIN3c104HalfENS2_8BFloat16ELi64ELb1EEEvPviiifPKvS7_S7_PKlii
		.amdhsa_group_segment_fixed_size 0
		.amdhsa_private_segment_fixed_size 0
		.amdhsa_kernarg_size 320
		.amdhsa_user_sgpr_count 6
		.amdhsa_user_sgpr_private_segment_buffer 1
		.amdhsa_user_sgpr_dispatch_ptr 0
		.amdhsa_user_sgpr_queue_ptr 0
		.amdhsa_user_sgpr_kernarg_segment_ptr 1
		.amdhsa_user_sgpr_dispatch_id 0
		.amdhsa_user_sgpr_flat_scratch_init 0
		.amdhsa_user_sgpr_kernarg_preload_length 0
		.amdhsa_user_sgpr_kernarg_preload_offset 0
		.amdhsa_user_sgpr_private_segment_size 0
		.amdhsa_uses_dynamic_stack 0
		.amdhsa_system_sgpr_private_segment_wavefront_offset 0
		.amdhsa_system_sgpr_workgroup_id_x 1
		.amdhsa_system_sgpr_workgroup_id_y 0
		.amdhsa_system_sgpr_workgroup_id_z 0
		.amdhsa_system_sgpr_workgroup_info 0
		.amdhsa_system_vgpr_workitem_id 0
		.amdhsa_next_free_vgpr 13
		.amdhsa_next_free_sgpr 14
		.amdhsa_accum_offset 16
		.amdhsa_reserve_vcc 1
		.amdhsa_reserve_flat_scratch 0
		.amdhsa_float_round_mode_32 0
		.amdhsa_float_round_mode_16_64 0
		.amdhsa_float_denorm_mode_32 3
		.amdhsa_float_denorm_mode_16_64 3
		.amdhsa_dx10_clamp 1
		.amdhsa_ieee_mode 1
		.amdhsa_fp16_overflow 0
		.amdhsa_tg_split 0
		.amdhsa_exception_fp_ieee_invalid_op 0
		.amdhsa_exception_fp_denorm_src 0
		.amdhsa_exception_fp_ieee_div_zero 0
		.amdhsa_exception_fp_ieee_overflow 0
		.amdhsa_exception_fp_ieee_underflow 0
		.amdhsa_exception_fp_ieee_inexact 0
		.amdhsa_exception_int_div_zero 0
	.end_amdhsa_kernel
	.section	.text._ZN12tensorrt_llm7kernels21fusedQKNormRopeKernelIN3c104HalfENS2_8BFloat16ELi64ELb1EEEvPviiifPKvS7_S7_PKlii,"axG",@progbits,_ZN12tensorrt_llm7kernels21fusedQKNormRopeKernelIN3c104HalfENS2_8BFloat16ELi64ELb1EEEvPviiifPKvS7_S7_PKlii,comdat
.Lfunc_end48:
	.size	_ZN12tensorrt_llm7kernels21fusedQKNormRopeKernelIN3c104HalfENS2_8BFloat16ELi64ELb1EEEvPviiifPKvS7_S7_PKlii, .Lfunc_end48-_ZN12tensorrt_llm7kernels21fusedQKNormRopeKernelIN3c104HalfENS2_8BFloat16ELi64ELb1EEEvPviiifPKvS7_S7_PKlii
                                        ; -- End function
	.section	.AMDGPU.csdata,"",@progbits
; Kernel info:
; codeLenInByte = 908
; NumSgprs: 18
; NumVgprs: 13
; NumAgprs: 0
; TotalNumVgprs: 13
; ScratchSize: 0
; MemoryBound: 0
; FloatMode: 240
; IeeeMode: 1
; LDSByteSize: 0 bytes/workgroup (compile time only)
; SGPRBlocks: 2
; VGPRBlocks: 1
; NumSGPRsForWavesPerEU: 18
; NumVGPRsForWavesPerEU: 13
; AccumOffset: 16
; Occupancy: 8
; WaveLimiterHint : 1
; COMPUTE_PGM_RSRC2:SCRATCH_EN: 0
; COMPUTE_PGM_RSRC2:USER_SGPR: 6
; COMPUTE_PGM_RSRC2:TRAP_HANDLER: 0
; COMPUTE_PGM_RSRC2:TGID_X_EN: 1
; COMPUTE_PGM_RSRC2:TGID_Y_EN: 0
; COMPUTE_PGM_RSRC2:TGID_Z_EN: 0
; COMPUTE_PGM_RSRC2:TIDIG_COMP_CNT: 0
; COMPUTE_PGM_RSRC3_GFX90A:ACCUM_OFFSET: 3
; COMPUTE_PGM_RSRC3_GFX90A:TG_SPLIT: 0
	.section	.text._ZN12tensorrt_llm7kernels21fusedQKNormRopeKernelIN3c104HalfENS2_8BFloat16ELi64ELb0EEEvPviiifPKvS7_S7_PKlii,"axG",@progbits,_ZN12tensorrt_llm7kernels21fusedQKNormRopeKernelIN3c104HalfENS2_8BFloat16ELi64ELb0EEEvPviiifPKvS7_S7_PKlii,comdat
	.protected	_ZN12tensorrt_llm7kernels21fusedQKNormRopeKernelIN3c104HalfENS2_8BFloat16ELi64ELb0EEEvPviiifPKvS7_S7_PKlii ; -- Begin function _ZN12tensorrt_llm7kernels21fusedQKNormRopeKernelIN3c104HalfENS2_8BFloat16ELi64ELb0EEEvPviiifPKvS7_S7_PKlii
	.globl	_ZN12tensorrt_llm7kernels21fusedQKNormRopeKernelIN3c104HalfENS2_8BFloat16ELi64ELb0EEEvPviiifPKvS7_S7_PKlii
	.p2align	8
	.type	_ZN12tensorrt_llm7kernels21fusedQKNormRopeKernelIN3c104HalfENS2_8BFloat16ELi64ELb0EEEvPviiifPKvS7_S7_PKlii,@function
_ZN12tensorrt_llm7kernels21fusedQKNormRopeKernelIN3c104HalfENS2_8BFloat16ELi64ELb0EEEvPviiifPKvS7_S7_PKlii: ; @_ZN12tensorrt_llm7kernels21fusedQKNormRopeKernelIN3c104HalfENS2_8BFloat16ELi64ELb0EEEvPviiifPKvS7_S7_PKlii
; %bb.0:
	s_load_dwordx4 s[8:11], s[4:5], 0x8
	s_load_dwordx2 s[12:13], s[4:5], 0x38
	s_load_dword s1, s[4:5], 0x4c
	v_lshrrev_b32_e32 v2, 5, v0
	s_waitcnt lgkmcnt(0)
	s_add_i32 s0, s9, s8
	s_abs_i32 s2, s0
	v_cvt_f32_u32_e32 v1, s2
	s_bfe_u32 s1, s1, 0xb0005
	s_mul_i32 s6, s6, s1
	s_sub_i32 s1, 0, s2
	v_rcp_iflag_f32_e32 v3, v1
	v_add_u32_e32 v1, s6, v2
	v_sub_u32_e32 v4, 0, v1
	v_max_i32_e32 v4, v1, v4
	v_mul_f32_e32 v3, 0x4f7ffffe, v3
	v_cvt_u32_f32_e32 v3, v3
	v_xor_b32_e32 v2, s0, v1
	v_ashrrev_i32_e32 v2, 31, v2
	v_mul_lo_u32 v5, s1, v3
	v_mul_hi_u32 v5, v3, v5
	v_add_u32_e32 v3, v3, v5
	v_mul_hi_u32 v3, v4, v3
	v_mul_lo_u32 v5, v3, s2
	v_sub_u32_e32 v4, v4, v5
	v_add_u32_e32 v5, 1, v3
	v_cmp_le_u32_e32 vcc, s2, v4
	v_cndmask_b32_e32 v3, v3, v5, vcc
	v_subrev_u32_e32 v5, s2, v4
	v_cndmask_b32_e32 v4, v4, v5, vcc
	v_add_u32_e32 v5, 1, v3
	v_cmp_le_u32_e32 vcc, s2, v4
	v_cndmask_b32_e32 v3, v3, v5, vcc
	v_xor_b32_e32 v3, v3, v2
	v_sub_u32_e32 v2, v3, v2
	v_cmp_gt_i32_e32 vcc, s12, v2
	s_and_saveexec_b64 s[2:3], vcc
	s_cbranch_execz .LBB49_4
; %bb.1:
	v_and_b32_e32 v4, 31, v0
	v_mul_lo_u32 v0, v2, s0
	v_sub_u32_e32 v0, v1, v0
	v_mov_b32_e32 v1, s8
	v_cmp_gt_i32_e32 vcc, s8, v0
	v_cndmask_b32_e64 v1, v1, 0, vcc
	s_add_i32 s0, s0, s10
	s_load_dwordx2 s[2:3], s[4:5], 0x0
	v_sub_u32_e32 v0, v0, v1
	v_mul_lo_u32 v3, v2, s0
	v_add3_u32 v0, v3, v1, v0
	v_lshlrev_b32_e32 v1, 1, v4
	v_lshl_or_b32 v0, v0, 6, v1
	v_ashrrev_i32_e32 v1, 31, v0
	v_lshlrev_b64 v[0:1], 1, v[0:1]
	s_waitcnt lgkmcnt(0)
	v_mov_b32_e32 v3, s3
	v_add_co_u32_e64 v0, s[0:1], s2, v0
	v_addc_co_u32_e64 v1, s[0:1], v3, v1, s[0:1]
	global_load_dword v3, v[0:1], off
	s_load_dwordx8 s[0:7], s[4:5], 0x18
	v_lshlrev_b32_e32 v8, 2, v4
	s_waitcnt lgkmcnt(0)
	v_mov_b32_e32 v5, s3
	v_mov_b32_e32 v6, s1
	;; [unrolled: 1-line block ×4, first 2 shown]
	v_cndmask_b32_e32 v5, v5, v6, vcc
	v_cndmask_b32_e32 v6, v7, v9, vcc
	v_add_co_u32_e32 v6, vcc, v6, v8
	v_addc_co_u32_e32 v7, vcc, 0, v5, vcc
	global_load_dword v9, v[6:7], off
	v_mbcnt_lo_u32_b32 v5, -1, 0
	v_mbcnt_hi_u32_b32 v5, -1, v5
	v_and_b32_e32 v6, 0x60, v5
	v_xor_b32_e32 v7, 16, v5
	v_add_u32_e32 v12, 32, v6
	v_cmp_lt_i32_e32 vcc, v7, v12
	s_mov_b32 s0, 0x800000
	s_lshr_b32 s2, s13, 31
	s_add_i32 s2, s13, s2
	s_mov_b32 s1, 0
	s_waitcnt vmcnt(1)
	v_cvt_f32_f16_e32 v11, v3
	v_cvt_f32_f16_sdwa v10, v3 dst_sel:DWORD dst_unused:UNUSED_PAD src0_sel:WORD_1
	v_cndmask_b32_e32 v3, v5, v7, vcc
	v_lshlrev_b32_e32 v3, 2, v3
	v_pk_mul_f32 v[6:7], v[10:11], v[10:11]
	v_add_f32_e32 v6, v6, v7
	ds_bpermute_b32 v3, v3, v6
	v_xor_b32_e32 v7, 8, v5
	v_cmp_lt_i32_e32 vcc, v7, v12
	v_cndmask_b32_e32 v7, v5, v7, vcc
	v_lshlrev_b32_e32 v7, 2, v7
	s_waitcnt lgkmcnt(0)
	v_add_f32_e32 v3, v6, v3
	ds_bpermute_b32 v6, v7, v3
	v_xor_b32_e32 v7, 4, v5
	v_cmp_lt_i32_e32 vcc, v7, v12
	v_cndmask_b32_e32 v7, v5, v7, vcc
	v_lshlrev_b32_e32 v7, 2, v7
	s_waitcnt lgkmcnt(0)
	;; [unrolled: 7-line block ×4, first 2 shown]
	v_add_f32_e32 v3, v3, v6
	ds_bpermute_b32 v6, v7, v3
	v_mov_b32_e32 v7, s11
	s_waitcnt lgkmcnt(0)
	v_add_f32_e32 v3, v3, v6
	v_fmac_f32_e32 v7, 0x3c800000, v3
	v_mul_f32_e32 v3, 0x4b800000, v7
	v_cmp_gt_f32_e32 vcc, s0, v7
	v_cndmask_b32_e32 v3, v7, v3, vcc
	v_rsq_f32_e32 v3, v3
	s_waitcnt vmcnt(0)
	v_cvt_f32_f16_e32 v6, v9
	v_cvt_f32_f16_sdwa v7, v9 dst_sel:DWORD dst_unused:UNUSED_PAD src0_sel:WORD_1
	s_ashr_i32 s0, s2, 1
	v_mul_f32_e32 v9, 0x45800000, v3
	v_cndmask_b32_e32 v3, v3, v9, vcc
	v_mul_f32_e32 v6, v3, v6
	v_mul_f32_e32 v3, v3, v7
	;; [unrolled: 1-line block ×4, first 2 shown]
	v_cmp_gt_i32_e32 vcc, s0, v4
	s_and_saveexec_b64 s[2:3], vcc
	s_cbranch_execz .LBB49_3
; %bb.2:
	v_ashrrev_i32_e32 v3, 31, v2
	v_lshlrev_b64 v[2:3], 3, v[2:3]
	v_mov_b32_e32 v9, s7
	v_add_co_u32_e32 v2, vcc, s6, v2
	v_addc_co_u32_e32 v3, vcc, v9, v3, vcc
	global_load_dwordx2 v[2:3], v[2:3], off
	s_abs_i32 s8, s13
	v_cvt_f32_u32_e32 v9, s8
	s_lshl_b64 s[6:7], s[0:1], 1
	s_sub_i32 s1, 0, s8
	v_or_b32_e32 v11, 2, v8
	v_rcp_iflag_f32_e32 v9, v9
	s_ashr_i32 s9, s13, 31
	v_mov_b32_e32 v10, s5
	v_mov_b32_e32 v12, s7
	v_mul_f32_e32 v9, 0x4f7ffffe, v9
	v_cvt_u32_f32_e32 v9, v9
	; wave barrier
	s_lshr_b32 s0, s0, 1
	v_mul_lo_u32 v13, s1, v9
	v_mul_hi_u32 v13, v9, v13
	v_add_u32_e32 v9, v9, v13
	v_mul_hi_u32 v13, v8, v9
	v_mul_hi_u32 v9, v11, v9
	v_mul_lo_u32 v13, v13, s8
	v_mul_lo_u32 v9, v9, s8
	v_sub_u32_e32 v8, v8, v13
	v_sub_u32_e32 v9, v11, v9
	v_subrev_u32_e32 v11, s8, v8
	v_cmp_le_u32_e32 vcc, s8, v8
	v_subrev_u32_e32 v13, s8, v9
	v_cndmask_b32_e32 v8, v8, v11, vcc
	v_cmp_le_u32_e32 vcc, s8, v9
	v_cndmask_b32_e32 v9, v9, v13, vcc
	v_subrev_u32_e32 v11, s8, v8
	v_cmp_le_u32_e32 vcc, s8, v8
	v_subrev_u32_e32 v13, s8, v9
	v_cndmask_b32_e32 v8, v8, v11, vcc
	v_cmp_le_u32_e32 vcc, s8, v9
	v_cndmask_b32_e32 v9, v9, v13, vcc
	v_and_b32_e32 v11, -2, v8
	v_and_b32_e32 v13, -2, v9
	s_waitcnt vmcnt(0)
	v_mul_lo_u32 v8, v3, s13
	v_mul_lo_u32 v9, v2, s9
	v_mad_u64_u32 v[2:3], s[8:9], v2, s13, 0
	v_add3_u32 v3, v3, v9, v8
	v_lshlrev_b64 v[2:3], 1, v[2:3]
	v_add_co_u32_e32 v8, vcc, s4, v2
	v_addc_co_u32_e32 v9, vcc, v10, v3, vcc
	v_add_co_u32_e32 v14, vcc, s6, v8
	v_addc_co_u32_e32 v15, vcc, v9, v12, vcc
	;; [unrolled: 2-line block ×6, first 2 shown]
	global_load_ushort v14, v[2:3], off
	global_load_ushort v15, v[10:11], off
	;; [unrolled: 1-line block ×4, first 2 shown]
	v_and_b32_e32 v2, 64, v5
	v_xor_b32_e32 v3, s0, v5
	v_add_u32_e32 v2, 64, v2
	v_cmp_lt_i32_e32 vcc, v3, v2
	v_cndmask_b32_e32 v2, v5, v3, vcc
	v_lshlrev_b32_e32 v2, 2, v2
	ds_bpermute_b32 v3, v2, v6
	ds_bpermute_b32 v2, v2, v7
	v_cmp_gt_u32_e32 vcc, s0, v4
	; wave barrier
	s_waitcnt lgkmcnt(1)
	v_cndmask_b32_e64 v3, v3, -v3, vcc
	s_waitcnt lgkmcnt(0)
	v_cndmask_b32_e64 v2, v2, -v2, vcc
	s_waitcnt vmcnt(3)
	v_lshlrev_b32_e32 v4, 16, v14
	s_waitcnt vmcnt(2)
	v_lshlrev_b32_e32 v5, 16, v15
	;; [unrolled: 2-line block ×4, first 2 shown]
	v_mul_f32_e32 v3, v3, v5
	v_mul_f32_e32 v2, v2, v9
	v_fmac_f32_e32 v3, v6, v4
	v_fmac_f32_e32 v2, v7, v8
	v_mov_b32_e32 v6, v3
	v_mov_b32_e32 v7, v2
.LBB49_3:
	s_or_b64 exec, exec, s[2:3]
	v_cvt_f16_f32_e32 v2, v6
	v_cvt_f16_f32_e32 v3, v7
	v_pack_b32_f16 v2, v2, v3
	global_store_dword v[0:1], v2, off
.LBB49_4:
	s_endpgm
	.section	.rodata,"a",@progbits
	.p2align	6, 0x0
	.amdhsa_kernel _ZN12tensorrt_llm7kernels21fusedQKNormRopeKernelIN3c104HalfENS2_8BFloat16ELi64ELb0EEEvPviiifPKvS7_S7_PKlii
		.amdhsa_group_segment_fixed_size 0
		.amdhsa_private_segment_fixed_size 0
		.amdhsa_kernarg_size 320
		.amdhsa_user_sgpr_count 6
		.amdhsa_user_sgpr_private_segment_buffer 1
		.amdhsa_user_sgpr_dispatch_ptr 0
		.amdhsa_user_sgpr_queue_ptr 0
		.amdhsa_user_sgpr_kernarg_segment_ptr 1
		.amdhsa_user_sgpr_dispatch_id 0
		.amdhsa_user_sgpr_flat_scratch_init 0
		.amdhsa_user_sgpr_kernarg_preload_length 0
		.amdhsa_user_sgpr_kernarg_preload_offset 0
		.amdhsa_user_sgpr_private_segment_size 0
		.amdhsa_uses_dynamic_stack 0
		.amdhsa_system_sgpr_private_segment_wavefront_offset 0
		.amdhsa_system_sgpr_workgroup_id_x 1
		.amdhsa_system_sgpr_workgroup_id_y 0
		.amdhsa_system_sgpr_workgroup_id_z 0
		.amdhsa_system_sgpr_workgroup_info 0
		.amdhsa_system_vgpr_workitem_id 0
		.amdhsa_next_free_vgpr 18
		.amdhsa_next_free_sgpr 14
		.amdhsa_accum_offset 20
		.amdhsa_reserve_vcc 1
		.amdhsa_reserve_flat_scratch 0
		.amdhsa_float_round_mode_32 0
		.amdhsa_float_round_mode_16_64 0
		.amdhsa_float_denorm_mode_32 3
		.amdhsa_float_denorm_mode_16_64 3
		.amdhsa_dx10_clamp 1
		.amdhsa_ieee_mode 1
		.amdhsa_fp16_overflow 0
		.amdhsa_tg_split 0
		.amdhsa_exception_fp_ieee_invalid_op 0
		.amdhsa_exception_fp_denorm_src 0
		.amdhsa_exception_fp_ieee_div_zero 0
		.amdhsa_exception_fp_ieee_overflow 0
		.amdhsa_exception_fp_ieee_underflow 0
		.amdhsa_exception_fp_ieee_inexact 0
		.amdhsa_exception_int_div_zero 0
	.end_amdhsa_kernel
	.section	.text._ZN12tensorrt_llm7kernels21fusedQKNormRopeKernelIN3c104HalfENS2_8BFloat16ELi64ELb0EEEvPviiifPKvS7_S7_PKlii,"axG",@progbits,_ZN12tensorrt_llm7kernels21fusedQKNormRopeKernelIN3c104HalfENS2_8BFloat16ELi64ELb0EEEvPviiifPKvS7_S7_PKlii,comdat
.Lfunc_end49:
	.size	_ZN12tensorrt_llm7kernels21fusedQKNormRopeKernelIN3c104HalfENS2_8BFloat16ELi64ELb0EEEvPviiifPKvS7_S7_PKlii, .Lfunc_end49-_ZN12tensorrt_llm7kernels21fusedQKNormRopeKernelIN3c104HalfENS2_8BFloat16ELi64ELb0EEEvPviiifPKvS7_S7_PKlii
                                        ; -- End function
	.section	.AMDGPU.csdata,"",@progbits
; Kernel info:
; codeLenInByte = 1172
; NumSgprs: 18
; NumVgprs: 18
; NumAgprs: 0
; TotalNumVgprs: 18
; ScratchSize: 0
; MemoryBound: 0
; FloatMode: 240
; IeeeMode: 1
; LDSByteSize: 0 bytes/workgroup (compile time only)
; SGPRBlocks: 2
; VGPRBlocks: 2
; NumSGPRsForWavesPerEU: 18
; NumVGPRsForWavesPerEU: 18
; AccumOffset: 20
; Occupancy: 8
; WaveLimiterHint : 1
; COMPUTE_PGM_RSRC2:SCRATCH_EN: 0
; COMPUTE_PGM_RSRC2:USER_SGPR: 6
; COMPUTE_PGM_RSRC2:TRAP_HANDLER: 0
; COMPUTE_PGM_RSRC2:TGID_X_EN: 1
; COMPUTE_PGM_RSRC2:TGID_Y_EN: 0
; COMPUTE_PGM_RSRC2:TGID_Z_EN: 0
; COMPUTE_PGM_RSRC2:TIDIG_COMP_CNT: 0
; COMPUTE_PGM_RSRC3_GFX90A:ACCUM_OFFSET: 4
; COMPUTE_PGM_RSRC3_GFX90A:TG_SPLIT: 0
	.section	.text._ZN12tensorrt_llm7kernels21fusedQKNormRopeKernelIN3c104HalfENS2_8BFloat16ELi128ELb1EEEvPviiifPKvS7_S7_PKlii,"axG",@progbits,_ZN12tensorrt_llm7kernels21fusedQKNormRopeKernelIN3c104HalfENS2_8BFloat16ELi128ELb1EEEvPviiifPKvS7_S7_PKlii,comdat
	.protected	_ZN12tensorrt_llm7kernels21fusedQKNormRopeKernelIN3c104HalfENS2_8BFloat16ELi128ELb1EEEvPviiifPKvS7_S7_PKlii ; -- Begin function _ZN12tensorrt_llm7kernels21fusedQKNormRopeKernelIN3c104HalfENS2_8BFloat16ELi128ELb1EEEvPviiifPKvS7_S7_PKlii
	.globl	_ZN12tensorrt_llm7kernels21fusedQKNormRopeKernelIN3c104HalfENS2_8BFloat16ELi128ELb1EEEvPviiifPKvS7_S7_PKlii
	.p2align	8
	.type	_ZN12tensorrt_llm7kernels21fusedQKNormRopeKernelIN3c104HalfENS2_8BFloat16ELi128ELb1EEEvPviiifPKvS7_S7_PKlii,@function
_ZN12tensorrt_llm7kernels21fusedQKNormRopeKernelIN3c104HalfENS2_8BFloat16ELi128ELb1EEEvPviiifPKvS7_S7_PKlii: ; @_ZN12tensorrt_llm7kernels21fusedQKNormRopeKernelIN3c104HalfENS2_8BFloat16ELi128ELb1EEEvPviiifPKvS7_S7_PKlii
; %bb.0:
	s_load_dwordx4 s[8:11], s[4:5], 0x8
	s_load_dwordx2 s[12:13], s[4:5], 0x38
	s_load_dword s1, s[4:5], 0x4c
	v_lshrrev_b32_e32 v2, 5, v0
	s_waitcnt lgkmcnt(0)
	s_add_i32 s0, s9, s8
	s_abs_i32 s2, s0
	v_cvt_f32_u32_e32 v1, s2
	s_bfe_u32 s1, s1, 0xb0005
	s_mul_i32 s6, s6, s1
	s_sub_i32 s1, 0, s2
	v_rcp_iflag_f32_e32 v3, v1
	v_add_u32_e32 v1, s6, v2
	v_sub_u32_e32 v4, 0, v1
	v_max_i32_e32 v4, v1, v4
	v_mul_f32_e32 v3, 0x4f7ffffe, v3
	v_cvt_u32_f32_e32 v3, v3
	v_xor_b32_e32 v2, s0, v1
	v_ashrrev_i32_e32 v2, 31, v2
	v_mul_lo_u32 v5, s1, v3
	v_mul_hi_u32 v5, v3, v5
	v_add_u32_e32 v3, v3, v5
	v_mul_hi_u32 v3, v4, v3
	v_mul_lo_u32 v5, v3, s2
	v_sub_u32_e32 v4, v4, v5
	v_add_u32_e32 v5, 1, v3
	v_cmp_le_u32_e32 vcc, s2, v4
	v_cndmask_b32_e32 v3, v3, v5, vcc
	v_subrev_u32_e32 v5, s2, v4
	v_cndmask_b32_e32 v4, v4, v5, vcc
	v_add_u32_e32 v5, 1, v3
	v_cmp_le_u32_e32 vcc, s2, v4
	v_cndmask_b32_e32 v3, v3, v5, vcc
	v_xor_b32_e32 v3, v3, v2
	v_sub_u32_e32 v2, v3, v2
	v_cmp_gt_i32_e32 vcc, s12, v2
	s_and_saveexec_b64 s[2:3], vcc
	s_cbranch_execz .LBB50_4
; %bb.1:
	v_and_b32_e32 v3, 31, v0
	v_mul_lo_u32 v0, v2, s0
	v_sub_u32_e32 v0, v1, v0
	v_mov_b32_e32 v1, s8
	v_cmp_gt_i32_e32 vcc, s8, v0
	v_cndmask_b32_e64 v1, v1, 0, vcc
	s_add_i32 s0, s0, s10
	s_load_dwordx2 s[2:3], s[4:5], 0x0
	v_sub_u32_e32 v0, v0, v1
	v_mul_lo_u32 v4, v2, s0
	v_add3_u32 v0, v4, v1, v0
	v_lshlrev_b32_e32 v8, 2, v3
	v_lshl_or_b32 v0, v0, 7, v8
	v_ashrrev_i32_e32 v1, 31, v0
	v_lshlrev_b64 v[0:1], 1, v[0:1]
	s_waitcnt lgkmcnt(0)
	v_mov_b32_e32 v4, s3
	v_add_co_u32_e64 v0, s[0:1], s2, v0
	v_addc_co_u32_e64 v1, s[0:1], v4, v1, s[0:1]
	global_load_dwordx2 v[4:5], v[0:1], off
	s_load_dwordx8 s[0:7], s[4:5], 0x18
	v_lshlrev_b32_e32 v6, 3, v3
	v_mov_b32_e32 v16, s11
	s_waitcnt lgkmcnt(0)
	v_mov_b32_e32 v7, s3
	v_mov_b32_e32 v9, s1
	v_mov_b32_e32 v10, s2
	v_mov_b32_e32 v11, s0
	v_cndmask_b32_e32 v7, v7, v9, vcc
	v_cndmask_b32_e32 v9, v10, v11, vcc
	v_add_co_u32_e32 v6, vcc, v9, v6
	v_addc_co_u32_e32 v7, vcc, 0, v7, vcc
	global_load_dwordx2 v[6:7], v[6:7], off
	v_mbcnt_lo_u32_b32 v9, -1, 0
	v_mbcnt_hi_u32_b32 v9, -1, v9
	v_and_b32_e32 v10, 0x60, v9
	v_add_u32_e32 v17, 32, v10
	v_xor_b32_e32 v14, 16, v9
	v_cmp_lt_i32_e32 vcc, v14, v17
	s_mov_b32 s0, 0x800000
	s_ashr_i32 s2, s13, 31
	s_lshr_b32 s1, s2, 30
	s_add_i32 s1, s13, s1
	s_ashr_i32 s1, s1, 2
	s_waitcnt vmcnt(1)
	v_cvt_f32_f16_e32 v12, v4
	v_cvt_f32_f16_sdwa v13, v4 dst_sel:DWORD dst_unused:UNUSED_PAD src0_sel:WORD_1
	v_cvt_f32_f16_e32 v10, v5
	v_cvt_f32_f16_sdwa v11, v5 dst_sel:DWORD dst_unused:UNUSED_PAD src0_sel:WORD_1
	v_cndmask_b32_e32 v4, v9, v14, vcc
	v_pk_mul_f32 v[14:15], v[12:13], v[12:13]
	v_lshlrev_b32_e32 v18, 2, v4
	v_pk_mul_f32 v[4:5], v[10:11], v[10:11]
	v_add_f32_e32 v14, v14, v15
	v_add_f32_e32 v4, v14, v4
	;; [unrolled: 1-line block ×3, first 2 shown]
	ds_bpermute_b32 v5, v18, v4
	v_xor_b32_e32 v14, 8, v9
	v_cmp_lt_i32_e32 vcc, v14, v17
	v_cndmask_b32_e32 v14, v9, v14, vcc
	v_lshlrev_b32_e32 v14, 2, v14
	s_waitcnt lgkmcnt(0)
	v_add_f32_e32 v4, v4, v5
	ds_bpermute_b32 v5, v14, v4
	v_xor_b32_e32 v14, 4, v9
	v_cmp_lt_i32_e32 vcc, v14, v17
	v_cndmask_b32_e32 v14, v9, v14, vcc
	v_lshlrev_b32_e32 v14, 2, v14
	s_waitcnt lgkmcnt(0)
	v_add_f32_e32 v4, v4, v5
	;; [unrolled: 7-line block ×4, first 2 shown]
	ds_bpermute_b32 v9, v9, v5
	s_waitcnt vmcnt(0)
	v_cvt_f32_f16_e32 v4, v6
	s_waitcnt lgkmcnt(0)
	v_add_f32_e32 v5, v5, v9
	v_fmac_f32_e32 v16, 0x3c000000, v5
	v_mul_f32_e32 v5, 0x4b800000, v16
	v_cmp_gt_f32_e32 vcc, s0, v16
	v_cndmask_b32_e32 v5, v16, v5, vcc
	v_rsq_f32_e32 v9, v5
	v_cvt_f32_f16_sdwa v5, v6 dst_sel:DWORD dst_unused:UNUSED_PAD src0_sel:WORD_1
	v_cvt_f32_f16_e32 v6, v7
	v_cvt_f32_f16_sdwa v7, v7 dst_sel:DWORD dst_unused:UNUSED_PAD src0_sel:WORD_1
	v_mul_f32_e32 v14, 0x45800000, v9
	v_cndmask_b32_e32 v14, v9, v14, vcc
	v_pk_mul_f32 v[4:5], v[14:15], v[4:5] op_sel_hi:[0,1]
	v_pk_mul_f32 v[6:7], v[14:15], v[6:7] op_sel_hi:[0,1]
	v_pk_mul_f32 v[4:5], v[4:5], v[12:13]
	v_pk_mul_f32 v[6:7], v[6:7], v[10:11]
	v_cmp_gt_i32_e32 vcc, s1, v3
	s_and_saveexec_b64 s[0:1], vcc
	s_cbranch_execz .LBB50_3
; %bb.2:
	v_ashrrev_i32_e32 v3, 31, v2
	v_lshlrev_b64 v[2:3], 3, v[2:3]
	v_mov_b32_e32 v9, s7
	v_add_co_u32_e32 v2, vcc, s6, v2
	v_addc_co_u32_e32 v3, vcc, v9, v3, vcc
	global_load_dwordx2 v[2:3], v[2:3], off
	s_lshr_b32 s3, s13, 31
	s_add_i32 s3, s13, s3
	s_ashr_i32 s6, s3, 1
	v_mov_b32_e32 v9, s5
	s_ashr_i32 s7, s6, 31
	s_lshl_b64 s[6:7], s[6:7], 1
	v_mov_b32_e32 v10, s7
	s_waitcnt vmcnt(0)
	v_mul_lo_u32 v11, v3, s13
	v_mul_lo_u32 v12, v2, s2
	v_mad_u64_u32 v[2:3], s[2:3], v2, s13, 0
	v_add3_u32 v3, v3, v12, v11
	v_lshlrev_b64 v[2:3], 1, v[2:3]
	v_add_co_u32_e32 v2, vcc, s4, v2
	v_addc_co_u32_e32 v3, vcc, v9, v3, vcc
	v_add_co_u32_e32 v2, vcc, v2, v8
	v_addc_co_u32_e32 v3, vcc, 0, v3, vcc
	global_load_dword v9, v[2:3], off
	v_add_co_u32_e32 v2, vcc, s6, v2
	v_addc_co_u32_e32 v3, vcc, v3, v10, vcc
	global_load_dword v3, v[2:3], off
	v_mov_b32_e32 v2, v7
	s_waitcnt vmcnt(1)
	v_lshlrev_b32_e32 v8, 16, v9
	v_and_b32_e32 v11, 0xffff0000, v9
	v_pk_mul_f32 v[14:15], v[4:5], v[8:9] op_sel_hi:[1,0]
	v_mov_b32_e32 v16, v11
	s_waitcnt vmcnt(0)
	v_lshlrev_b32_e32 v12, 16, v3
	v_and_b32_e32 v10, 0xffff0000, v3
	v_pk_mul_f32 v[12:13], v[4:5], v[12:13] op_sel_hi:[1,0]
	v_pk_mul_f32 v[18:19], v[6:7], v[10:11]
	v_pk_fma_f32 v[4:5], v[4:5], v[8:9], v[12:13] op_sel:[0,0,1] op_sel_hi:[1,0,0]
	v_pk_mul_f32 v[2:3], v[2:3], v[10:11]
	v_mov_b32_e32 v4, v19
	v_pk_fma_f32 v[2:3], v[6:7], v[16:17], v[2:3] op_sel_hi:[1,0,1] neg_lo:[0,0,1] neg_hi:[0,0,1]
	v_pk_fma_f32 v[8:9], v[6:7], v[10:11], v[4:5]
	v_sub_f32_e32 v4, v14, v13
	v_mov_b32_e32 v6, v2
	v_mov_b32_e32 v7, v8
.LBB50_3:
	s_or_b64 exec, exec, s[0:1]
	v_cvt_f16_f32_e32 v2, v4
	v_cvt_f16_f32_e32 v3, v6
	;; [unrolled: 1-line block ×4, first 2 shown]
	v_pack_b32_f16 v3, v3, v4
	v_pack_b32_f16 v2, v2, v5
	global_store_dwordx2 v[0:1], v[2:3], off
.LBB50_4:
	s_endpgm
	.section	.rodata,"a",@progbits
	.p2align	6, 0x0
	.amdhsa_kernel _ZN12tensorrt_llm7kernels21fusedQKNormRopeKernelIN3c104HalfENS2_8BFloat16ELi128ELb1EEEvPviiifPKvS7_S7_PKlii
		.amdhsa_group_segment_fixed_size 0
		.amdhsa_private_segment_fixed_size 0
		.amdhsa_kernarg_size 320
		.amdhsa_user_sgpr_count 6
		.amdhsa_user_sgpr_private_segment_buffer 1
		.amdhsa_user_sgpr_dispatch_ptr 0
		.amdhsa_user_sgpr_queue_ptr 0
		.amdhsa_user_sgpr_kernarg_segment_ptr 1
		.amdhsa_user_sgpr_dispatch_id 0
		.amdhsa_user_sgpr_flat_scratch_init 0
		.amdhsa_user_sgpr_kernarg_preload_length 0
		.amdhsa_user_sgpr_kernarg_preload_offset 0
		.amdhsa_user_sgpr_private_segment_size 0
		.amdhsa_uses_dynamic_stack 0
		.amdhsa_system_sgpr_private_segment_wavefront_offset 0
		.amdhsa_system_sgpr_workgroup_id_x 1
		.amdhsa_system_sgpr_workgroup_id_y 0
		.amdhsa_system_sgpr_workgroup_id_z 0
		.amdhsa_system_sgpr_workgroup_info 0
		.amdhsa_system_vgpr_workitem_id 0
		.amdhsa_next_free_vgpr 20
		.amdhsa_next_free_sgpr 14
		.amdhsa_accum_offset 20
		.amdhsa_reserve_vcc 1
		.amdhsa_reserve_flat_scratch 0
		.amdhsa_float_round_mode_32 0
		.amdhsa_float_round_mode_16_64 0
		.amdhsa_float_denorm_mode_32 3
		.amdhsa_float_denorm_mode_16_64 3
		.amdhsa_dx10_clamp 1
		.amdhsa_ieee_mode 1
		.amdhsa_fp16_overflow 0
		.amdhsa_tg_split 0
		.amdhsa_exception_fp_ieee_invalid_op 0
		.amdhsa_exception_fp_denorm_src 0
		.amdhsa_exception_fp_ieee_div_zero 0
		.amdhsa_exception_fp_ieee_overflow 0
		.amdhsa_exception_fp_ieee_underflow 0
		.amdhsa_exception_fp_ieee_inexact 0
		.amdhsa_exception_int_div_zero 0
	.end_amdhsa_kernel
	.section	.text._ZN12tensorrt_llm7kernels21fusedQKNormRopeKernelIN3c104HalfENS2_8BFloat16ELi128ELb1EEEvPviiifPKvS7_S7_PKlii,"axG",@progbits,_ZN12tensorrt_llm7kernels21fusedQKNormRopeKernelIN3c104HalfENS2_8BFloat16ELi128ELb1EEEvPviiifPKvS7_S7_PKlii,comdat
.Lfunc_end50:
	.size	_ZN12tensorrt_llm7kernels21fusedQKNormRopeKernelIN3c104HalfENS2_8BFloat16ELi128ELb1EEEvPviiifPKvS7_S7_PKlii, .Lfunc_end50-_ZN12tensorrt_llm7kernels21fusedQKNormRopeKernelIN3c104HalfENS2_8BFloat16ELi128ELb1EEEvPviiifPKvS7_S7_PKlii
                                        ; -- End function
	.section	.AMDGPU.csdata,"",@progbits
; Kernel info:
; codeLenInByte = 1052
; NumSgprs: 18
; NumVgprs: 20
; NumAgprs: 0
; TotalNumVgprs: 20
; ScratchSize: 0
; MemoryBound: 0
; FloatMode: 240
; IeeeMode: 1
; LDSByteSize: 0 bytes/workgroup (compile time only)
; SGPRBlocks: 2
; VGPRBlocks: 2
; NumSGPRsForWavesPerEU: 18
; NumVGPRsForWavesPerEU: 20
; AccumOffset: 20
; Occupancy: 8
; WaveLimiterHint : 1
; COMPUTE_PGM_RSRC2:SCRATCH_EN: 0
; COMPUTE_PGM_RSRC2:USER_SGPR: 6
; COMPUTE_PGM_RSRC2:TRAP_HANDLER: 0
; COMPUTE_PGM_RSRC2:TGID_X_EN: 1
; COMPUTE_PGM_RSRC2:TGID_Y_EN: 0
; COMPUTE_PGM_RSRC2:TGID_Z_EN: 0
; COMPUTE_PGM_RSRC2:TIDIG_COMP_CNT: 0
; COMPUTE_PGM_RSRC3_GFX90A:ACCUM_OFFSET: 4
; COMPUTE_PGM_RSRC3_GFX90A:TG_SPLIT: 0
	.section	.text._ZN12tensorrt_llm7kernels21fusedQKNormRopeKernelIN3c104HalfENS2_8BFloat16ELi128ELb0EEEvPviiifPKvS7_S7_PKlii,"axG",@progbits,_ZN12tensorrt_llm7kernels21fusedQKNormRopeKernelIN3c104HalfENS2_8BFloat16ELi128ELb0EEEvPviiifPKvS7_S7_PKlii,comdat
	.protected	_ZN12tensorrt_llm7kernels21fusedQKNormRopeKernelIN3c104HalfENS2_8BFloat16ELi128ELb0EEEvPviiifPKvS7_S7_PKlii ; -- Begin function _ZN12tensorrt_llm7kernels21fusedQKNormRopeKernelIN3c104HalfENS2_8BFloat16ELi128ELb0EEEvPviiifPKvS7_S7_PKlii
	.globl	_ZN12tensorrt_llm7kernels21fusedQKNormRopeKernelIN3c104HalfENS2_8BFloat16ELi128ELb0EEEvPviiifPKvS7_S7_PKlii
	.p2align	8
	.type	_ZN12tensorrt_llm7kernels21fusedQKNormRopeKernelIN3c104HalfENS2_8BFloat16ELi128ELb0EEEvPviiifPKvS7_S7_PKlii,@function
_ZN12tensorrt_llm7kernels21fusedQKNormRopeKernelIN3c104HalfENS2_8BFloat16ELi128ELb0EEEvPviiifPKvS7_S7_PKlii: ; @_ZN12tensorrt_llm7kernels21fusedQKNormRopeKernelIN3c104HalfENS2_8BFloat16ELi128ELb0EEEvPviiifPKvS7_S7_PKlii
; %bb.0:
	s_load_dwordx4 s[8:11], s[4:5], 0x8
	s_load_dwordx2 s[12:13], s[4:5], 0x38
	s_load_dword s1, s[4:5], 0x4c
	v_lshrrev_b32_e32 v2, 5, v0
	s_waitcnt lgkmcnt(0)
	s_add_i32 s0, s9, s8
	s_abs_i32 s2, s0
	v_cvt_f32_u32_e32 v1, s2
	s_bfe_u32 s1, s1, 0xb0005
	s_mul_i32 s6, s6, s1
	s_sub_i32 s1, 0, s2
	v_rcp_iflag_f32_e32 v3, v1
	v_add_u32_e32 v1, s6, v2
	v_sub_u32_e32 v4, 0, v1
	v_max_i32_e32 v4, v1, v4
	v_mul_f32_e32 v3, 0x4f7ffffe, v3
	v_cvt_u32_f32_e32 v3, v3
	v_xor_b32_e32 v2, s0, v1
	v_ashrrev_i32_e32 v2, 31, v2
	v_mul_lo_u32 v5, s1, v3
	v_mul_hi_u32 v5, v3, v5
	v_add_u32_e32 v3, v3, v5
	v_mul_hi_u32 v3, v4, v3
	v_mul_lo_u32 v5, v3, s2
	v_sub_u32_e32 v4, v4, v5
	v_add_u32_e32 v5, 1, v3
	v_cmp_le_u32_e32 vcc, s2, v4
	v_cndmask_b32_e32 v3, v3, v5, vcc
	v_subrev_u32_e32 v5, s2, v4
	v_cndmask_b32_e32 v4, v4, v5, vcc
	v_add_u32_e32 v5, 1, v3
	v_cmp_le_u32_e32 vcc, s2, v4
	v_cndmask_b32_e32 v3, v3, v5, vcc
	v_xor_b32_e32 v3, v3, v2
	v_sub_u32_e32 v2, v3, v2
	v_cmp_gt_i32_e32 vcc, s12, v2
	s_and_saveexec_b64 s[2:3], vcc
	s_cbranch_execz .LBB51_4
; %bb.1:
	v_and_b32_e32 v6, 31, v0
	v_mul_lo_u32 v0, v2, s0
	v_sub_u32_e32 v0, v1, v0
	v_mov_b32_e32 v1, s8
	v_cmp_gt_i32_e32 vcc, s8, v0
	v_cndmask_b32_e64 v1, v1, 0, vcc
	s_add_i32 s0, s0, s10
	s_load_dwordx2 s[2:3], s[4:5], 0x0
	v_sub_u32_e32 v0, v0, v1
	v_mul_lo_u32 v3, v2, s0
	v_add3_u32 v0, v3, v1, v0
	v_lshlrev_b32_e32 v1, 2, v6
	v_lshl_or_b32 v0, v0, 7, v1
	v_ashrrev_i32_e32 v1, 31, v0
	v_lshlrev_b64 v[0:1], 1, v[0:1]
	s_waitcnt lgkmcnt(0)
	v_mov_b32_e32 v3, s3
	v_add_co_u32_e64 v0, s[0:1], s2, v0
	v_addc_co_u32_e64 v1, s[0:1], v3, v1, s[0:1]
	global_load_dwordx2 v[4:5], v[0:1], off
	s_load_dwordx8 s[0:7], s[4:5], 0x18
	v_lshlrev_b32_e32 v8, 3, v6
	s_waitcnt lgkmcnt(0)
	v_mov_b32_e32 v3, s3
	v_mov_b32_e32 v7, s1
	;; [unrolled: 1-line block ×4, first 2 shown]
	v_cndmask_b32_e32 v3, v3, v7, vcc
	v_cndmask_b32_e32 v7, v9, v10, vcc
	v_add_co_u32_e32 v10, vcc, v7, v8
	v_addc_co_u32_e32 v11, vcc, 0, v3, vcc
	global_load_dwordx2 v[10:11], v[10:11], off
	v_mbcnt_lo_u32_b32 v3, -1, 0
	v_mbcnt_hi_u32_b32 v7, -1, v3
	v_and_b32_e32 v3, 0x60, v7
	v_xor_b32_e32 v12, 16, v7
	v_add_u32_e32 v3, 32, v3
	v_cmp_lt_i32_e32 vcc, v12, v3
	v_cndmask_b32_e32 v12, v7, v12, vcc
	v_lshlrev_b32_e32 v12, 2, v12
	v_xor_b32_e32 v13, 8, v7
	v_cmp_lt_i32_e32 vcc, v13, v3
	v_cndmask_b32_e32 v13, v7, v13, vcc
	v_lshlrev_b32_e32 v13, 2, v13
	v_xor_b32_e32 v14, 4, v7
	;; [unrolled: 4-line block ×3, first 2 shown]
	v_cmp_lt_i32_e32 vcc, v17, v3
	v_mov_b32_e32 v9, s11
	s_mov_b32 s0, 0x800000
	s_ashr_i32 s2, s13, 31
	s_lshr_b32 s1, s2, 30
	s_add_i32 s1, s13, s1
	s_ashr_i32 s1, s1, 2
	s_waitcnt vmcnt(1)
	v_cvt_f32_f16_sdwa v15, v4 dst_sel:DWORD dst_unused:UNUSED_PAD src0_sel:WORD_1
	v_mul_f32_e32 v16, v15, v15
	v_fma_mix_f32 v16, v4, v4, v16 op_sel_hi:[1,1,0]
	v_fma_mix_f32 v16, v5, v5, v16 op_sel_hi:[1,1,0]
	v_fma_mix_f32 v16, v5, v5, v16 op_sel:[1,1,0] op_sel_hi:[1,1,0]
	ds_bpermute_b32 v12, v12, v16
	v_cvt_f32_f16_e32 v4, v4
	s_waitcnt lgkmcnt(0)
	v_add_f32_e32 v12, v16, v12
	ds_bpermute_b32 v13, v13, v12
	v_xor_b32_e32 v16, 1, v7
	s_waitcnt lgkmcnt(0)
	v_add_f32_e32 v12, v12, v13
	ds_bpermute_b32 v13, v14, v12
	v_cndmask_b32_e32 v14, v7, v17, vcc
	v_lshlrev_b32_e32 v14, 2, v14
	v_cmp_lt_i32_e32 vcc, v16, v3
	v_cndmask_b32_e32 v3, v7, v16, vcc
	s_waitcnt lgkmcnt(0)
	v_add_f32_e32 v12, v12, v13
	ds_bpermute_b32 v13, v14, v12
	v_lshlrev_b32_e32 v3, 2, v3
	s_waitcnt vmcnt(0)
	v_cvt_f32_f16_e32 v14, v11
	v_cvt_f32_f16_sdwa v11, v11 dst_sel:DWORD dst_unused:UNUSED_PAD src0_sel:WORD_1
	s_waitcnt lgkmcnt(0)
	v_add_f32_e32 v12, v12, v13
	ds_bpermute_b32 v3, v3, v12
	v_cvt_f32_f16_e32 v13, v10
	v_cvt_f32_f16_sdwa v10, v10 dst_sel:DWORD dst_unused:UNUSED_PAD src0_sel:WORD_1
	s_waitcnt lgkmcnt(0)
	v_add_f32_e32 v3, v12, v3
	v_fmac_f32_e32 v9, 0x3c000000, v3
	v_mul_f32_e32 v3, 0x4b800000, v9
	v_cmp_gt_f32_e32 vcc, s0, v9
	v_cndmask_b32_e32 v3, v9, v3, vcc
	v_rsq_f32_e32 v3, v3
	v_cvt_f32_f16_e32 v9, v5
	v_cvt_f32_f16_sdwa v12, v5 dst_sel:DWORD dst_unused:UNUSED_PAD src0_sel:WORD_1
	v_mul_f32_e32 v5, 0x45800000, v3
	v_cndmask_b32_e32 v3, v3, v5, vcc
	v_mul_f32_e32 v5, v3, v13
	v_mul_f32_e32 v10, v3, v10
	;; [unrolled: 1-line block ×8, first 2 shown]
	v_cmp_gt_i32_e32 vcc, s1, v6
	s_and_saveexec_b64 s[0:1], vcc
	s_cbranch_execz .LBB51_3
; %bb.2:
	v_ashrrev_i32_e32 v3, 31, v2
	v_lshlrev_b64 v[2:3], 3, v[2:3]
	v_mov_b32_e32 v11, s7
	v_add_co_u32_e32 v2, vcc, s6, v2
	v_addc_co_u32_e32 v3, vcc, v11, v3, vcc
	global_load_dwordx2 v[2:3], v[2:3], off
	v_mov_b32_e32 v11, s5
	s_abs_i32 s5, s13
	v_cvt_f32_u32_e32 v13, s5
	s_sub_i32 s8, 0, s5
	v_or_b32_e32 v12, 2, v8
	v_or_b32_e32 v14, 4, v8
	v_rcp_iflag_f32_e32 v13, v13
	s_lshr_b32 s3, s13, 31
	s_add_i32 s3, s13, s3
	s_ashr_i32 s6, s3, 1
	v_mul_f32_e32 v13, 0x4f7ffffe, v13
	v_cvt_u32_f32_e32 v13, v13
	s_ashr_i32 s7, s6, 31
	s_lshl_b64 s[6:7], s[6:7], 1
	v_mov_b32_e32 v15, s7
	v_mul_lo_u32 v16, s8, v13
	v_mul_hi_u32 v16, v13, v16
	v_add_u32_e32 v22, v13, v16
	v_mul_hi_u32 v13, v8, v22
	v_mul_hi_u32 v16, v12, v22
	v_mul_lo_u32 v13, v13, s5
	v_mul_hi_u32 v17, v14, v22
	v_mul_lo_u32 v16, v16, s5
	v_sub_u32_e32 v13, v8, v13
	v_mul_lo_u32 v17, v17, s5
	v_sub_u32_e32 v12, v12, v16
	v_subrev_u32_e32 v16, s5, v13
	v_cmp_le_u32_e32 vcc, s5, v13
	v_sub_u32_e32 v14, v14, v17
	v_subrev_u32_e32 v17, s5, v12
	v_cndmask_b32_e32 v13, v13, v16, vcc
	v_cmp_le_u32_e32 vcc, s5, v12
	v_subrev_u32_e32 v18, s5, v14
	v_cndmask_b32_e32 v12, v12, v17, vcc
	v_cmp_le_u32_e32 vcc, s5, v14
	v_cndmask_b32_e32 v14, v14, v18, vcc
	v_subrev_u32_e32 v16, s5, v13
	v_cmp_le_u32_e32 vcc, s5, v13
	v_subrev_u32_e32 v17, s5, v12
	v_cndmask_b32_e32 v13, v13, v16, vcc
	v_cmp_le_u32_e32 vcc, s5, v12
	v_cndmask_b32_e32 v12, v12, v17, vcc
	v_and_b32_e32 v16, -2, v13
	v_and_b32_e32 v17, -2, v12
	v_subrev_u32_e32 v18, s5, v14
	v_cmp_le_u32_e32 vcc, s5, v14
	v_cndmask_b32_e32 v14, v14, v18, vcc
	v_and_b32_e32 v20, -2, v14
	v_or_b32_e32 v8, 6, v8
	v_mul_hi_u32 v22, v8, v22
	v_mul_lo_u32 v22, v22, s5
	v_sub_u32_e32 v8, v8, v22
	v_subrev_u32_e32 v22, s5, v8
	; wave barrier
	s_waitcnt vmcnt(0)
	v_mul_lo_u32 v12, v3, s13
	v_mul_lo_u32 v13, v2, s2
	v_mad_u64_u32 v[2:3], s[8:9], v2, s13, 0
	v_add3_u32 v3, v3, v13, v12
	v_lshlrev_b64 v[2:3], 1, v[2:3]
	v_add_co_u32_e32 v23, vcc, s4, v2
	v_addc_co_u32_e32 v11, vcc, v11, v3, vcc
	v_add_co_u32_e32 v24, vcc, s6, v23
	v_addc_co_u32_e32 v25, vcc, v11, v15, vcc
	;; [unrolled: 2-line block ×8, first 2 shown]
	v_cmp_le_u32_e32 vcc, s5, v8
	v_cndmask_b32_e32 v8, v8, v22, vcc
	v_subrev_u32_e32 v22, s5, v8
	v_cmp_le_u32_e32 vcc, s5, v8
	v_cndmask_b32_e32 v8, v8, v22, vcc
	v_and_b32_e32 v8, -2, v8
	v_add_co_u32_e32 v22, vcc, v23, v8
	v_addc_co_u32_e32 v23, vcc, 0, v11, vcc
	v_add_co_u32_e32 v24, vcc, v24, v8
	v_addc_co_u32_e32 v25, vcc, 0, v25, vcc
	global_load_ushort v8, v[2:3], off
	global_load_ushort v11, v[14:15], off
	;; [unrolled: 1-line block ×8, first 2 shown]
	s_lshr_b32 s2, s2, 29
	s_add_i32 s2, s13, s2
	v_and_b32_e32 v2, 64, v7
	s_ashr_i32 s2, s2, 3
	v_add_u32_e32 v2, 64, v2
	v_xor_b32_e32 v3, s2, v7
	v_cmp_lt_i32_e32 vcc, v3, v2
	v_cndmask_b32_e32 v2, v7, v3, vcc
	v_lshlrev_b32_e32 v2, 2, v2
	ds_bpermute_b32 v3, v2, v5
	ds_bpermute_b32 v7, v2, v4
	;; [unrolled: 1-line block ×4, first 2 shown]
	v_cmp_gt_i32_e32 vcc, s2, v6
	s_waitcnt lgkmcnt(3)
	v_cndmask_b32_e64 v3, v3, -v3, vcc
	s_waitcnt lgkmcnt(2)
	v_cndmask_b32_e64 v6, v7, -v7, vcc
	;; [unrolled: 2-line block ×4, first 2 shown]
	; wave barrier
	s_waitcnt vmcnt(7)
	v_lshlrev_b32_e32 v8, 16, v8
	s_waitcnt vmcnt(6)
	v_lshlrev_b32_e32 v11, 16, v11
	;; [unrolled: 2-line block ×8, first 2 shown]
	v_mul_f32_e32 v3, v3, v11
	v_mul_f32_e32 v6, v6, v13
	;; [unrolled: 1-line block ×4, first 2 shown]
	v_fmac_f32_e32 v3, v5, v8
	v_fmac_f32_e32 v6, v4, v12
	v_fmac_f32_e32 v7, v9, v14
	v_fmac_f32_e32 v2, v10, v16
	v_mov_b32_e32 v5, v3
	v_mov_b32_e32 v4, v6
	;; [unrolled: 1-line block ×4, first 2 shown]
.LBB51_3:
	s_or_b64 exec, exec, s[0:1]
	v_cvt_f16_f32_e32 v2, v5
	v_cvt_f16_f32_e32 v3, v9
	v_cvt_f16_f32_e32 v5, v10
	v_cvt_f16_f32_e32 v4, v4
	v_pack_b32_f16 v3, v3, v5
	v_pack_b32_f16 v2, v2, v4
	global_store_dwordx2 v[0:1], v[2:3], off
.LBB51_4:
	s_endpgm
	.section	.rodata,"a",@progbits
	.p2align	6, 0x0
	.amdhsa_kernel _ZN12tensorrt_llm7kernels21fusedQKNormRopeKernelIN3c104HalfENS2_8BFloat16ELi128ELb0EEEvPviiifPKvS7_S7_PKlii
		.amdhsa_group_segment_fixed_size 0
		.amdhsa_private_segment_fixed_size 0
		.amdhsa_kernarg_size 320
		.amdhsa_user_sgpr_count 6
		.amdhsa_user_sgpr_private_segment_buffer 1
		.amdhsa_user_sgpr_dispatch_ptr 0
		.amdhsa_user_sgpr_queue_ptr 0
		.amdhsa_user_sgpr_kernarg_segment_ptr 1
		.amdhsa_user_sgpr_dispatch_id 0
		.amdhsa_user_sgpr_flat_scratch_init 0
		.amdhsa_user_sgpr_kernarg_preload_length 0
		.amdhsa_user_sgpr_kernarg_preload_offset 0
		.amdhsa_user_sgpr_private_segment_size 0
		.amdhsa_uses_dynamic_stack 0
		.amdhsa_system_sgpr_private_segment_wavefront_offset 0
		.amdhsa_system_sgpr_workgroup_id_x 1
		.amdhsa_system_sgpr_workgroup_id_y 0
		.amdhsa_system_sgpr_workgroup_id_z 0
		.amdhsa_system_sgpr_workgroup_info 0
		.amdhsa_system_vgpr_workitem_id 0
		.amdhsa_next_free_vgpr 32
		.amdhsa_next_free_sgpr 14
		.amdhsa_accum_offset 32
		.amdhsa_reserve_vcc 1
		.amdhsa_reserve_flat_scratch 0
		.amdhsa_float_round_mode_32 0
		.amdhsa_float_round_mode_16_64 0
		.amdhsa_float_denorm_mode_32 3
		.amdhsa_float_denorm_mode_16_64 3
		.amdhsa_dx10_clamp 1
		.amdhsa_ieee_mode 1
		.amdhsa_fp16_overflow 0
		.amdhsa_tg_split 0
		.amdhsa_exception_fp_ieee_invalid_op 0
		.amdhsa_exception_fp_denorm_src 0
		.amdhsa_exception_fp_ieee_div_zero 0
		.amdhsa_exception_fp_ieee_overflow 0
		.amdhsa_exception_fp_ieee_underflow 0
		.amdhsa_exception_fp_ieee_inexact 0
		.amdhsa_exception_int_div_zero 0
	.end_amdhsa_kernel
	.section	.text._ZN12tensorrt_llm7kernels21fusedQKNormRopeKernelIN3c104HalfENS2_8BFloat16ELi128ELb0EEEvPviiifPKvS7_S7_PKlii,"axG",@progbits,_ZN12tensorrt_llm7kernels21fusedQKNormRopeKernelIN3c104HalfENS2_8BFloat16ELi128ELb0EEEvPviiifPKvS7_S7_PKlii,comdat
.Lfunc_end51:
	.size	_ZN12tensorrt_llm7kernels21fusedQKNormRopeKernelIN3c104HalfENS2_8BFloat16ELi128ELb0EEEvPviiifPKvS7_S7_PKlii, .Lfunc_end51-_ZN12tensorrt_llm7kernels21fusedQKNormRopeKernelIN3c104HalfENS2_8BFloat16ELi128ELb0EEEvPviiifPKvS7_S7_PKlii
                                        ; -- End function
	.section	.AMDGPU.csdata,"",@progbits
; Kernel info:
; codeLenInByte = 1528
; NumSgprs: 18
; NumVgprs: 32
; NumAgprs: 0
; TotalNumVgprs: 32
; ScratchSize: 0
; MemoryBound: 0
; FloatMode: 240
; IeeeMode: 1
; LDSByteSize: 0 bytes/workgroup (compile time only)
; SGPRBlocks: 2
; VGPRBlocks: 3
; NumSGPRsForWavesPerEU: 18
; NumVGPRsForWavesPerEU: 32
; AccumOffset: 32
; Occupancy: 8
; WaveLimiterHint : 1
; COMPUTE_PGM_RSRC2:SCRATCH_EN: 0
; COMPUTE_PGM_RSRC2:USER_SGPR: 6
; COMPUTE_PGM_RSRC2:TRAP_HANDLER: 0
; COMPUTE_PGM_RSRC2:TGID_X_EN: 1
; COMPUTE_PGM_RSRC2:TGID_Y_EN: 0
; COMPUTE_PGM_RSRC2:TGID_Z_EN: 0
; COMPUTE_PGM_RSRC2:TIDIG_COMP_CNT: 0
; COMPUTE_PGM_RSRC3_GFX90A:ACCUM_OFFSET: 7
; COMPUTE_PGM_RSRC3_GFX90A:TG_SPLIT: 0
	.section	.text._ZN12tensorrt_llm7kernels21fusedQKNormRopeKernelIN3c104HalfENS2_8BFloat16ELi256ELb1EEEvPviiifPKvS7_S7_PKlii,"axG",@progbits,_ZN12tensorrt_llm7kernels21fusedQKNormRopeKernelIN3c104HalfENS2_8BFloat16ELi256ELb1EEEvPviiifPKvS7_S7_PKlii,comdat
	.protected	_ZN12tensorrt_llm7kernels21fusedQKNormRopeKernelIN3c104HalfENS2_8BFloat16ELi256ELb1EEEvPviiifPKvS7_S7_PKlii ; -- Begin function _ZN12tensorrt_llm7kernels21fusedQKNormRopeKernelIN3c104HalfENS2_8BFloat16ELi256ELb1EEEvPviiifPKvS7_S7_PKlii
	.globl	_ZN12tensorrt_llm7kernels21fusedQKNormRopeKernelIN3c104HalfENS2_8BFloat16ELi256ELb1EEEvPviiifPKvS7_S7_PKlii
	.p2align	8
	.type	_ZN12tensorrt_llm7kernels21fusedQKNormRopeKernelIN3c104HalfENS2_8BFloat16ELi256ELb1EEEvPviiifPKvS7_S7_PKlii,@function
_ZN12tensorrt_llm7kernels21fusedQKNormRopeKernelIN3c104HalfENS2_8BFloat16ELi256ELb1EEEvPviiifPKvS7_S7_PKlii: ; @_ZN12tensorrt_llm7kernels21fusedQKNormRopeKernelIN3c104HalfENS2_8BFloat16ELi256ELb1EEEvPviiifPKvS7_S7_PKlii
; %bb.0:
	s_load_dwordx4 s[8:11], s[4:5], 0x8
	s_load_dwordx2 s[12:13], s[4:5], 0x38
	s_load_dword s1, s[4:5], 0x4c
	v_lshrrev_b32_e32 v2, 5, v0
	s_waitcnt lgkmcnt(0)
	s_add_i32 s0, s9, s8
	s_abs_i32 s2, s0
	v_cvt_f32_u32_e32 v1, s2
	s_bfe_u32 s1, s1, 0xb0005
	s_mul_i32 s6, s6, s1
	s_sub_i32 s1, 0, s2
	v_rcp_iflag_f32_e32 v3, v1
	v_add_u32_e32 v1, s6, v2
	v_sub_u32_e32 v4, 0, v1
	v_max_i32_e32 v4, v1, v4
	v_mul_f32_e32 v3, 0x4f7ffffe, v3
	v_cvt_u32_f32_e32 v3, v3
	v_xor_b32_e32 v2, s0, v1
	v_ashrrev_i32_e32 v2, 31, v2
	v_mul_lo_u32 v5, s1, v3
	v_mul_hi_u32 v5, v3, v5
	v_add_u32_e32 v3, v3, v5
	v_mul_hi_u32 v3, v4, v3
	v_mul_lo_u32 v5, v3, s2
	v_sub_u32_e32 v4, v4, v5
	v_add_u32_e32 v5, 1, v3
	v_cmp_le_u32_e32 vcc, s2, v4
	v_cndmask_b32_e32 v3, v3, v5, vcc
	v_subrev_u32_e32 v5, s2, v4
	v_cndmask_b32_e32 v4, v4, v5, vcc
	v_add_u32_e32 v5, 1, v3
	v_cmp_le_u32_e32 vcc, s2, v4
	v_cndmask_b32_e32 v3, v3, v5, vcc
	v_xor_b32_e32 v3, v3, v2
	v_sub_u32_e32 v10, v3, v2
	v_cmp_gt_i32_e32 vcc, s12, v10
	s_and_saveexec_b64 s[2:3], vcc
	s_cbranch_execz .LBB52_4
; %bb.1:
	v_and_b32_e32 v11, 31, v0
	v_mul_lo_u32 v0, v10, s0
	v_sub_u32_e32 v0, v1, v0
	v_mov_b32_e32 v1, s8
	v_cmp_gt_i32_e32 vcc, s8, v0
	v_cndmask_b32_e64 v1, v1, 0, vcc
	s_add_i32 s0, s0, s10
	s_load_dwordx2 s[2:3], s[4:5], 0x0
	v_sub_u32_e32 v0, v0, v1
	v_mul_lo_u32 v2, v10, s0
	v_add3_u32 v0, v2, v1, v0
	v_lshlrev_b32_e32 v12, 3, v11
	v_lshl_or_b32 v0, v0, 8, v12
	v_ashrrev_i32_e32 v1, 31, v0
	v_lshlrev_b64 v[0:1], 1, v[0:1]
	s_waitcnt lgkmcnt(0)
	v_mov_b32_e32 v2, s3
	v_add_co_u32_e64 v8, s[0:1], s2, v0
	v_addc_co_u32_e64 v9, s[0:1], v2, v1, s[0:1]
	global_load_dwordx4 v[4:7], v[8:9], off
	s_load_dwordx8 s[0:7], s[4:5], 0x18
	v_lshlrev_b32_e32 v0, 4, v11
	v_mov_b32_e32 v26, s11
	s_waitcnt lgkmcnt(0)
	v_mov_b32_e32 v1, s3
	v_mov_b32_e32 v2, s1
	;; [unrolled: 1-line block ×4, first 2 shown]
	v_cndmask_b32_e32 v1, v1, v2, vcc
	v_cndmask_b32_e32 v2, v3, v13, vcc
	v_add_co_u32_e32 v0, vcc, v2, v0
	v_addc_co_u32_e32 v1, vcc, 0, v1, vcc
	global_load_dwordx4 v[0:3], v[0:1], off
	v_mbcnt_lo_u32_b32 v13, -1, 0
	v_mbcnt_hi_u32_b32 v13, -1, v13
	v_and_b32_e32 v14, 0x60, v13
	v_xor_b32_e32 v15, 16, v13
	v_add_u32_e32 v30, 32, v14
	v_cmp_lt_i32_e32 vcc, v15, v30
	v_cndmask_b32_e32 v14, v13, v15, vcc
	v_lshlrev_b32_e32 v31, 2, v14
	v_xor_b32_e32 v27, 8, v13
	v_cmp_lt_i32_e32 vcc, v27, v30
	v_xor_b32_e32 v28, 4, v13
	v_xor_b32_e32 v29, 2, v13
	s_mov_b32 s0, 0x800000
	s_ashr_i32 s2, s13, 31
	s_lshr_b32 s1, s2, 29
	s_add_i32 s1, s13, s1
	s_ashr_i32 s1, s1, 3
	s_waitcnt vmcnt(1)
	v_cvt_f32_f16_e32 v16, v4
	v_cvt_f32_f16_sdwa v17, v4 dst_sel:DWORD dst_unused:UNUSED_PAD src0_sel:WORD_1
	v_cvt_f32_f16_e32 v4, v5
	v_cvt_f32_f16_sdwa v5, v5 dst_sel:DWORD dst_unused:UNUSED_PAD src0_sel:WORD_1
	;; [unrolled: 2-line block ×3, first 2 shown]
	v_pk_mul_f32 v[20:21], v[16:17], v[16:17]
	v_cvt_f32_f16_e32 v14, v7
	v_cvt_f32_f16_sdwa v15, v7 dst_sel:DWORD dst_unused:UNUSED_PAD src0_sel:WORD_1
	v_pk_mul_f32 v[22:23], v[4:5], v[4:5]
	v_add_f32_e32 v20, v20, v21
	v_add_f32_e32 v20, v20, v22
	v_pk_mul_f32 v[24:25], v[18:19], v[18:19]
	v_add_f32_e32 v20, v20, v23
	v_add_f32_e32 v20, v20, v24
	v_pk_mul_f32 v[6:7], v[14:15], v[14:15]
	v_add_f32_e32 v20, v20, v25
	v_add_f32_e32 v6, v20, v6
	v_add_f32_e32 v6, v6, v7
	ds_bpermute_b32 v7, v31, v6
	v_cndmask_b32_e32 v21, v13, v27, vcc
	v_lshlrev_b32_e32 v21, 2, v21
	v_cmp_lt_i32_e32 vcc, v28, v30
	v_xor_b32_e32 v20, 1, v13
	s_waitcnt lgkmcnt(0)
	v_add_f32_e32 v6, v6, v7
	ds_bpermute_b32 v7, v21, v6
	v_cndmask_b32_e32 v21, v13, v28, vcc
	v_lshlrev_b32_e32 v21, 2, v21
	v_cmp_lt_i32_e32 vcc, v29, v30
	s_waitcnt lgkmcnt(0)
	v_add_f32_e32 v6, v6, v7
	ds_bpermute_b32 v7, v21, v6
	v_cndmask_b32_e32 v21, v13, v29, vcc
	v_lshlrev_b32_e32 v21, 2, v21
	v_cmp_lt_i32_e32 vcc, v20, v30
	s_waitcnt lgkmcnt(0)
	v_add_f32_e32 v7, v6, v7
	ds_bpermute_b32 v21, v21, v7
	v_cndmask_b32_e32 v6, v13, v20, vcc
	v_lshlrev_b32_e32 v13, 2, v6
	s_waitcnt vmcnt(0)
	v_cvt_f32_f16_e32 v6, v0
	v_cvt_f32_f16_e32 v20, v2
	s_waitcnt lgkmcnt(0)
	v_add_f32_e32 v21, v7, v21
	ds_bpermute_b32 v13, v13, v21
	v_cvt_f32_f16_sdwa v7, v0 dst_sel:DWORD dst_unused:UNUSED_PAD src0_sel:WORD_1
	v_cvt_f32_f16_e32 v0, v1
	v_cvt_f32_f16_sdwa v1, v1 dst_sel:DWORD dst_unused:UNUSED_PAD src0_sel:WORD_1
	s_waitcnt lgkmcnt(0)
	v_add_f32_e32 v13, v21, v13
	v_fmac_f32_e32 v26, 0x3b800000, v13
	v_mul_f32_e32 v13, 0x4b800000, v26
	v_cmp_gt_f32_e32 vcc, s0, v26
	v_cndmask_b32_e32 v13, v26, v13, vcc
	v_rsq_f32_e32 v13, v13
	v_cvt_f32_f16_sdwa v21, v2 dst_sel:DWORD dst_unused:UNUSED_PAD src0_sel:WORD_1
	v_cvt_f32_f16_e32 v2, v3
	v_cvt_f32_f16_sdwa v3, v3 dst_sel:DWORD dst_unused:UNUSED_PAD src0_sel:WORD_1
	v_mul_f32_e32 v22, 0x45800000, v13
	v_cndmask_b32_e32 v22, v13, v22, vcc
	v_pk_mul_f32 v[6:7], v[22:23], v[6:7] op_sel_hi:[0,1]
	v_pk_mul_f32 v[24:25], v[22:23], v[0:1] op_sel_hi:[0,1]
	;; [unrolled: 1-line block ×4, first 2 shown]
	v_pk_mul_f32 v[0:1], v[6:7], v[16:17]
	v_pk_mul_f32 v[2:3], v[24:25], v[4:5]
	;; [unrolled: 1-line block ×4, first 2 shown]
	v_cmp_gt_i32_e32 vcc, s1, v11
	s_and_saveexec_b64 s[0:1], vcc
	s_cbranch_execz .LBB52_3
; %bb.2:
	v_ashrrev_i32_e32 v11, 31, v10
	v_lshlrev_b64 v[10:11], 3, v[10:11]
	v_mov_b32_e32 v13, s7
	v_add_co_u32_e32 v10, vcc, s6, v10
	v_addc_co_u32_e32 v11, vcc, v13, v11, vcc
	global_load_dwordx2 v[10:11], v[10:11], off
	s_lshr_b32 s3, s13, 31
	s_add_i32 s3, s13, s3
	s_ashr_i32 s6, s3, 1
	v_mov_b32_e32 v13, s5
	s_ashr_i32 s7, s6, 31
	s_lshl_b64 s[6:7], s[6:7], 1
	v_mov_b32_e32 v14, s7
	s_waitcnt vmcnt(0)
	v_mul_lo_u32 v15, v11, s13
	v_mul_lo_u32 v16, v10, s2
	v_mad_u64_u32 v[10:11], s[2:3], v10, s13, 0
	v_add3_u32 v11, v11, v16, v15
	v_lshlrev_b64 v[10:11], 1, v[10:11]
	v_add_co_u32_e32 v10, vcc, s4, v10
	v_addc_co_u32_e32 v11, vcc, v13, v11, vcc
	v_add_co_u32_e32 v10, vcc, v10, v12
	v_addc_co_u32_e32 v11, vcc, 0, v11, vcc
	global_load_dwordx2 v[12:13], v[10:11], off
	v_add_co_u32_e32 v10, vcc, s6, v10
	v_addc_co_u32_e32 v11, vcc, v11, v14, vcc
	global_load_dwordx2 v[10:11], v[10:11], off
	v_mov_b32_e32 v14, v7
	s_waitcnt vmcnt(1)
	v_lshlrev_b32_e32 v16, 16, v12
	v_and_b32_e32 v21, 0xffff0000, v13
	v_pk_mul_f32 v[24:25], v[0:1], v[16:17] op_sel_hi:[1,0]
	v_and_b32_e32 v12, 0xffff0000, v12
	v_lshlrev_b32_e32 v18, 16, v13
	s_waitcnt vmcnt(0)
	v_lshlrev_b32_e32 v22, 16, v10
	v_and_b32_e32 v20, 0xffff0000, v11
	v_pk_mul_f32 v[22:23], v[0:1], v[22:23] op_sel_hi:[1,0]
	v_and_b32_e32 v10, 0xffff0000, v10
	v_lshlrev_b32_e32 v26, 16, v11
	v_pk_mul_f32 v[30:31], v[6:7], v[20:21]
	v_pk_fma_f32 v[0:1], v[0:1], v[16:17], v[22:23] op_sel:[0,0,1] op_sel_hi:[1,0,0]
	v_mov_b32_e32 v28, v21
	v_pk_mul_f32 v[10:11], v[2:3], v[10:11] op_sel_hi:[1,0]
	v_pk_mul_f32 v[26:27], v[4:5], v[26:27] op_sel_hi:[1,0]
	v_pk_mul_f32 v[14:15], v[14:15], v[20:21]
	v_mov_b32_e32 v0, v31
	v_pk_fma_f32 v[16:17], v[2:3], v[12:13], v[10:11] op_sel:[0,0,1] op_sel_hi:[1,0,0] neg_lo:[0,0,1] neg_hi:[0,0,1]
	v_pk_fma_f32 v[2:3], v[2:3], v[12:13], v[10:11] op_sel:[0,0,1] op_sel_hi:[1,0,0]
	v_pk_fma_f32 v[10:11], v[4:5], v[18:19], v[26:27] op_sel:[0,0,1] op_sel_hi:[1,0,0] neg_lo:[0,0,1] neg_hi:[0,0,1]
	v_pk_fma_f32 v[4:5], v[4:5], v[18:19], v[26:27] op_sel:[0,0,1] op_sel_hi:[1,0,0]
	v_pk_fma_f32 v[12:13], v[6:7], v[28:29], v[14:15] op_sel_hi:[1,0,1] neg_lo:[0,0,1] neg_hi:[0,0,1]
	v_pk_fma_f32 v[14:15], v[6:7], v[20:21], v[0:1]
	v_sub_f32_e32 v0, v24, v23
	v_mov_b32_e32 v2, v16
	v_mov_b32_e32 v4, v10
	;; [unrolled: 1-line block ×4, first 2 shown]
.LBB52_3:
	s_or_b64 exec, exec, s[0:1]
	v_cvt_f16_f32_e32 v0, v0
	v_cvt_f16_f32_e32 v10, v2
	;; [unrolled: 1-line block ×8, first 2 shown]
	v_pack_b32_f16 v3, v4, v6
	v_pack_b32_f16 v2, v2, v5
	;; [unrolled: 1-line block ×4, first 2 shown]
	global_store_dwordx4 v[8:9], v[0:3], off
.LBB52_4:
	s_endpgm
	.section	.rodata,"a",@progbits
	.p2align	6, 0x0
	.amdhsa_kernel _ZN12tensorrt_llm7kernels21fusedQKNormRopeKernelIN3c104HalfENS2_8BFloat16ELi256ELb1EEEvPviiifPKvS7_S7_PKlii
		.amdhsa_group_segment_fixed_size 0
		.amdhsa_private_segment_fixed_size 0
		.amdhsa_kernarg_size 320
		.amdhsa_user_sgpr_count 6
		.amdhsa_user_sgpr_private_segment_buffer 1
		.amdhsa_user_sgpr_dispatch_ptr 0
		.amdhsa_user_sgpr_queue_ptr 0
		.amdhsa_user_sgpr_kernarg_segment_ptr 1
		.amdhsa_user_sgpr_dispatch_id 0
		.amdhsa_user_sgpr_flat_scratch_init 0
		.amdhsa_user_sgpr_kernarg_preload_length 0
		.amdhsa_user_sgpr_kernarg_preload_offset 0
		.amdhsa_user_sgpr_private_segment_size 0
		.amdhsa_uses_dynamic_stack 0
		.amdhsa_system_sgpr_private_segment_wavefront_offset 0
		.amdhsa_system_sgpr_workgroup_id_x 1
		.amdhsa_system_sgpr_workgroup_id_y 0
		.amdhsa_system_sgpr_workgroup_id_z 0
		.amdhsa_system_sgpr_workgroup_info 0
		.amdhsa_system_vgpr_workitem_id 0
		.amdhsa_next_free_vgpr 32
		.amdhsa_next_free_sgpr 14
		.amdhsa_accum_offset 32
		.amdhsa_reserve_vcc 1
		.amdhsa_reserve_flat_scratch 0
		.amdhsa_float_round_mode_32 0
		.amdhsa_float_round_mode_16_64 0
		.amdhsa_float_denorm_mode_32 3
		.amdhsa_float_denorm_mode_16_64 3
		.amdhsa_dx10_clamp 1
		.amdhsa_ieee_mode 1
		.amdhsa_fp16_overflow 0
		.amdhsa_tg_split 0
		.amdhsa_exception_fp_ieee_invalid_op 0
		.amdhsa_exception_fp_denorm_src 0
		.amdhsa_exception_fp_ieee_div_zero 0
		.amdhsa_exception_fp_ieee_overflow 0
		.amdhsa_exception_fp_ieee_underflow 0
		.amdhsa_exception_fp_ieee_inexact 0
		.amdhsa_exception_int_div_zero 0
	.end_amdhsa_kernel
	.section	.text._ZN12tensorrt_llm7kernels21fusedQKNormRopeKernelIN3c104HalfENS2_8BFloat16ELi256ELb1EEEvPviiifPKvS7_S7_PKlii,"axG",@progbits,_ZN12tensorrt_llm7kernels21fusedQKNormRopeKernelIN3c104HalfENS2_8BFloat16ELi256ELb1EEEvPviiifPKvS7_S7_PKlii,comdat
.Lfunc_end52:
	.size	_ZN12tensorrt_llm7kernels21fusedQKNormRopeKernelIN3c104HalfENS2_8BFloat16ELi256ELb1EEEvPviiifPKvS7_S7_PKlii, .Lfunc_end52-_ZN12tensorrt_llm7kernels21fusedQKNormRopeKernelIN3c104HalfENS2_8BFloat16ELi256ELb1EEEvPviiifPKvS7_S7_PKlii
                                        ; -- End function
	.section	.AMDGPU.csdata,"",@progbits
; Kernel info:
; codeLenInByte = 1276
; NumSgprs: 18
; NumVgprs: 32
; NumAgprs: 0
; TotalNumVgprs: 32
; ScratchSize: 0
; MemoryBound: 0
; FloatMode: 240
; IeeeMode: 1
; LDSByteSize: 0 bytes/workgroup (compile time only)
; SGPRBlocks: 2
; VGPRBlocks: 3
; NumSGPRsForWavesPerEU: 18
; NumVGPRsForWavesPerEU: 32
; AccumOffset: 32
; Occupancy: 8
; WaveLimiterHint : 1
; COMPUTE_PGM_RSRC2:SCRATCH_EN: 0
; COMPUTE_PGM_RSRC2:USER_SGPR: 6
; COMPUTE_PGM_RSRC2:TRAP_HANDLER: 0
; COMPUTE_PGM_RSRC2:TGID_X_EN: 1
; COMPUTE_PGM_RSRC2:TGID_Y_EN: 0
; COMPUTE_PGM_RSRC2:TGID_Z_EN: 0
; COMPUTE_PGM_RSRC2:TIDIG_COMP_CNT: 0
; COMPUTE_PGM_RSRC3_GFX90A:ACCUM_OFFSET: 7
; COMPUTE_PGM_RSRC3_GFX90A:TG_SPLIT: 0
	.section	.text._ZN12tensorrt_llm7kernels21fusedQKNormRopeKernelIN3c104HalfENS2_8BFloat16ELi256ELb0EEEvPviiifPKvS7_S7_PKlii,"axG",@progbits,_ZN12tensorrt_llm7kernels21fusedQKNormRopeKernelIN3c104HalfENS2_8BFloat16ELi256ELb0EEEvPviiifPKvS7_S7_PKlii,comdat
	.protected	_ZN12tensorrt_llm7kernels21fusedQKNormRopeKernelIN3c104HalfENS2_8BFloat16ELi256ELb0EEEvPviiifPKvS7_S7_PKlii ; -- Begin function _ZN12tensorrt_llm7kernels21fusedQKNormRopeKernelIN3c104HalfENS2_8BFloat16ELi256ELb0EEEvPviiifPKvS7_S7_PKlii
	.globl	_ZN12tensorrt_llm7kernels21fusedQKNormRopeKernelIN3c104HalfENS2_8BFloat16ELi256ELb0EEEvPviiifPKvS7_S7_PKlii
	.p2align	8
	.type	_ZN12tensorrt_llm7kernels21fusedQKNormRopeKernelIN3c104HalfENS2_8BFloat16ELi256ELb0EEEvPviiifPKvS7_S7_PKlii,@function
_ZN12tensorrt_llm7kernels21fusedQKNormRopeKernelIN3c104HalfENS2_8BFloat16ELi256ELb0EEEvPviiifPKvS7_S7_PKlii: ; @_ZN12tensorrt_llm7kernels21fusedQKNormRopeKernelIN3c104HalfENS2_8BFloat16ELi256ELb0EEEvPviiifPKvS7_S7_PKlii
; %bb.0:
	s_load_dwordx4 s[8:11], s[4:5], 0x8
	s_load_dwordx2 s[12:13], s[4:5], 0x38
	s_load_dword s1, s[4:5], 0x4c
	v_lshrrev_b32_e32 v2, 5, v0
	s_waitcnt lgkmcnt(0)
	s_add_i32 s0, s9, s8
	s_abs_i32 s2, s0
	v_cvt_f32_u32_e32 v1, s2
	s_bfe_u32 s1, s1, 0xb0005
	s_mul_i32 s6, s6, s1
	s_sub_i32 s1, 0, s2
	v_rcp_iflag_f32_e32 v3, v1
	v_add_u32_e32 v1, s6, v2
	v_sub_u32_e32 v4, 0, v1
	v_max_i32_e32 v4, v1, v4
	v_mul_f32_e32 v3, 0x4f7ffffe, v3
	v_cvt_u32_f32_e32 v3, v3
	v_xor_b32_e32 v2, s0, v1
	v_ashrrev_i32_e32 v2, 31, v2
	v_mul_lo_u32 v5, s1, v3
	v_mul_hi_u32 v5, v3, v5
	v_add_u32_e32 v3, v3, v5
	v_mul_hi_u32 v3, v4, v3
	v_mul_lo_u32 v5, v3, s2
	v_sub_u32_e32 v4, v4, v5
	v_add_u32_e32 v5, 1, v3
	v_cmp_le_u32_e32 vcc, s2, v4
	v_cndmask_b32_e32 v3, v3, v5, vcc
	v_subrev_u32_e32 v5, s2, v4
	v_cndmask_b32_e32 v4, v4, v5, vcc
	v_add_u32_e32 v5, 1, v3
	v_cmp_le_u32_e32 vcc, s2, v4
	v_cndmask_b32_e32 v3, v3, v5, vcc
	v_xor_b32_e32 v3, v3, v2
	v_sub_u32_e32 v6, v3, v2
	v_cmp_gt_i32_e32 vcc, s12, v6
	s_and_saveexec_b64 s[2:3], vcc
	s_cbranch_execz .LBB53_4
; %bb.1:
	v_and_b32_e32 v8, 31, v0
	v_mul_lo_u32 v0, v6, s0
	v_sub_u32_e32 v0, v1, v0
	v_mov_b32_e32 v1, s8
	v_cmp_gt_i32_e32 vcc, s8, v0
	v_cndmask_b32_e64 v1, v1, 0, vcc
	s_add_i32 s0, s0, s10
	s_load_dwordx2 s[2:3], s[4:5], 0x0
	v_sub_u32_e32 v0, v0, v1
	v_mul_lo_u32 v2, v6, s0
	v_add3_u32 v0, v2, v1, v0
	v_lshlrev_b32_e32 v1, 3, v8
	v_lshl_or_b32 v0, v0, 8, v1
	v_ashrrev_i32_e32 v1, 31, v0
	v_lshlrev_b64 v[0:1], 1, v[0:1]
	s_waitcnt lgkmcnt(0)
	v_mov_b32_e32 v2, s3
	v_add_co_u32_e64 v4, s[0:1], s2, v0
	v_addc_co_u32_e64 v5, s[0:1], v2, v1, s[0:1]
	global_load_dwordx4 v[0:3], v[4:5], off
	s_load_dwordx8 s[0:7], s[4:5], 0x18
	v_lshlrev_b32_e32 v9, 4, v8
	s_waitcnt lgkmcnt(0)
	v_mov_b32_e32 v7, s3
	v_mov_b32_e32 v10, s1
	;; [unrolled: 1-line block ×4, first 2 shown]
	v_cndmask_b32_e32 v7, v7, v10, vcc
	v_cndmask_b32_e32 v10, v11, v12, vcc
	v_add_co_u32_e32 v10, vcc, v10, v9
	v_addc_co_u32_e32 v11, vcc, 0, v7, vcc
	global_load_dwordx4 v[12:15], v[10:11], off
	v_mbcnt_lo_u32_b32 v7, -1, 0
	v_mbcnt_hi_u32_b32 v10, -1, v7
	v_and_b32_e32 v7, 0x60, v10
	v_xor_b32_e32 v16, 16, v10
	v_add_u32_e32 v7, 32, v7
	v_cmp_lt_i32_e32 vcc, v16, v7
	v_cndmask_b32_e32 v16, v10, v16, vcc
	v_lshlrev_b32_e32 v29, 2, v16
	v_xor_b32_e32 v26, 8, v10
	v_cmp_lt_i32_e32 vcc, v26, v7
	v_xor_b32_e32 v27, 4, v10
	v_xor_b32_e32 v28, 2, v10
	v_mov_b32_e32 v11, s11
	s_mov_b32 s0, 0x800000
	s_ashr_i32 s2, s13, 31
	s_lshr_b32 s1, s2, 29
	s_add_i32 s1, s13, s1
	s_ashr_i32 s1, s1, 3
	s_waitcnt vmcnt(1)
	v_cvt_f32_f16_sdwa v30, v0 dst_sel:DWORD dst_unused:UNUSED_PAD src0_sel:WORD_1
	v_cvt_f32_f16_e32 v18, v1
	v_cvt_f32_f16_sdwa v19, v1 dst_sel:DWORD dst_unused:UNUSED_PAD src0_sel:WORD_1
	v_cvt_f32_f16_e32 v20, v2
	v_cvt_f32_f16_sdwa v21, v2 dst_sel:DWORD dst_unused:UNUSED_PAD src0_sel:WORD_1
	v_mul_f32_e32 v1, v30, v30
	v_cvt_f32_f16_e32 v22, v3
	v_cvt_f32_f16_sdwa v23, v3 dst_sel:DWORD dst_unused:UNUSED_PAD src0_sel:WORD_1
	v_pk_mul_f32 v[2:3], v[18:19], v[18:19]
	v_fma_mix_f32 v1, v0, v0, v1 op_sel_hi:[1,1,0]
	v_add_f32_e32 v1, v1, v2
	v_pk_mul_f32 v[16:17], v[20:21], v[20:21]
	v_add_f32_e32 v1, v1, v3
	v_add_f32_e32 v1, v1, v16
	v_pk_mul_f32 v[24:25], v[22:23], v[22:23]
	v_add_f32_e32 v1, v1, v17
	v_add_f32_e32 v1, v1, v24
	;; [unrolled: 1-line block ×3, first 2 shown]
	ds_bpermute_b32 v2, v29, v1
	v_cndmask_b32_e32 v16, v10, v26, vcc
	v_lshlrev_b32_e32 v16, 2, v16
	v_cmp_lt_i32_e32 vcc, v27, v7
	v_xor_b32_e32 v3, 1, v10
	s_waitcnt lgkmcnt(0)
	v_add_f32_e32 v1, v1, v2
	ds_bpermute_b32 v2, v16, v1
	v_cndmask_b32_e32 v16, v10, v27, vcc
	v_lshlrev_b32_e32 v16, 2, v16
	v_cmp_lt_i32_e32 vcc, v28, v7
	v_cvt_f32_f16_e32 v0, v0
	s_waitcnt lgkmcnt(0)
	v_add_f32_e32 v1, v1, v2
	ds_bpermute_b32 v2, v16, v1
	v_cndmask_b32_e32 v16, v10, v28, vcc
	v_lshlrev_b32_e32 v16, 2, v16
	v_cmp_lt_i32_e32 vcc, v3, v7
	v_cndmask_b32_e32 v3, v10, v3, vcc
	s_waitcnt lgkmcnt(0)
	v_add_f32_e32 v1, v1, v2
	ds_bpermute_b32 v2, v16, v1
	v_lshlrev_b32_e32 v3, 2, v3
	s_waitcnt vmcnt(0)
	v_cvt_f32_f16_e32 v7, v12
	v_cvt_f32_f16_sdwa v12, v12 dst_sel:DWORD dst_unused:UNUSED_PAD src0_sel:WORD_1
	v_cvt_f32_f16_e32 v16, v14
	s_waitcnt lgkmcnt(0)
	v_add_f32_e32 v1, v1, v2
	ds_bpermute_b32 v2, v3, v1
	v_cvt_f32_f16_e32 v3, v13
	v_cvt_f32_f16_sdwa v13, v13 dst_sel:DWORD dst_unused:UNUSED_PAD src0_sel:WORD_1
	v_cvt_f32_f16_sdwa v14, v14 dst_sel:DWORD dst_unused:UNUSED_PAD src0_sel:WORD_1
	s_waitcnt lgkmcnt(0)
	v_add_f32_e32 v1, v1, v2
	v_fmac_f32_e32 v11, 0x3b800000, v1
	v_mul_f32_e32 v1, 0x4b800000, v11
	v_cmp_gt_f32_e32 vcc, s0, v11
	v_cndmask_b32_e32 v1, v11, v1, vcc
	v_rsq_f32_e32 v1, v1
	v_cvt_f32_f16_e32 v2, v15
	v_cvt_f32_f16_sdwa v11, v15 dst_sel:DWORD dst_unused:UNUSED_PAD src0_sel:WORD_1
	v_mul_f32_e32 v15, 0x45800000, v1
	v_cndmask_b32_e32 v1, v1, v15, vcc
	v_mul_f32_e32 v7, v1, v7
	v_mul_f32_e32 v12, v1, v12
	;; [unrolled: 1-line block ×16, first 2 shown]
	v_cmp_gt_i32_e32 vcc, s1, v8
	s_and_saveexec_b64 s[0:1], vcc
	s_cbranch_execz .LBB53_3
; %bb.2:
	v_ashrrev_i32_e32 v7, 31, v6
	v_lshlrev_b64 v[0:1], 3, v[6:7]
	v_mov_b32_e32 v6, s7
	v_add_co_u32_e32 v0, vcc, s6, v0
	v_addc_co_u32_e32 v1, vcc, v6, v1, vcc
	global_load_dwordx2 v[0:1], v[0:1], off
	s_abs_i32 s3, s13
	v_cvt_f32_u32_e32 v17, s3
	s_sub_i32 s8, 0, s3
	v_or_b32_e32 v7, 2, v9
	v_or_b32_e32 v18, 4, v9
	v_rcp_iflag_f32_e32 v17, v17
	v_mov_b32_e32 v6, s5
	s_lshr_b32 s5, s13, 31
	s_add_i32 s5, s13, s5
	v_mul_f32_e32 v17, 0x4f7ffffe, v17
	v_cvt_u32_f32_e32 v17, v17
	s_ashr_i32 s6, s5, 1
	s_ashr_i32 s7, s6, 31
	s_lshl_b64 s[6:7], s[6:7], 1
	v_mul_lo_u32 v20, s8, v17
	v_mul_hi_u32 v20, v17, v20
	v_add_u32_e32 v17, v17, v20
	v_mul_hi_u32 v20, v9, v17
	v_mul_hi_u32 v21, v7, v17
	v_mul_lo_u32 v20, v20, s3
	v_mul_hi_u32 v22, v18, v17
	v_mul_lo_u32 v21, v21, s3
	v_sub_u32_e32 v20, v9, v20
	v_mul_lo_u32 v22, v22, s3
	v_sub_u32_e32 v7, v7, v21
	v_subrev_u32_e32 v21, s3, v20
	v_cmp_le_u32_e32 vcc, s3, v20
	v_sub_u32_e32 v18, v18, v22
	v_subrev_u32_e32 v22, s3, v7
	v_cndmask_b32_e32 v20, v20, v21, vcc
	v_cmp_le_u32_e32 vcc, s3, v7
	v_subrev_u32_e32 v23, s3, v18
	v_cndmask_b32_e32 v7, v7, v22, vcc
	v_cmp_le_u32_e32 vcc, s3, v18
	v_cndmask_b32_e32 v18, v18, v23, vcc
	v_subrev_u32_e32 v21, s3, v20
	v_cmp_le_u32_e32 vcc, s3, v20
	v_subrev_u32_e32 v22, s3, v7
	v_cndmask_b32_e32 v20, v20, v21, vcc
	v_cmp_le_u32_e32 vcc, s3, v7
	v_subrev_u32_e32 v23, s3, v18
	v_cndmask_b32_e32 v7, v7, v22, vcc
	v_cmp_le_u32_e32 vcc, s3, v18
	v_cndmask_b32_e32 v18, v18, v23, vcc
	v_and_b32_e32 v21, -2, v7
	v_and_b32_e32 v24, -2, v18
	v_mov_b32_e32 v19, s7
	v_and_b32_e32 v20, -2, v20
	v_or_b32_e32 v26, 6, v9
	v_mul_hi_u32 v27, v26, v17
	v_mul_lo_u32 v27, v27, s3
	v_sub_u32_e32 v26, v26, v27
	v_subrev_u32_e32 v27, s3, v26
	; wave barrier
	s_waitcnt vmcnt(0)
	v_mul_lo_u32 v7, v1, s13
	v_mul_lo_u32 v18, v0, s2
	v_mad_u64_u32 v[0:1], s[8:9], v0, s13, 0
	v_add3_u32 v1, v1, v18, v7
	v_lshlrev_b64 v[0:1], 1, v[0:1]
	v_add_co_u32_e32 v30, vcc, s4, v0
	v_addc_co_u32_e32 v31, vcc, v6, v1, vcc
	v_add_co_u32_e32 v32, vcc, s6, v30
	v_addc_co_u32_e32 v33, vcc, v31, v19, vcc
	;; [unrolled: 2-line block ×8, first 2 shown]
	v_cmp_le_u32_e32 vcc, s3, v26
	v_cndmask_b32_e32 v26, v26, v27, vcc
	v_subrev_u32_e32 v27, s3, v26
	v_cmp_le_u32_e32 vcc, s3, v26
	v_cndmask_b32_e32 v26, v26, v27, vcc
	v_and_b32_e32 v28, -2, v26
	v_add_co_u32_e32 v26, vcc, v30, v28
	v_addc_co_u32_e32 v27, vcc, 0, v31, vcc
	v_add_co_u32_e32 v28, vcc, v32, v28
	v_addc_co_u32_e32 v29, vcc, 0, v33, vcc
	global_load_ushort v34, v[0:1], off
	global_load_ushort v35, v[18:19], off
	;; [unrolled: 1-line block ×8, first 2 shown]
	v_or_b32_e32 v0, 8, v9
	v_mul_hi_u32 v1, v0, v17
	v_mul_lo_u32 v1, v1, s3
	v_sub_u32_e32 v0, v0, v1
	v_subrev_u32_e32 v1, s3, v0
	v_cmp_le_u32_e32 vcc, s3, v0
	v_cndmask_b32_e32 v0, v0, v1, vcc
	v_subrev_u32_e32 v1, s3, v0
	v_cmp_le_u32_e32 vcc, s3, v0
	v_cndmask_b32_e32 v0, v0, v1, vcc
	v_and_b32_e32 v6, -2, v0
	v_add_co_u32_e32 v0, vcc, v30, v6
	v_or_b32_e32 v18, 10, v9
	v_addc_co_u32_e32 v1, vcc, 0, v31, vcc
	v_mul_hi_u32 v19, v18, v17
	v_add_co_u32_e32 v6, vcc, v32, v6
	v_mul_lo_u32 v19, v19, s3
	v_addc_co_u32_e32 v7, vcc, 0, v33, vcc
	v_sub_u32_e32 v18, v18, v19
	v_subrev_u32_e32 v19, s3, v18
	v_cmp_le_u32_e32 vcc, s3, v18
	v_cndmask_b32_e32 v18, v18, v19, vcc
	v_subrev_u32_e32 v19, s3, v18
	v_cmp_le_u32_e32 vcc, s3, v18
	v_cndmask_b32_e32 v18, v18, v19, vcc
	v_and_b32_e32 v20, -2, v18
	v_add_co_u32_e32 v18, vcc, v30, v20
	v_or_b32_e32 v22, 12, v9
	v_addc_co_u32_e32 v19, vcc, 0, v31, vcc
	v_mul_hi_u32 v23, v22, v17
	v_add_co_u32_e32 v20, vcc, v32, v20
	v_mul_lo_u32 v23, v23, s3
	v_addc_co_u32_e32 v21, vcc, 0, v33, vcc
	v_sub_u32_e32 v22, v22, v23
	v_subrev_u32_e32 v23, s3, v22
	v_cmp_le_u32_e32 vcc, s3, v22
	v_cndmask_b32_e32 v22, v22, v23, vcc
	v_subrev_u32_e32 v23, s3, v22
	v_cmp_le_u32_e32 vcc, s3, v22
	v_cndmask_b32_e32 v22, v22, v23, vcc
	v_and_b32_e32 v24, -2, v22
	v_add_co_u32_e32 v22, vcc, v30, v24
	v_addc_co_u32_e32 v23, vcc, 0, v31, vcc
	v_add_co_u32_e32 v24, vcc, v32, v24
	v_addc_co_u32_e32 v25, vcc, 0, v33, vcc
	global_load_ushort v26, v[0:1], off
	global_load_ushort v27, v[6:7], off
	;; [unrolled: 1-line block ×6, first 2 shown]
	v_or_b32_e32 v0, 14, v9
	v_mul_hi_u32 v1, v0, v17
	v_mul_lo_u32 v1, v1, s3
	v_sub_u32_e32 v0, v0, v1
	v_subrev_u32_e32 v1, s3, v0
	v_cmp_le_u32_e32 vcc, s3, v0
	v_cndmask_b32_e32 v0, v0, v1, vcc
	v_subrev_u32_e32 v1, s3, v0
	v_cmp_le_u32_e32 vcc, s3, v0
	v_cndmask_b32_e32 v0, v0, v1, vcc
	v_and_b32_e32 v6, -2, v0
	v_add_co_u32_e32 v0, vcc, v30, v6
	v_addc_co_u32_e32 v1, vcc, 0, v31, vcc
	v_add_co_u32_e32 v6, vcc, v32, v6
	v_addc_co_u32_e32 v7, vcc, 0, v33, vcc
	global_load_ushort v9, v[0:1], off
	global_load_ushort v17, v[6:7], off
	s_lshr_b32 s2, s2, 28
	s_add_i32 s2, s13, s2
	s_ashr_i32 s2, s2, 4
	v_and_b32_e32 v1, 64, v10
	v_xor_b32_e32 v0, s2, v10
	v_add_u32_e32 v1, 64, v1
	v_cmp_lt_i32_e32 vcc, v0, v1
	v_cndmask_b32_e32 v0, v10, v0, vcc
	v_lshlrev_b32_e32 v0, 2, v0
	ds_bpermute_b32 v1, v0, v16
	v_cmp_gt_i32_e32 vcc, s2, v8
	ds_bpermute_b32 v6, v0, v14
	s_waitcnt vmcnt(14)
	v_lshlrev_b32_e32 v8, 16, v35
	v_lshlrev_b32_e32 v7, 16, v34
	s_waitcnt lgkmcnt(1)
	v_cndmask_b32_e64 v1, v1, -v1, vcc
	v_mul_f32_e32 v1, v1, v8
	v_fmac_f32_e32 v1, v16, v7
	ds_bpermute_b32 v7, v0, v15
	s_waitcnt lgkmcnt(1)
	v_cndmask_b32_e64 v6, v6, -v6, vcc
	s_waitcnt vmcnt(12)
	v_lshlrev_b32_e32 v10, 16, v37
	v_lshlrev_b32_e32 v8, 16, v36
	v_mul_f32_e32 v6, v6, v10
	v_fmac_f32_e32 v6, v14, v8
	s_waitcnt lgkmcnt(0)
	v_cndmask_b32_e64 v7, v7, -v7, vcc
	ds_bpermute_b32 v8, v0, v12
	s_waitcnt vmcnt(10)
	v_lshlrev_b32_e32 v14, 16, v39
	v_lshlrev_b32_e32 v10, 16, v38
	v_mul_f32_e32 v7, v7, v14
	v_fmac_f32_e32 v7, v15, v10
	ds_bpermute_b32 v10, v0, v13
	s_waitcnt lgkmcnt(1)
	v_cndmask_b32_e64 v8, v8, -v8, vcc
	s_waitcnt vmcnt(8)
	v_lshlrev_b32_e32 v15, 16, v41
	v_lshlrev_b32_e32 v14, 16, v40
	v_mul_f32_e32 v8, v8, v15
	v_fmac_f32_e32 v8, v12, v14
	s_waitcnt lgkmcnt(0)
	v_cndmask_b32_e64 v10, v10, -v10, vcc
	ds_bpermute_b32 v12, v0, v11
	v_mov_b32_e32 v16, v1
	; wave barrier
	s_waitcnt lgkmcnt(0)
	v_cndmask_b32_e64 v12, v12, -v12, vcc
	s_waitcnt vmcnt(7)
	v_lshlrev_b32_e32 v14, 16, v26
	s_waitcnt vmcnt(6)
	v_lshlrev_b32_e32 v15, 16, v27
	v_mul_f32_e32 v10, v10, v15
	v_fmac_f32_e32 v10, v13, v14
	ds_bpermute_b32 v13, v0, v3
	ds_bpermute_b32 v0, v0, v2
	s_waitcnt vmcnt(4)
	v_lshlrev_b32_e32 v15, 16, v29
	v_lshlrev_b32_e32 v14, 16, v28
	v_mul_f32_e32 v18, v12, v15
	v_fmac_f32_e32 v18, v11, v14
	s_waitcnt lgkmcnt(1)
	v_cndmask_b32_e64 v11, v13, -v13, vcc
	s_waitcnt vmcnt(2)
	v_lshlrev_b32_e32 v13, 16, v43
	v_lshlrev_b32_e32 v12, 16, v42
	v_mul_f32_e32 v19, v11, v13
	v_fmac_f32_e32 v19, v3, v12
	s_waitcnt lgkmcnt(0)
	v_cndmask_b32_e64 v0, v0, -v0, vcc
	v_mov_b32_e32 v14, v6
	v_mov_b32_e32 v15, v7
	;; [unrolled: 1-line block ×5, first 2 shown]
	s_waitcnt vmcnt(1)
	v_lshlrev_b32_e32 v3, 16, v9
	s_waitcnt vmcnt(0)
	v_lshlrev_b32_e32 v9, 16, v17
	v_mul_f32_e32 v0, v0, v9
	v_fmac_f32_e32 v0, v2, v3
	v_mov_b32_e32 v3, v19
	v_mov_b32_e32 v2, v0
.LBB53_3:
	s_or_b64 exec, exec, s[0:1]
	v_cvt_f16_f32_e32 v0, v16
	v_cvt_f16_f32_e32 v1, v15
	;; [unrolled: 1-line block ×8, first 2 shown]
	v_pack_b32_f16 v3, v3, v2
	v_pack_b32_f16 v2, v6, v7
	;; [unrolled: 1-line block ×4, first 2 shown]
	global_store_dwordx4 v[4:5], v[0:3], off
.LBB53_4:
	s_endpgm
	.section	.rodata,"a",@progbits
	.p2align	6, 0x0
	.amdhsa_kernel _ZN12tensorrt_llm7kernels21fusedQKNormRopeKernelIN3c104HalfENS2_8BFloat16ELi256ELb0EEEvPviiifPKvS7_S7_PKlii
		.amdhsa_group_segment_fixed_size 0
		.amdhsa_private_segment_fixed_size 0
		.amdhsa_kernarg_size 320
		.amdhsa_user_sgpr_count 6
		.amdhsa_user_sgpr_private_segment_buffer 1
		.amdhsa_user_sgpr_dispatch_ptr 0
		.amdhsa_user_sgpr_queue_ptr 0
		.amdhsa_user_sgpr_kernarg_segment_ptr 1
		.amdhsa_user_sgpr_dispatch_id 0
		.amdhsa_user_sgpr_flat_scratch_init 0
		.amdhsa_user_sgpr_kernarg_preload_length 0
		.amdhsa_user_sgpr_kernarg_preload_offset 0
		.amdhsa_user_sgpr_private_segment_size 0
		.amdhsa_uses_dynamic_stack 0
		.amdhsa_system_sgpr_private_segment_wavefront_offset 0
		.amdhsa_system_sgpr_workgroup_id_x 1
		.amdhsa_system_sgpr_workgroup_id_y 0
		.amdhsa_system_sgpr_workgroup_id_z 0
		.amdhsa_system_sgpr_workgroup_info 0
		.amdhsa_system_vgpr_workitem_id 0
		.amdhsa_next_free_vgpr 44
		.amdhsa_next_free_sgpr 14
		.amdhsa_accum_offset 44
		.amdhsa_reserve_vcc 1
		.amdhsa_reserve_flat_scratch 0
		.amdhsa_float_round_mode_32 0
		.amdhsa_float_round_mode_16_64 0
		.amdhsa_float_denorm_mode_32 3
		.amdhsa_float_denorm_mode_16_64 3
		.amdhsa_dx10_clamp 1
		.amdhsa_ieee_mode 1
		.amdhsa_fp16_overflow 0
		.amdhsa_tg_split 0
		.amdhsa_exception_fp_ieee_invalid_op 0
		.amdhsa_exception_fp_denorm_src 0
		.amdhsa_exception_fp_ieee_div_zero 0
		.amdhsa_exception_fp_ieee_overflow 0
		.amdhsa_exception_fp_ieee_underflow 0
		.amdhsa_exception_fp_ieee_inexact 0
		.amdhsa_exception_int_div_zero 0
	.end_amdhsa_kernel
	.section	.text._ZN12tensorrt_llm7kernels21fusedQKNormRopeKernelIN3c104HalfENS2_8BFloat16ELi256ELb0EEEvPviiifPKvS7_S7_PKlii,"axG",@progbits,_ZN12tensorrt_llm7kernels21fusedQKNormRopeKernelIN3c104HalfENS2_8BFloat16ELi256ELb0EEEvPviiifPKvS7_S7_PKlii,comdat
.Lfunc_end53:
	.size	_ZN12tensorrt_llm7kernels21fusedQKNormRopeKernelIN3c104HalfENS2_8BFloat16ELi256ELb0EEEvPviiifPKvS7_S7_PKlii, .Lfunc_end53-_ZN12tensorrt_llm7kernels21fusedQKNormRopeKernelIN3c104HalfENS2_8BFloat16ELi256ELb0EEEvPviiifPKvS7_S7_PKlii
                                        ; -- End function
	.section	.AMDGPU.csdata,"",@progbits
; Kernel info:
; codeLenInByte = 2176
; NumSgprs: 18
; NumVgprs: 44
; NumAgprs: 0
; TotalNumVgprs: 44
; ScratchSize: 0
; MemoryBound: 0
; FloatMode: 240
; IeeeMode: 1
; LDSByteSize: 0 bytes/workgroup (compile time only)
; SGPRBlocks: 2
; VGPRBlocks: 5
; NumSGPRsForWavesPerEU: 18
; NumVGPRsForWavesPerEU: 44
; AccumOffset: 44
; Occupancy: 8
; WaveLimiterHint : 1
; COMPUTE_PGM_RSRC2:SCRATCH_EN: 0
; COMPUTE_PGM_RSRC2:USER_SGPR: 6
; COMPUTE_PGM_RSRC2:TRAP_HANDLER: 0
; COMPUTE_PGM_RSRC2:TGID_X_EN: 1
; COMPUTE_PGM_RSRC2:TGID_Y_EN: 0
; COMPUTE_PGM_RSRC2:TGID_Z_EN: 0
; COMPUTE_PGM_RSRC2:TIDIG_COMP_CNT: 0
; COMPUTE_PGM_RSRC3_GFX90A:ACCUM_OFFSET: 10
; COMPUTE_PGM_RSRC3_GFX90A:TG_SPLIT: 0
	.section	.text._ZN12tensorrt_llm7kernels32fusedQKNormRopeKernelNTokenHeadsIN3c104HalfENS2_8BFloat16ELi64ELb1ELi2EEEvPviiifPKvS7_S7_PKlii,"axG",@progbits,_ZN12tensorrt_llm7kernels32fusedQKNormRopeKernelNTokenHeadsIN3c104HalfENS2_8BFloat16ELi64ELb1ELi2EEEvPviiifPKvS7_S7_PKlii,comdat
	.protected	_ZN12tensorrt_llm7kernels32fusedQKNormRopeKernelNTokenHeadsIN3c104HalfENS2_8BFloat16ELi64ELb1ELi2EEEvPviiifPKvS7_S7_PKlii ; -- Begin function _ZN12tensorrt_llm7kernels32fusedQKNormRopeKernelNTokenHeadsIN3c104HalfENS2_8BFloat16ELi64ELb1ELi2EEEvPviiifPKvS7_S7_PKlii
	.globl	_ZN12tensorrt_llm7kernels32fusedQKNormRopeKernelNTokenHeadsIN3c104HalfENS2_8BFloat16ELi64ELb1ELi2EEEvPviiifPKvS7_S7_PKlii
	.p2align	8
	.type	_ZN12tensorrt_llm7kernels32fusedQKNormRopeKernelNTokenHeadsIN3c104HalfENS2_8BFloat16ELi64ELb1ELi2EEEvPviiifPKvS7_S7_PKlii,@function
_ZN12tensorrt_llm7kernels32fusedQKNormRopeKernelNTokenHeadsIN3c104HalfENS2_8BFloat16ELi64ELb1ELi2EEEvPviiifPKvS7_S7_PKlii: ; @_ZN12tensorrt_llm7kernels32fusedQKNormRopeKernelNTokenHeadsIN3c104HalfENS2_8BFloat16ELi64ELb1ELi2EEEvPviiifPKvS7_S7_PKlii
; %bb.0:
	s_load_dwordx4 s[12:15], s[4:5], 0x8
	s_load_dwordx2 s[2:3], s[4:5], 0x38
	s_load_dword s0, s[4:5], 0x4c
	v_lshrrev_b32_e32 v13, 5, v0
	s_waitcnt lgkmcnt(0)
	s_add_i32 s21, s13, s12
	s_add_i32 s1, s21, 1
	s_lshr_b32 s7, s1, 31
	s_add_i32 s1, s1, s7
	s_ashr_i32 s20, s1, 1
	s_abs_i32 s1, s20
	v_cvt_f32_u32_e32 v1, s1
	s_bfe_u32 s0, s0, 0xb0005
	s_mul_i32 s6, s6, s0
	v_add_u32_e32 v9, s6, v13
	v_rcp_iflag_f32_e32 v1, v1
	s_sub_i32 s6, 0, s1
	v_sub_u32_e32 v2, 0, v9
	v_max_i32_e32 v2, v9, v2
	v_mul_f32_e32 v1, 0x4f7ffffe, v1
	v_cvt_u32_f32_e32 v1, v1
	v_xor_b32_e32 v3, s20, v9
	v_ashrrev_i32_e32 v3, 31, v3
	v_mul_lo_u32 v4, s6, v1
	v_mul_hi_u32 v4, v1, v4
	v_add_u32_e32 v1, v1, v4
	v_mul_hi_u32 v1, v2, v1
	v_mul_lo_u32 v4, v1, s1
	v_sub_u32_e32 v2, v2, v4
	v_add_u32_e32 v4, 1, v1
	v_cmp_le_u32_e32 vcc, s1, v2
	v_cndmask_b32_e32 v1, v1, v4, vcc
	v_subrev_u32_e32 v4, s1, v2
	v_cndmask_b32_e32 v2, v2, v4, vcc
	v_add_u32_e32 v4, 1, v1
	v_cmp_le_u32_e32 vcc, s1, v2
	v_cndmask_b32_e32 v1, v1, v4, vcc
	v_xor_b32_e32 v1, v1, v3
	v_sub_u32_e32 v2, v1, v3
	v_cmp_gt_i32_e32 vcc, s2, v2
	s_and_saveexec_b64 s[6:7], vcc
	s_cbranch_execz .LBB54_17
; %bb.1:
	v_and_b32_e32 v10, 31, v0
	v_mul_lo_u32 v0, v2, s20
	v_sub_u32_e32 v0, v9, v0
	s_load_dwordx2 s[16:17], s[4:5], 0x0
	v_lshlrev_b32_e32 v0, 1, v0
	v_add_u32_e32 v1, 2, v0
	v_sub_u32_e32 v3, s21, v0
	v_cmp_lt_i32_e32 vcc, s21, v1
	v_cndmask_b32_e32 v8, 2, v3, vcc
	s_lshl_b32 s18, s3, 1
	s_mul_i32 s2, s18, s0
	v_lshlrev_b32_e32 v12, 8, v13
	v_cmp_lt_i32_e64 s[0:1], 0, v8
	v_lshlrev_b32_e32 v4, 1, v10
	v_lshlrev_b32_e32 v11, 2, v10
	s_and_saveexec_b64 s[6:7], s[0:1]
	s_cbranch_execz .LBB54_9
; %bb.2:
	s_mov_b32 s19, 1
	v_cmp_ne_u32_e32 vcc, 1, v8
	s_mov_b64 s[10:11], -1
	v_mov_b32_e32 v1, 0
	s_and_saveexec_b64 s[8:9], vcc
	s_cbranch_execz .LBB54_6
; %bb.3:
	s_add_i32 s21, s21, s14
	s_add_i32 s10, s2, 0
	v_mul_lo_u32 v6, v2, s21
	s_mov_b32 s22, 0
	v_add3_u32 v7, s10, v12, v11
	v_mov_b32_e32 v1, v0
	s_mov_b32 s21, s12
	s_mov_b32 s23, s12
	v_mov_b32_e32 v3, v6
	v_mov_b32_e32 v5, v4
	v_and_b32_e32 v14, 0x7ffffffe, v8
	s_mov_b64 s[10:11], 0
	v_mov_b32_e32 v15, s12
	v_mov_b32_e32 v16, s12
	s_waitcnt lgkmcnt(0)
	v_mov_b32_e32 v17, s17
.LBB54_4:                               ; =>This Inner Loop Header: Depth=1
	v_add_u32_e32 v19, s19, v1
	v_add_u32_e32 v18, s22, v0
	v_cmp_le_i32_e32 vcc, s23, v19
	v_cndmask_b32_e32 v20, 0, v15, vcc
	v_cmp_le_i32_e32 vcc, s21, v18
	v_cndmask_b32_e32 v21, 0, v16, vcc
	v_sub_u32_e32 v18, v18, v21
	v_sub_u32_e32 v19, v19, v20
	v_add3_u32 v18, v6, v21, v18
	v_add3_u32 v19, v3, v20, v19
	v_lshl_or_b32 v18, v18, 6, v4
	v_lshl_or_b32 v20, v19, 6, v5
	v_ashrrev_i32_e32 v19, 31, v18
	v_lshlrev_b64 v[18:19], 1, v[18:19]
	v_ashrrev_i32_e32 v21, 31, v20
	v_add_co_u32_e32 v18, vcc, s16, v18
	v_lshlrev_b64 v[20:21], 1, v[20:21]
	v_addc_co_u32_e32 v19, vcc, v17, v19, vcc
	v_add_co_u32_e32 v20, vcc, s16, v20
	v_addc_co_u32_e32 v21, vcc, v17, v21, vcc
	global_load_dword v22, v[18:19], off
	global_load_dword v23, v[20:21], off
	v_add_u32_e32 v14, -2, v14
	v_lshl_add_u32 v18, s22, 7, v7
	v_lshl_add_u32 v19, s19, 7, v7
	s_add_i32 s22, s22, 2
	s_add_i32 s19, s19, 2
	v_cmp_eq_u32_e32 vcc, 0, v14
	s_or_b64 s[10:11], vcc, s[10:11]
	s_waitcnt vmcnt(1)
	ds_write_b32 v18, v22
	s_waitcnt vmcnt(0)
	ds_write_b32 v19, v23
	s_andn2_b64 exec, exec, s[10:11]
	s_cbranch_execnz .LBB54_4
; %bb.5:
	s_or_b64 exec, exec, s[10:11]
	v_and_b32_e32 v1, 0x7ffffffe, v8
	v_cmp_ne_u32_e32 vcc, v8, v1
	s_orn2_b64 s[10:11], vcc, exec
.LBB54_6:
	s_or_b64 exec, exec, s[8:9]
	s_and_b64 exec, exec, s[10:11]
	s_cbranch_execz .LBB54_9
; %bb.7:
	s_add_i32 s8, s14, s13
	s_add_i32 s8, s8, s12
	s_lshl_b32 s9, s20, 1
	s_sub_i32 s8, s8, s9
	v_mul_lo_u32 v3, s8, v2
	v_lshlrev_b32_e32 v5, 1, v9
	v_add3_u32 v3, v1, v3, v5
	v_lshl_or_b32 v6, v3, 6, v4
	v_lshlrev_b32_e32 v3, 7, v1
	v_add3_u32 v3, s2, v12, v3
	v_add3_u32 v3, v3, v11, 0
	s_mov_b64 s[8:9], 0
	s_waitcnt lgkmcnt(0)
	v_mov_b32_e32 v5, s17
.LBB54_8:                               ; =>This Inner Loop Header: Depth=1
	v_ashrrev_i32_e32 v7, 31, v6
	v_lshlrev_b64 v[14:15], 1, v[6:7]
	v_add_co_u32_e32 v14, vcc, s16, v14
	v_addc_co_u32_e32 v15, vcc, v5, v15, vcc
	global_load_dword v7, v[14:15], off
	v_add_u32_e32 v1, 1, v1
	v_cmp_ge_i32_e32 vcc, v1, v8
	v_add_u32_e32 v6, 64, v6
	s_or_b64 s[8:9], vcc, s[8:9]
	s_waitcnt vmcnt(0)
	ds_write_b32 v3, v7
	v_add_u32_e32 v3, 0x80, v3
	s_andn2_b64 exec, exec, s[8:9]
	s_cbranch_execnz .LBB54_8
.LBB54_9:
	s_or_b64 exec, exec, s[6:7]
	s_add_i32 s18, s18, 15
	s_load_dwordx8 s[4:11], s[4:5], 0x18
	s_ashr_i32 s19, s18, 31
	s_lshr_b32 s19, s19, 28
	s_add_i32 s18, s18, s19
	s_ashr_i32 s21, s18, 4
	v_mul_lo_u32 v1, v13, s3
	v_cmp_gt_i32_e32 vcc, s21, v10
	v_lshlrev_b32_e32 v5, 1, v1
	s_and_saveexec_b64 s[18:19], vcc
	s_cbranch_execz .LBB54_12
; %bb.10:
	v_ashrrev_i32_e32 v3, 31, v2
	v_lshlrev_b64 v[6:7], 3, v[2:3]
	s_waitcnt lgkmcnt(0)
	v_mov_b32_e32 v1, s11
	v_add_co_u32_e32 v6, vcc, s10, v6
	v_addc_co_u32_e32 v7, vcc, v1, v7, vcc
	global_load_dwordx2 v[6:7], v[6:7], off
	s_ashr_i32 s22, s3, 31
	v_lshlrev_b32_e32 v3, 4, v10
	v_add3_u32 v1, v5, v3, 0
	v_mov_b32_e32 v13, s9
	s_mov_b64 s[10:11], 0
	s_waitcnt vmcnt(0)
	v_mul_lo_u32 v14, v7, s3
	v_mul_lo_u32 v15, v6, s22
	v_mad_u64_u32 v[6:7], s[22:23], v6, s3, 0
	v_add3_u32 v7, v7, v15, v14
	v_lshlrev_b64 v[6:7], 1, v[6:7]
	v_add_co_u32_e32 v3, vcc, v6, v3
	v_addc_co_u32_e32 v7, vcc, 0, v7, vcc
	v_add_co_u32_e32 v6, vcc, s8, v3
	v_addc_co_u32_e32 v7, vcc, v13, v7, vcc
	v_mov_b32_e32 v3, v10
.LBB54_11:                              ; =>This Inner Loop Header: Depth=1
	global_load_dwordx4 v[14:17], v[6:7], off
	v_add_co_u32_e32 v6, vcc, 0x200, v6
	v_add_u32_e32 v3, 32, v3
	v_addc_co_u32_e32 v7, vcc, 0, v7, vcc
	v_cmp_le_i32_e32 vcc, s21, v3
	s_or_b64 s[10:11], vcc, s[10:11]
	s_waitcnt vmcnt(0)
	ds_write_b128 v1, v[14:17]
	v_add_u32_e32 v1, 0x200, v1
	s_andn2_b64 exec, exec, s[10:11]
	s_cbranch_execnz .LBB54_11
.LBB54_12:
	s_or_b64 exec, exec, s[18:19]
	s_and_b64 exec, exec, s[0:1]
	s_cbranch_execz .LBB54_17
; %bb.13:
	s_waitcnt lgkmcnt(0)
	global_load_dword v1, v11, s[4:5]
	global_load_dword v6, v11, s[6:7]
	v_mbcnt_lo_u32_b32 v3, -1, 0
	s_lshr_b32 s0, s3, 31
	s_add_i32 s1, s14, s13
	v_add_u32_e32 v12, s2, v12
	v_mbcnt_hi_u32_b32 v3, -1, v3
	s_lshl_b32 s8, s20, 1
	s_add_i32 s0, s3, s0
	s_add_i32 s1, s1, s12
	v_add3_u32 v11, v12, v11, 0
	v_and_b32_e32 v12, 0x60, v3
	v_add3_u32 v7, 0, v5, v4
	s_ashr_i32 s2, s0, 1
	s_and_b32 s0, s0, -2
	v_xor_b32_e32 v13, 16, v3
	s_sub_i32 s1, s1, s8
	v_add_u32_e32 v12, 32, v12
	v_xor_b32_e32 v14, 8, v3
	v_cmp_gt_i32_e32 vcc, s2, v10
	v_add_u32_e32 v10, s0, v7
	v_mul_lo_u32 v2, s1, v2
	v_cmp_lt_i32_e64 s[0:1], v13, v12
	v_xor_b32_e32 v15, 4, v3
	v_cndmask_b32_e64 v13, v3, v13, s[0:1]
	v_cmp_lt_i32_e64 s[0:1], v14, v12
	v_xor_b32_e32 v16, 2, v3
	v_cndmask_b32_e64 v14, v3, v14, s[0:1]
	;; [unrolled: 3-line block ×3, first 2 shown]
	v_cmp_lt_i32_e64 s[0:1], v16, v12
	v_lshlrev_b32_e32 v5, 7, v9
	v_cndmask_b32_e64 v16, v3, v16, s[0:1]
	v_cmp_lt_i32_e64 s[0:1], v17, v12
	v_cndmask_b32_e64 v3, v3, v17, s[0:1]
	v_lshl_add_u32 v2, v2, 6, v5
	s_mov_b32 s6, 0
	s_mov_b64 s[4:5], 0
	v_mov_b32_e32 v9, s15
	s_mov_b32 s7, 0x800000
	v_lshlrev_b32_e32 v12, 2, v13
	v_lshlrev_b32_e32 v13, 2, v14
	;; [unrolled: 1-line block ×5, first 2 shown]
	v_or_b32_e32 v2, v2, v4
	v_mov_b32_e32 v19, s17
	s_waitcnt vmcnt(1)
	v_lshrrev_b32_e32 v17, 16, v1
	s_waitcnt vmcnt(0)
	v_lshrrev_b32_e32 v18, 16, v6
	s_branch .LBB54_15
.LBB54_14:                              ;   in Loop: Header=BB54_15 Depth=1
	s_or_b64 exec, exec, s[0:1]
	v_ashrrev_i32_e32 v3, 31, v2
	v_cvt_f16_f32_e32 v20, v4
	v_cvt_f16_f32_e32 v21, v5
	v_lshlrev_b64 v[4:5], 1, v[2:3]
	v_add_co_u32_e64 v4, s[0:1], s16, v4
	v_addc_co_u32_e64 v5, s[0:1], v19, v5, s[0:1]
	s_add_i32 s6, s6, 1
	v_cmp_ge_i32_e64 s[0:1], s6, v8
	v_pack_b32_f16 v3, v20, v21
	v_add_u32_e32 v2, 64, v2
	s_or_b64 s[4:5], s[0:1], s[4:5]
	v_add_u32_e32 v11, 0x80, v11
	global_store_dword v[4:5], v3, off
	s_andn2_b64 exec, exec, s[4:5]
	s_cbranch_execz .LBB54_17
.LBB54_15:                              ; =>This Inner Loop Header: Depth=1
	ds_read_b32 v3, v11
	v_mov_b32_e32 v22, v9
	s_waitcnt lgkmcnt(0)
	v_cvt_f32_f16_sdwa v5, v3 dst_sel:DWORD dst_unused:UNUSED_PAD src0_sel:WORD_1
	v_cvt_f32_f16_e32 v4, v3
	v_pk_mul_f32 v[20:21], v[4:5], v[4:5]
	v_add_f32_e32 v3, v21, v20
	ds_bpermute_b32 v20, v12, v3
	v_add_u32_e32 v21, s6, v0
	v_cmp_gt_i32_e64 s[0:1], s12, v21
	v_cndmask_b32_e64 v21, v18, v17, s[0:1]
	v_cvt_f32_f16_e32 v21, v21
	s_waitcnt lgkmcnt(0)
	v_add_f32_e32 v3, v3, v20
	ds_bpermute_b32 v20, v13, v3
	s_waitcnt lgkmcnt(0)
	v_add_f32_e32 v3, v3, v20
	ds_bpermute_b32 v20, v14, v3
	;; [unrolled: 3-line block ×4, first 2 shown]
	s_waitcnt lgkmcnt(0)
	v_add_f32_e32 v3, v3, v20
	v_fmac_f32_e32 v22, 0x3c800000, v3
	v_mul_f32_e32 v3, 0x4b800000, v22
	v_cmp_gt_f32_e64 s[2:3], s7, v22
	v_cndmask_b32_e64 v3, v22, v3, s[2:3]
	v_rsq_f32_e32 v3, v3
	v_cndmask_b32_e64 v20, v6, v1, s[0:1]
	v_cvt_f32_f16_e32 v20, v20
	v_mul_f32_e32 v22, 0x45800000, v3
	v_cndmask_b32_e64 v22, v3, v22, s[2:3]
	v_pk_mul_f32 v[20:21], v[22:23], v[20:21] op_sel_hi:[0,1]
	v_pk_mul_f32 v[4:5], v[20:21], v[4:5]
	s_and_saveexec_b64 s[0:1], vcc
	s_cbranch_execz .LBB54_14
; %bb.16:                               ;   in Loop: Header=BB54_15 Depth=1
	ds_read_u16 v3, v7
	ds_read_u16 v20, v10
	s_waitcnt lgkmcnt(1)
	v_lshlrev_b32_e32 v21, 16, v3
	s_waitcnt lgkmcnt(0)
	v_lshlrev_b32_e32 v20, 16, v20
	v_pk_mul_f32 v[22:23], v[4:5], v[20:21]
	v_mov_b32_e32 v3, v22
	v_mul_f32_e32 v24, v4, v21
	v_pk_fma_f32 v[22:23], v[4:5], v[20:21], v[2:3]
	v_fma_f32 v4, -v5, v20, v24
	v_mov_b32_e32 v5, v23
	s_branch .LBB54_14
.LBB54_17:
	s_endpgm
	.section	.rodata,"a",@progbits
	.p2align	6, 0x0
	.amdhsa_kernel _ZN12tensorrt_llm7kernels32fusedQKNormRopeKernelNTokenHeadsIN3c104HalfENS2_8BFloat16ELi64ELb1ELi2EEEvPviiifPKvS7_S7_PKlii
		.amdhsa_group_segment_fixed_size 0
		.amdhsa_private_segment_fixed_size 0
		.amdhsa_kernarg_size 320
		.amdhsa_user_sgpr_count 6
		.amdhsa_user_sgpr_private_segment_buffer 1
		.amdhsa_user_sgpr_dispatch_ptr 0
		.amdhsa_user_sgpr_queue_ptr 0
		.amdhsa_user_sgpr_kernarg_segment_ptr 1
		.amdhsa_user_sgpr_dispatch_id 0
		.amdhsa_user_sgpr_flat_scratch_init 0
		.amdhsa_user_sgpr_kernarg_preload_length 0
		.amdhsa_user_sgpr_kernarg_preload_offset 0
		.amdhsa_user_sgpr_private_segment_size 0
		.amdhsa_uses_dynamic_stack 0
		.amdhsa_system_sgpr_private_segment_wavefront_offset 0
		.amdhsa_system_sgpr_workgroup_id_x 1
		.amdhsa_system_sgpr_workgroup_id_y 0
		.amdhsa_system_sgpr_workgroup_id_z 0
		.amdhsa_system_sgpr_workgroup_info 0
		.amdhsa_system_vgpr_workitem_id 0
		.amdhsa_next_free_vgpr 25
		.amdhsa_next_free_sgpr 24
		.amdhsa_accum_offset 28
		.amdhsa_reserve_vcc 1
		.amdhsa_reserve_flat_scratch 0
		.amdhsa_float_round_mode_32 0
		.amdhsa_float_round_mode_16_64 0
		.amdhsa_float_denorm_mode_32 3
		.amdhsa_float_denorm_mode_16_64 3
		.amdhsa_dx10_clamp 1
		.amdhsa_ieee_mode 1
		.amdhsa_fp16_overflow 0
		.amdhsa_tg_split 0
		.amdhsa_exception_fp_ieee_invalid_op 0
		.amdhsa_exception_fp_denorm_src 0
		.amdhsa_exception_fp_ieee_div_zero 0
		.amdhsa_exception_fp_ieee_overflow 0
		.amdhsa_exception_fp_ieee_underflow 0
		.amdhsa_exception_fp_ieee_inexact 0
		.amdhsa_exception_int_div_zero 0
	.end_amdhsa_kernel
	.section	.text._ZN12tensorrt_llm7kernels32fusedQKNormRopeKernelNTokenHeadsIN3c104HalfENS2_8BFloat16ELi64ELb1ELi2EEEvPviiifPKvS7_S7_PKlii,"axG",@progbits,_ZN12tensorrt_llm7kernels32fusedQKNormRopeKernelNTokenHeadsIN3c104HalfENS2_8BFloat16ELi64ELb1ELi2EEEvPviiifPKvS7_S7_PKlii,comdat
.Lfunc_end54:
	.size	_ZN12tensorrt_llm7kernels32fusedQKNormRopeKernelNTokenHeadsIN3c104HalfENS2_8BFloat16ELi64ELb1ELi2EEEvPviiifPKvS7_S7_PKlii, .Lfunc_end54-_ZN12tensorrt_llm7kernels32fusedQKNormRopeKernelNTokenHeadsIN3c104HalfENS2_8BFloat16ELi64ELb1ELi2EEEvPviiifPKvS7_S7_PKlii
                                        ; -- End function
	.section	.AMDGPU.csdata,"",@progbits
; Kernel info:
; codeLenInByte = 1700
; NumSgprs: 28
; NumVgprs: 25
; NumAgprs: 0
; TotalNumVgprs: 25
; ScratchSize: 0
; MemoryBound: 0
; FloatMode: 240
; IeeeMode: 1
; LDSByteSize: 0 bytes/workgroup (compile time only)
; SGPRBlocks: 3
; VGPRBlocks: 3
; NumSGPRsForWavesPerEU: 28
; NumVGPRsForWavesPerEU: 25
; AccumOffset: 28
; Occupancy: 8
; WaveLimiterHint : 0
; COMPUTE_PGM_RSRC2:SCRATCH_EN: 0
; COMPUTE_PGM_RSRC2:USER_SGPR: 6
; COMPUTE_PGM_RSRC2:TRAP_HANDLER: 0
; COMPUTE_PGM_RSRC2:TGID_X_EN: 1
; COMPUTE_PGM_RSRC2:TGID_Y_EN: 0
; COMPUTE_PGM_RSRC2:TGID_Z_EN: 0
; COMPUTE_PGM_RSRC2:TIDIG_COMP_CNT: 0
; COMPUTE_PGM_RSRC3_GFX90A:ACCUM_OFFSET: 6
; COMPUTE_PGM_RSRC3_GFX90A:TG_SPLIT: 0
	.section	.text._ZN12tensorrt_llm7kernels32fusedQKNormRopeKernelNTokenHeadsIN3c104HalfENS2_8BFloat16ELi64ELb0ELi2EEEvPviiifPKvS7_S7_PKlii,"axG",@progbits,_ZN12tensorrt_llm7kernels32fusedQKNormRopeKernelNTokenHeadsIN3c104HalfENS2_8BFloat16ELi64ELb0ELi2EEEvPviiifPKvS7_S7_PKlii,comdat
	.protected	_ZN12tensorrt_llm7kernels32fusedQKNormRopeKernelNTokenHeadsIN3c104HalfENS2_8BFloat16ELi64ELb0ELi2EEEvPviiifPKvS7_S7_PKlii ; -- Begin function _ZN12tensorrt_llm7kernels32fusedQKNormRopeKernelNTokenHeadsIN3c104HalfENS2_8BFloat16ELi64ELb0ELi2EEEvPviiifPKvS7_S7_PKlii
	.globl	_ZN12tensorrt_llm7kernels32fusedQKNormRopeKernelNTokenHeadsIN3c104HalfENS2_8BFloat16ELi64ELb0ELi2EEEvPviiifPKvS7_S7_PKlii
	.p2align	8
	.type	_ZN12tensorrt_llm7kernels32fusedQKNormRopeKernelNTokenHeadsIN3c104HalfENS2_8BFloat16ELi64ELb0ELi2EEEvPviiifPKvS7_S7_PKlii,@function
_ZN12tensorrt_llm7kernels32fusedQKNormRopeKernelNTokenHeadsIN3c104HalfENS2_8BFloat16ELi64ELb0ELi2EEEvPviiifPKvS7_S7_PKlii: ; @_ZN12tensorrt_llm7kernels32fusedQKNormRopeKernelNTokenHeadsIN3c104HalfENS2_8BFloat16ELi64ELb0ELi2EEEvPviiifPKvS7_S7_PKlii
; %bb.0:
	s_load_dwordx4 s[12:15], s[4:5], 0x8
	s_load_dwordx2 s[2:3], s[4:5], 0x38
	s_load_dword s0, s[4:5], 0x4c
	v_lshrrev_b32_e32 v12, 5, v0
	s_waitcnt lgkmcnt(0)
	s_add_i32 s19, s13, s12
	s_add_i32 s1, s19, 1
	s_lshr_b32 s7, s1, 31
	s_add_i32 s1, s1, s7
	s_ashr_i32 s21, s1, 1
	s_abs_i32 s1, s21
	v_cvt_f32_u32_e32 v1, s1
	s_bfe_u32 s0, s0, 0xb0005
	s_mul_i32 s6, s6, s0
	v_add_u32_e32 v8, s6, v12
	v_rcp_iflag_f32_e32 v1, v1
	s_sub_i32 s6, 0, s1
	v_sub_u32_e32 v2, 0, v8
	v_max_i32_e32 v2, v8, v2
	v_mul_f32_e32 v1, 0x4f7ffffe, v1
	v_cvt_u32_f32_e32 v1, v1
	v_xor_b32_e32 v3, s21, v8
	v_ashrrev_i32_e32 v3, 31, v3
	v_mul_lo_u32 v4, s6, v1
	v_mul_hi_u32 v4, v1, v4
	v_add_u32_e32 v1, v1, v4
	v_mul_hi_u32 v1, v2, v1
	v_mul_lo_u32 v4, v1, s1
	v_sub_u32_e32 v2, v2, v4
	v_add_u32_e32 v4, 1, v1
	v_cmp_le_u32_e32 vcc, s1, v2
	v_cndmask_b32_e32 v1, v1, v4, vcc
	v_subrev_u32_e32 v4, s1, v2
	v_cndmask_b32_e32 v2, v2, v4, vcc
	v_add_u32_e32 v4, 1, v1
	v_cmp_le_u32_e32 vcc, s1, v2
	v_cndmask_b32_e32 v1, v1, v4, vcc
	v_xor_b32_e32 v1, v1, v3
	v_sub_u32_e32 v2, v1, v3
	v_cmp_gt_i32_e32 vcc, s2, v2
	s_and_saveexec_b64 s[6:7], vcc
	s_cbranch_execz .LBB55_17
; %bb.1:
	v_and_b32_e32 v9, 31, v0
	v_mul_lo_u32 v0, v2, s21
	v_sub_u32_e32 v0, v8, v0
	s_load_dwordx2 s[16:17], s[4:5], 0x0
	v_lshlrev_b32_e32 v0, 1, v0
	v_add_u32_e32 v1, 2, v0
	v_sub_u32_e32 v3, s19, v0
	v_cmp_lt_i32_e32 vcc, s19, v1
	v_cndmask_b32_e32 v7, 2, v3, vcc
	s_lshl_b32 s2, s3, 1
	s_mul_i32 s20, s2, s0
	v_lshlrev_b32_e32 v10, 8, v12
	v_cmp_lt_i32_e64 s[0:1], 0, v7
	v_lshlrev_b32_e32 v11, 2, v9
	s_and_saveexec_b64 s[6:7], s[0:1]
	s_cbranch_execz .LBB55_9
; %bb.2:
	s_mov_b32 s18, 1
	v_lshlrev_b32_e32 v4, 1, v9
	v_cmp_ne_u32_e32 vcc, 1, v7
	s_mov_b64 s[10:11], -1
	v_mov_b32_e32 v1, 0
	s_and_saveexec_b64 s[8:9], vcc
	s_cbranch_execz .LBB55_6
; %bb.3:
	s_add_i32 s19, s19, s14
	s_add_i32 s10, s20, 0
	v_mul_lo_u32 v6, v2, s19
	s_mov_b32 s22, 0
	v_add3_u32 v13, s10, v10, v11
	v_mov_b32_e32 v1, v0
	s_mov_b32 s19, s12
	s_mov_b32 s23, s12
	v_mov_b32_e32 v3, v6
	v_mov_b32_e32 v5, v4
	v_and_b32_e32 v14, 0x7ffffffe, v7
	s_mov_b64 s[10:11], 0
	v_mov_b32_e32 v15, s12
	v_mov_b32_e32 v16, s12
	s_waitcnt lgkmcnt(0)
	v_mov_b32_e32 v17, s17
.LBB55_4:                               ; =>This Inner Loop Header: Depth=1
	v_add_u32_e32 v19, s18, v1
	v_add_u32_e32 v18, s22, v0
	v_cmp_le_i32_e32 vcc, s23, v19
	v_cndmask_b32_e32 v20, 0, v15, vcc
	v_cmp_le_i32_e32 vcc, s19, v18
	v_cndmask_b32_e32 v21, 0, v16, vcc
	v_sub_u32_e32 v18, v18, v21
	v_sub_u32_e32 v19, v19, v20
	v_add3_u32 v18, v6, v21, v18
	v_add3_u32 v19, v3, v20, v19
	v_lshl_or_b32 v18, v18, 6, v4
	v_lshl_or_b32 v20, v19, 6, v5
	v_ashrrev_i32_e32 v19, 31, v18
	v_lshlrev_b64 v[18:19], 1, v[18:19]
	v_ashrrev_i32_e32 v21, 31, v20
	v_add_co_u32_e32 v18, vcc, s16, v18
	v_lshlrev_b64 v[20:21], 1, v[20:21]
	v_addc_co_u32_e32 v19, vcc, v17, v19, vcc
	v_add_co_u32_e32 v20, vcc, s16, v20
	v_addc_co_u32_e32 v21, vcc, v17, v21, vcc
	global_load_dword v22, v[18:19], off
	global_load_dword v23, v[20:21], off
	v_add_u32_e32 v14, -2, v14
	v_lshl_add_u32 v18, s22, 7, v13
	v_lshl_add_u32 v19, s18, 7, v13
	s_add_i32 s22, s22, 2
	s_add_i32 s18, s18, 2
	v_cmp_eq_u32_e32 vcc, 0, v14
	s_or_b64 s[10:11], vcc, s[10:11]
	s_waitcnt vmcnt(1)
	ds_write_b32 v18, v22
	s_waitcnt vmcnt(0)
	ds_write_b32 v19, v23
	s_andn2_b64 exec, exec, s[10:11]
	s_cbranch_execnz .LBB55_4
; %bb.5:
	s_or_b64 exec, exec, s[10:11]
	v_and_b32_e32 v1, 0x7ffffffe, v7
	v_cmp_ne_u32_e32 vcc, v7, v1
	s_orn2_b64 s[10:11], vcc, exec
.LBB55_6:
	s_or_b64 exec, exec, s[8:9]
	s_and_b64 exec, exec, s[10:11]
	s_cbranch_execz .LBB55_9
; %bb.7:
	s_add_i32 s8, s14, s13
	s_add_i32 s8, s8, s12
	s_lshl_b32 s9, s21, 1
	s_sub_i32 s8, s8, s9
	v_mul_lo_u32 v3, s8, v2
	v_lshlrev_b32_e32 v5, 1, v8
	v_add3_u32 v3, v1, v3, v5
	v_lshl_or_b32 v4, v3, 6, v4
	v_lshlrev_b32_e32 v3, 7, v1
	v_add3_u32 v3, s20, v10, v3
	v_add3_u32 v3, v3, v11, 0
	s_mov_b64 s[8:9], 0
	s_waitcnt lgkmcnt(0)
	v_mov_b32_e32 v6, s17
.LBB55_8:                               ; =>This Inner Loop Header: Depth=1
	v_ashrrev_i32_e32 v5, 31, v4
	v_lshlrev_b64 v[14:15], 1, v[4:5]
	v_add_co_u32_e32 v14, vcc, s16, v14
	v_addc_co_u32_e32 v15, vcc, v6, v15, vcc
	global_load_dword v5, v[14:15], off
	v_add_u32_e32 v1, 1, v1
	v_cmp_ge_i32_e32 vcc, v1, v7
	v_add_u32_e32 v4, 64, v4
	s_or_b64 s[8:9], vcc, s[8:9]
	s_waitcnt vmcnt(0)
	ds_write_b32 v3, v5
	v_add_u32_e32 v3, 0x80, v3
	s_andn2_b64 exec, exec, s[8:9]
	s_cbranch_execnz .LBB55_8
.LBB55_9:
	s_or_b64 exec, exec, s[6:7]
	s_add_i32 s2, s2, 15
	s_load_dwordx8 s[4:11], s[4:5], 0x18
	s_ashr_i32 s18, s2, 31
	s_lshr_b32 s18, s18, 28
	s_add_i32 s2, s2, s18
	s_ashr_i32 s2, s2, 4
	v_cmp_gt_i32_e32 vcc, s2, v9
	v_mul_lo_u32 v6, v12, s3
	s_and_saveexec_b64 s[18:19], vcc
	s_cbranch_execz .LBB55_12
; %bb.10:
	v_ashrrev_i32_e32 v3, 31, v2
	v_lshlrev_b64 v[4:5], 3, v[2:3]
	s_waitcnt lgkmcnt(0)
	v_mov_b32_e32 v1, s11
	v_add_co_u32_e32 v4, vcc, s10, v4
	v_addc_co_u32_e32 v5, vcc, v1, v5, vcc
	global_load_dwordx2 v[4:5], v[4:5], off
	s_ashr_i32 s22, s3, 31
	v_lshlrev_b32_e32 v1, 1, v6
	v_lshlrev_b32_e32 v3, 4, v9
	v_add3_u32 v1, v1, v3, 0
	v_mov_b32_e32 v12, s9
	s_mov_b64 s[10:11], 0
	s_waitcnt vmcnt(0)
	v_mul_lo_u32 v13, v5, s3
	v_mul_lo_u32 v14, v4, s22
	v_mad_u64_u32 v[4:5], s[22:23], v4, s3, 0
	v_add3_u32 v5, v5, v14, v13
	v_lshlrev_b64 v[4:5], 1, v[4:5]
	v_add_co_u32_e32 v3, vcc, v4, v3
	v_addc_co_u32_e32 v5, vcc, 0, v5, vcc
	v_add_co_u32_e32 v4, vcc, s8, v3
	v_addc_co_u32_e32 v5, vcc, v12, v5, vcc
	v_mov_b32_e32 v3, v9
.LBB55_11:                              ; =>This Inner Loop Header: Depth=1
	global_load_dwordx4 v[12:15], v[4:5], off
	v_add_co_u32_e32 v4, vcc, 0x200, v4
	v_add_u32_e32 v3, 32, v3
	v_addc_co_u32_e32 v5, vcc, 0, v5, vcc
	v_cmp_le_i32_e32 vcc, s2, v3
	s_or_b64 s[10:11], vcc, s[10:11]
	s_waitcnt vmcnt(0)
	ds_write_b128 v1, v[12:15]
	v_add_u32_e32 v1, 0x200, v1
	s_andn2_b64 exec, exec, s[10:11]
	s_cbranch_execnz .LBB55_11
.LBB55_12:
	s_or_b64 exec, exec, s[18:19]
	s_and_b64 exec, exec, s[0:1]
	s_cbranch_execz .LBB55_17
; %bb.13:
	s_waitcnt lgkmcnt(0)
	global_load_dword v1, v11, s[4:5]
	global_load_dword v4, v11, s[6:7]
	v_mbcnt_lo_u32_b32 v5, -1, 0
	s_abs_i32 s4, s3
	s_lshr_b32 s0, s3, 31
	v_mbcnt_hi_u32_b32 v15, -1, v5
	v_cvt_f32_u32_e32 v12, s4
	s_add_i32 s1, s14, s13
	s_add_i32 s0, s3, s0
	v_and_b32_e32 v5, 0x60, v15
	v_lshl_add_u32 v3, v6, 1, 0
	s_add_i32 s7, s1, s12
	s_ashr_i32 s1, s0, 1
	s_and_b32 s0, s0, -2
	v_xor_b32_e32 v6, 16, v15
	v_add_u32_e32 v5, 32, v5
	v_xor_b32_e32 v13, 8, v15
	v_add_u32_e32 v20, s0, v3
	v_cmp_gt_i32_e32 vcc, s1, v9
	s_lshr_b32 s2, s1, 1
	v_cmp_lt_i32_e64 s[0:1], v6, v5
	v_xor_b32_e32 v14, 4, v15
	v_cndmask_b32_e64 v6, v15, v6, s[0:1]
	v_cmp_lt_i32_e64 s[0:1], v13, v5
	v_rcp_iflag_f32_e32 v22, v12
	v_xor_b32_e32 v17, 2, v15
	v_cndmask_b32_e64 v13, v15, v13, s[0:1]
	v_cmp_lt_i32_e64 s[0:1], v14, v5
	v_cndmask_b32_e64 v14, v15, v14, s[0:1]
	v_cmp_lt_i32_e64 s[0:1], v17, v5
	v_xor_b32_e32 v18, 1, v15
	v_cndmask_b32_e64 v17, v15, v17, s[0:1]
	v_cmp_lt_i32_e64 s[0:1], v18, v5
	v_lshlrev_b32_e32 v5, 2, v6
	v_lshlrev_b32_e32 v6, 2, v13
	;; [unrolled: 1-line block ×3, first 2 shown]
	v_mul_f32_e32 v17, 0x4f7ffffe, v22
	v_cvt_u32_f32_e32 v17, v17
	s_sub_i32 s6, 0, s4
	v_cndmask_b32_e64 v18, v15, v18, s[0:1]
	v_lshlrev_b32_e32 v12, 2, v14
	v_lshlrev_b32_e32 v14, 2, v18
	v_mul_lo_u32 v18, s6, v17
	v_mul_hi_u32 v18, v17, v18
	v_add_u32_e32 v17, v17, v18
	v_or_b32_e32 v16, 2, v11
	v_and_b32_e32 v19, 64, v15
	v_mul_hi_u32 v18, v11, v17
	v_add_u32_e32 v19, 64, v19
	v_xor_b32_e32 v21, s2, v15
	v_mul_hi_u32 v17, v16, v17
	v_mul_lo_u32 v18, v18, s4
	v_cmp_gt_u32_e64 s[0:1], s2, v9
	v_cmp_lt_i32_e64 s[2:3], v21, v19
	v_mul_lo_u32 v17, v17, s4
	v_sub_u32_e32 v18, v11, v18
	v_cndmask_b32_e64 v15, v15, v21, s[2:3]
	v_sub_u32_e32 v16, v16, v17
	v_subrev_u32_e32 v17, s4, v18
	v_cmp_le_u32_e64 s[2:3], s4, v18
	v_subrev_u32_e32 v19, s4, v16
	v_cndmask_b32_e64 v17, v18, v17, s[2:3]
	v_cmp_le_u32_e64 s[2:3], s4, v16
	v_cndmask_b32_e64 v16, v16, v19, s[2:3]
	v_subrev_u32_e32 v18, s4, v17
	v_cmp_le_u32_e64 s[2:3], s4, v17
	v_subrev_u32_e32 v19, s4, v16
	v_cndmask_b32_e64 v17, v17, v18, s[2:3]
	v_cmp_le_u32_e64 s[2:3], s4, v16
	s_lshl_b32 s5, s21, 1
	v_cndmask_b32_e64 v16, v16, v19, s[2:3]
	v_and_b32_e32 v17, -2, v17
	v_and_b32_e32 v19, -2, v16
	s_sub_i32 s2, s7, s5
	v_add_u32_e32 v16, v3, v17
	v_add_u32_e32 v18, v3, v19
	v_mul_lo_u32 v2, s2, v2
	v_lshlrev_b32_e32 v3, 7, v8
	v_lshl_add_u32 v2, v2, 6, v3
	v_add_u32_e32 v3, s20, v10
	s_mov_b32 s8, 0
	v_lshlrev_b32_e32 v15, 2, v15
	v_add_u32_e32 v17, v20, v17
	v_add_u32_e32 v19, v20, v19
	s_waitcnt vmcnt(1)
	v_lshrrev_b32_e32 v20, 16, v1
	s_waitcnt vmcnt(0)
	v_lshrrev_b32_e32 v21, 16, v4
	v_lshl_or_b32 v2, v9, 1, v2
	v_add3_u32 v8, v3, v11, 0
	s_mov_b64 s[6:7], 0
	v_mov_b32_e32 v9, s15
	s_mov_b32 s9, 0x800000
	v_mov_b32_e32 v10, s17
	s_branch .LBB55_15
.LBB55_14:                              ;   in Loop: Header=BB55_15 Depth=1
	s_or_b64 exec, exec, s[2:3]
	v_cvt_f16_f32_e32 v24, v3
	v_ashrrev_i32_e32 v3, 31, v2
	v_cvt_f16_f32_e32 v11, v11
	v_lshlrev_b64 v[22:23], 1, v[2:3]
	v_add_co_u32_e64 v22, s[2:3], s16, v22
	v_addc_co_u32_e64 v23, s[2:3], v10, v23, s[2:3]
	s_add_i32 s8, s8, 1
	v_cmp_ge_i32_e64 s[2:3], s8, v7
	v_pack_b32_f16 v3, v11, v24
	v_add_u32_e32 v2, 64, v2
	s_or_b64 s[6:7], s[2:3], s[6:7]
	v_add_u32_e32 v8, 0x80, v8
	global_store_dword v[22:23], v3, off
	s_andn2_b64 exec, exec, s[6:7]
	s_cbranch_execz .LBB55_17
.LBB55_15:                              ; =>This Inner Loop Header: Depth=1
	ds_read_b32 v3, v8
	s_waitcnt lgkmcnt(0)
	v_cvt_f32_f16_sdwa v22, v3 dst_sel:DWORD dst_unused:UNUSED_PAD src0_sel:WORD_1
	v_cvt_f32_f16_e32 v23, v3
	v_pk_mul_f32 v[24:25], v[22:23], v[22:23]
	v_add_f32_e32 v3, v24, v25
	ds_bpermute_b32 v11, v5, v3
	v_mov_b32_e32 v25, v9
	v_add_u32_e32 v24, s8, v0
	v_cmp_gt_i32_e64 s[2:3], s12, v24
	v_cndmask_b32_e64 v24, v4, v1, s[2:3]
	s_waitcnt lgkmcnt(0)
	v_add_f32_e32 v3, v3, v11
	ds_bpermute_b32 v11, v6, v3
	s_waitcnt lgkmcnt(0)
	v_add_f32_e32 v3, v3, v11
	ds_bpermute_b32 v11, v12, v3
	;; [unrolled: 3-line block ×4, first 2 shown]
	s_waitcnt lgkmcnt(0)
	v_add_f32_e32 v3, v3, v11
	v_fmac_f32_e32 v25, 0x3c800000, v3
	v_mul_f32_e32 v3, 0x4b800000, v25
	v_cmp_gt_f32_e64 s[4:5], s9, v25
	v_cndmask_b32_e64 v3, v25, v3, s[4:5]
	v_rsq_f32_e32 v3, v3
	v_cvt_f32_f16_e32 v11, v24
	v_cndmask_b32_e64 v24, v21, v20, s[2:3]
	v_cvt_f32_f16_e32 v24, v24
	v_mul_f32_e32 v25, 0x45800000, v3
	v_cndmask_b32_e64 v3, v3, v25, s[4:5]
	v_mul_f32_e32 v11, v3, v11
	v_mul_f32_e32 v3, v3, v24
	v_mul_f32_e32 v11, v11, v23
	v_mul_f32_e32 v3, v3, v22
	s_and_saveexec_b64 s[2:3], vcc
	s_cbranch_execz .LBB55_14
; %bb.16:                               ;   in Loop: Header=BB55_15 Depth=1
	ds_bpermute_b32 v22, v15, v11
	; wave barrier
	ds_read_u16 v23, v16
	ds_read_u16 v24, v17
	ds_bpermute_b32 v25, v15, v3
	ds_read_u16 v26, v18
	ds_read_u16 v27, v19
	s_waitcnt lgkmcnt(5)
	v_cndmask_b32_e64 v22, v22, -v22, s[0:1]
	s_waitcnt lgkmcnt(4)
	v_lshlrev_b32_e32 v23, 16, v23
	s_waitcnt lgkmcnt(3)
	v_lshlrev_b32_e32 v24, 16, v24
	v_mul_f32_e32 v22, v22, v24
	v_fmac_f32_e32 v22, v11, v23
	s_waitcnt lgkmcnt(2)
	v_cndmask_b32_e64 v11, v25, -v25, s[0:1]
	s_waitcnt lgkmcnt(0)
	v_lshlrev_b32_e32 v24, 16, v27
	v_lshlrev_b32_e32 v23, 16, v26
	v_mul_f32_e32 v24, v11, v24
	v_fmac_f32_e32 v24, v3, v23
	v_mov_b32_e32 v11, v22
	v_mov_b32_e32 v3, v24
	; wave barrier
	s_branch .LBB55_14
.LBB55_17:
	s_endpgm
	.section	.rodata,"a",@progbits
	.p2align	6, 0x0
	.amdhsa_kernel _ZN12tensorrt_llm7kernels32fusedQKNormRopeKernelNTokenHeadsIN3c104HalfENS2_8BFloat16ELi64ELb0ELi2EEEvPviiifPKvS7_S7_PKlii
		.amdhsa_group_segment_fixed_size 0
		.amdhsa_private_segment_fixed_size 0
		.amdhsa_kernarg_size 320
		.amdhsa_user_sgpr_count 6
		.amdhsa_user_sgpr_private_segment_buffer 1
		.amdhsa_user_sgpr_dispatch_ptr 0
		.amdhsa_user_sgpr_queue_ptr 0
		.amdhsa_user_sgpr_kernarg_segment_ptr 1
		.amdhsa_user_sgpr_dispatch_id 0
		.amdhsa_user_sgpr_flat_scratch_init 0
		.amdhsa_user_sgpr_kernarg_preload_length 0
		.amdhsa_user_sgpr_kernarg_preload_offset 0
		.amdhsa_user_sgpr_private_segment_size 0
		.amdhsa_uses_dynamic_stack 0
		.amdhsa_system_sgpr_private_segment_wavefront_offset 0
		.amdhsa_system_sgpr_workgroup_id_x 1
		.amdhsa_system_sgpr_workgroup_id_y 0
		.amdhsa_system_sgpr_workgroup_id_z 0
		.amdhsa_system_sgpr_workgroup_info 0
		.amdhsa_system_vgpr_workitem_id 0
		.amdhsa_next_free_vgpr 28
		.amdhsa_next_free_sgpr 24
		.amdhsa_accum_offset 28
		.amdhsa_reserve_vcc 1
		.amdhsa_reserve_flat_scratch 0
		.amdhsa_float_round_mode_32 0
		.amdhsa_float_round_mode_16_64 0
		.amdhsa_float_denorm_mode_32 3
		.amdhsa_float_denorm_mode_16_64 3
		.amdhsa_dx10_clamp 1
		.amdhsa_ieee_mode 1
		.amdhsa_fp16_overflow 0
		.amdhsa_tg_split 0
		.amdhsa_exception_fp_ieee_invalid_op 0
		.amdhsa_exception_fp_denorm_src 0
		.amdhsa_exception_fp_ieee_div_zero 0
		.amdhsa_exception_fp_ieee_overflow 0
		.amdhsa_exception_fp_ieee_underflow 0
		.amdhsa_exception_fp_ieee_inexact 0
		.amdhsa_exception_int_div_zero 0
	.end_amdhsa_kernel
	.section	.text._ZN12tensorrt_llm7kernels32fusedQKNormRopeKernelNTokenHeadsIN3c104HalfENS2_8BFloat16ELi64ELb0ELi2EEEvPviiifPKvS7_S7_PKlii,"axG",@progbits,_ZN12tensorrt_llm7kernels32fusedQKNormRopeKernelNTokenHeadsIN3c104HalfENS2_8BFloat16ELi64ELb0ELi2EEEvPviiifPKvS7_S7_PKlii,comdat
.Lfunc_end55:
	.size	_ZN12tensorrt_llm7kernels32fusedQKNormRopeKernelNTokenHeadsIN3c104HalfENS2_8BFloat16ELi64ELb0ELi2EEEvPviiifPKvS7_S7_PKlii, .Lfunc_end55-_ZN12tensorrt_llm7kernels32fusedQKNormRopeKernelNTokenHeadsIN3c104HalfENS2_8BFloat16ELi64ELb0ELi2EEEvPviiifPKvS7_S7_PKlii
                                        ; -- End function
	.section	.AMDGPU.csdata,"",@progbits
; Kernel info:
; codeLenInByte = 2000
; NumSgprs: 28
; NumVgprs: 28
; NumAgprs: 0
; TotalNumVgprs: 28
; ScratchSize: 0
; MemoryBound: 0
; FloatMode: 240
; IeeeMode: 1
; LDSByteSize: 0 bytes/workgroup (compile time only)
; SGPRBlocks: 3
; VGPRBlocks: 3
; NumSGPRsForWavesPerEU: 28
; NumVGPRsForWavesPerEU: 28
; AccumOffset: 28
; Occupancy: 8
; WaveLimiterHint : 0
; COMPUTE_PGM_RSRC2:SCRATCH_EN: 0
; COMPUTE_PGM_RSRC2:USER_SGPR: 6
; COMPUTE_PGM_RSRC2:TRAP_HANDLER: 0
; COMPUTE_PGM_RSRC2:TGID_X_EN: 1
; COMPUTE_PGM_RSRC2:TGID_Y_EN: 0
; COMPUTE_PGM_RSRC2:TGID_Z_EN: 0
; COMPUTE_PGM_RSRC2:TIDIG_COMP_CNT: 0
; COMPUTE_PGM_RSRC3_GFX90A:ACCUM_OFFSET: 6
; COMPUTE_PGM_RSRC3_GFX90A:TG_SPLIT: 0
	.section	.text._ZN12tensorrt_llm7kernels32fusedQKNormRopeKernelNTokenHeadsIN3c104HalfENS2_8BFloat16ELi128ELb1ELi2EEEvPviiifPKvS7_S7_PKlii,"axG",@progbits,_ZN12tensorrt_llm7kernels32fusedQKNormRopeKernelNTokenHeadsIN3c104HalfENS2_8BFloat16ELi128ELb1ELi2EEEvPviiifPKvS7_S7_PKlii,comdat
	.protected	_ZN12tensorrt_llm7kernels32fusedQKNormRopeKernelNTokenHeadsIN3c104HalfENS2_8BFloat16ELi128ELb1ELi2EEEvPviiifPKvS7_S7_PKlii ; -- Begin function _ZN12tensorrt_llm7kernels32fusedQKNormRopeKernelNTokenHeadsIN3c104HalfENS2_8BFloat16ELi128ELb1ELi2EEEvPviiifPKvS7_S7_PKlii
	.globl	_ZN12tensorrt_llm7kernels32fusedQKNormRopeKernelNTokenHeadsIN3c104HalfENS2_8BFloat16ELi128ELb1ELi2EEEvPviiifPKvS7_S7_PKlii
	.p2align	8
	.type	_ZN12tensorrt_llm7kernels32fusedQKNormRopeKernelNTokenHeadsIN3c104HalfENS2_8BFloat16ELi128ELb1ELi2EEEvPviiifPKvS7_S7_PKlii,@function
_ZN12tensorrt_llm7kernels32fusedQKNormRopeKernelNTokenHeadsIN3c104HalfENS2_8BFloat16ELi128ELb1ELi2EEEvPviiifPKvS7_S7_PKlii: ; @_ZN12tensorrt_llm7kernels32fusedQKNormRopeKernelNTokenHeadsIN3c104HalfENS2_8BFloat16ELi128ELb1ELi2EEEvPviiifPKvS7_S7_PKlii
; %bb.0:
	s_load_dwordx4 s[12:15], s[4:5], 0x8
	s_load_dwordx2 s[16:17], s[4:5], 0x38
	s_load_dword s1, s[4:5], 0x4c
	v_lshrrev_b32_e32 v2, 5, v0
	s_waitcnt lgkmcnt(0)
	s_add_i32 s0, s13, s12
	s_add_i32 s2, s0, 1
	s_lshr_b32 s3, s2, 31
	s_add_i32 s2, s2, s3
	s_ashr_i32 s20, s2, 1
	s_abs_i32 s2, s20
	v_cvt_f32_u32_e32 v1, s2
	s_bfe_u32 s1, s1, 0xb0005
	s_mul_i32 s6, s6, s1
	s_sub_i32 s3, 0, s2
	v_rcp_iflag_f32_e32 v3, v1
	v_add_u32_e32 v1, s6, v2
	v_sub_u32_e32 v4, 0, v1
	v_max_i32_e32 v4, v1, v4
	v_mul_f32_e32 v3, 0x4f7ffffe, v3
	v_cvt_u32_f32_e32 v3, v3
	v_xor_b32_e32 v5, s20, v1
	v_ashrrev_i32_e32 v5, 31, v5
	v_mul_lo_u32 v6, s3, v3
	v_mul_hi_u32 v6, v3, v6
	v_add_u32_e32 v3, v3, v6
	v_mul_hi_u32 v3, v4, v3
	v_mul_lo_u32 v6, v3, s2
	v_sub_u32_e32 v4, v4, v6
	v_add_u32_e32 v6, 1, v3
	v_cmp_le_u32_e32 vcc, s2, v4
	v_cndmask_b32_e32 v3, v3, v6, vcc
	v_subrev_u32_e32 v6, s2, v4
	v_cndmask_b32_e32 v4, v4, v6, vcc
	v_add_u32_e32 v6, 1, v3
	v_cmp_le_u32_e32 vcc, s2, v4
	v_cndmask_b32_e32 v3, v3, v6, vcc
	v_xor_b32_e32 v3, v3, v5
	v_sub_u32_e32 v4, v3, v5
	v_cmp_gt_i32_e32 vcc, s16, v4
	s_and_saveexec_b64 s[2:3], vcc
	s_cbranch_execz .LBB56_12
; %bb.1:
	v_and_b32_e32 v6, 31, v0
	v_mul_lo_u32 v0, v4, s20
	v_sub_u32_e32 v0, v1, v0
	s_load_dwordx2 s[2:3], s[4:5], 0x0
	v_lshlrev_b32_e32 v10, 1, v0
	v_add_u32_e32 v0, 2, v10
	v_sub_u32_e32 v3, s0, v10
	v_cmp_lt_i32_e32 vcc, s0, v0
	v_cndmask_b32_e32 v11, 2, v3, vcc
	s_lshl_b32 s18, s17, 1
	s_mul_i32 s16, s18, s1
	v_lshlrev_b32_e32 v9, 9, v2
	v_cmp_lt_i32_e64 s[0:1], 0, v11
	v_lshlrev_b32_e32 v8, 3, v6
	v_lshlrev_b32_e32 v7, 8, v1
	s_and_saveexec_b64 s[6:7], s[0:1]
	s_cbranch_execz .LBB56_4
; %bb.2:
	s_add_i32 s8, s16, 0
	v_add3_u32 v3, s8, v9, v8
	s_add_i32 s8, s14, s13
	s_add_i32 s8, s8, s12
	s_lshl_b32 s9, s20, 1
	s_sub_i32 s8, s8, s9
	v_mul_lo_u32 v0, s8, v4
	v_lshl_add_u32 v0, v0, 7, v7
	s_mov_b32 s10, 0
	v_lshl_or_b32 v0, v6, 2, v0
	s_mov_b64 s[8:9], 0
	s_waitcnt lgkmcnt(0)
	v_mov_b32_e32 v5, s3
.LBB56_3:                               ; =>This Inner Loop Header: Depth=1
	v_ashrrev_i32_e32 v1, 31, v0
	v_lshlrev_b64 v[12:13], 1, v[0:1]
	v_add_co_u32_e32 v12, vcc, s2, v12
	v_addc_co_u32_e32 v13, vcc, v5, v13, vcc
	global_load_dwordx2 v[12:13], v[12:13], off
	s_add_i32 s10, s10, 1
	v_cmp_ge_i32_e32 vcc, s10, v11
	v_add_u32_e32 v0, 0x80, v0
	s_or_b64 s[8:9], vcc, s[8:9]
	s_waitcnt vmcnt(0)
	ds_write_b64 v3, v[12:13]
	v_add_u32_e32 v3, 0x100, v3
	s_andn2_b64 exec, exec, s[8:9]
	s_cbranch_execnz .LBB56_3
.LBB56_4:
	s_or_b64 exec, exec, s[6:7]
	s_add_i32 s18, s18, 15
	s_load_dwordx8 s[4:11], s[4:5], 0x18
	s_ashr_i32 s19, s18, 31
	s_lshr_b32 s19, s19, 28
	s_add_i32 s18, s18, s19
	s_ashr_i32 s21, s18, 4
	v_mul_lo_u32 v0, v2, s17
	v_cmp_gt_i32_e32 vcc, s21, v6
	v_lshlrev_b32_e32 v13, 1, v0
	s_and_saveexec_b64 s[18:19], vcc
	s_cbranch_execz .LBB56_7
; %bb.5:
	v_ashrrev_i32_e32 v5, 31, v4
	v_lshlrev_b64 v[0:1], 3, v[4:5]
	s_waitcnt lgkmcnt(0)
	v_mov_b32_e32 v2, s11
	v_add_co_u32_e32 v0, vcc, s10, v0
	v_addc_co_u32_e32 v1, vcc, v2, v1, vcc
	global_load_dwordx2 v[0:1], v[0:1], off
	s_ashr_i32 s22, s17, 31
	v_lshlrev_b32_e32 v3, 4, v6
	v_mov_b32_e32 v5, s9
	s_mov_b64 s[10:11], 0
	v_add3_u32 v2, v13, v3, 0
	s_waitcnt vmcnt(0)
	v_mul_lo_u32 v12, v1, s17
	v_mul_lo_u32 v14, v0, s22
	v_mad_u64_u32 v[0:1], s[22:23], v0, s17, 0
	v_add3_u32 v1, v1, v14, v12
	v_lshlrev_b64 v[0:1], 1, v[0:1]
	v_add_co_u32_e32 v0, vcc, v0, v3
	v_addc_co_u32_e32 v1, vcc, 0, v1, vcc
	v_add_co_u32_e32 v0, vcc, s8, v0
	v_addc_co_u32_e32 v1, vcc, v5, v1, vcc
	v_mov_b32_e32 v3, v6
.LBB56_6:                               ; =>This Inner Loop Header: Depth=1
	global_load_dwordx4 v[14:17], v[0:1], off
	v_add_co_u32_e32 v0, vcc, 0x200, v0
	v_add_u32_e32 v3, 32, v3
	v_addc_co_u32_e32 v1, vcc, 0, v1, vcc
	v_cmp_le_i32_e32 vcc, s21, v3
	s_or_b64 s[10:11], vcc, s[10:11]
	s_waitcnt vmcnt(0)
	ds_write_b128 v2, v[14:17]
	v_add_u32_e32 v2, 0x200, v2
	s_andn2_b64 exec, exec, s[10:11]
	s_cbranch_execnz .LBB56_6
.LBB56_7:
	s_or_b64 exec, exec, s[18:19]
	s_and_b64 exec, exec, s[0:1]
	s_cbranch_execz .LBB56_12
; %bb.8:
	s_waitcnt lgkmcnt(0)
	global_load_dwordx2 v[0:1], v8, s[4:5]
	global_load_dwordx2 v[2:3], v8, s[6:7]
	v_mbcnt_lo_u32_b32 v14, -1, 0
	v_add_u32_e32 v9, s16, v9
	v_mbcnt_hi_u32_b32 v16, -1, v14
	v_add3_u32 v14, v9, v8, 0
	v_and_b32_e32 v8, 0x60, v16
	v_xor_b32_e32 v9, 16, v16
	v_add_u32_e32 v8, 32, v8
	v_xor_b32_e32 v17, 8, v16
	v_cmp_lt_i32_e32 vcc, v9, v8
	s_add_i32 s8, s14, s13
	v_xor_b32_e32 v18, 4, v16
	v_cndmask_b32_e32 v9, v16, v9, vcc
	v_cmp_lt_i32_e32 vcc, v17, v8
	s_ashr_i32 s1, s17, 31
	s_lshl_b32 s9, s20, 1
	s_add_i32 s8, s8, s12
	v_xor_b32_e32 v19, 2, v16
	v_cndmask_b32_e32 v17, v16, v17, vcc
	v_cmp_lt_i32_e32 vcc, v18, v8
	s_lshr_b32 s0, s17, 31
	s_lshr_b32 s1, s1, 30
	v_xor_b32_e32 v20, 1, v16
	s_sub_i32 s8, s8, s9
	v_cndmask_b32_e32 v18, v16, v18, vcc
	v_cmp_lt_i32_e32 vcc, v19, v8
	v_lshlrev_b32_e32 v5, 2, v6
	s_add_i32 s0, s17, s0
	s_add_i32 s1, s17, s1
	v_mul_lo_u32 v4, s8, v4
	v_cndmask_b32_e32 v19, v16, v19, vcc
	v_cmp_lt_i32_e32 vcc, v20, v8
	v_add3_u32 v13, 0, v13, v5
	s_and_b32 s0, s0, -2
	s_ashr_i32 s1, s1, 2
	v_cndmask_b32_e32 v8, v16, v20, vcc
	v_lshl_add_u32 v4, v4, 7, v7
	s_mov_b32 s6, 0
	s_mov_b64 s[4:5], 0
	v_mov_b32_e32 v12, s15
	s_mov_b32 s7, 0x800000
	v_add_u32_e32 v15, s0, v13
	v_cmp_gt_i32_e32 vcc, s1, v6
	v_lshlrev_b32_e32 v16, 2, v9
	v_lshlrev_b32_e32 v17, 2, v17
	;; [unrolled: 1-line block ×5, first 2 shown]
	v_or_b32_e32 v4, v4, v5
	s_waitcnt vmcnt(1)
	v_lshrrev_b32_e32 v21, 16, v0
	s_waitcnt vmcnt(0)
	v_lshrrev_b32_e32 v22, 16, v2
	v_lshrrev_b32_e32 v23, 16, v1
	;; [unrolled: 1-line block ×3, first 2 shown]
	s_branch .LBB56_10
.LBB56_9:                               ;   in Loop: Header=BB56_10 Depth=1
	s_or_b64 exec, exec, s[0:1]
	v_ashrrev_i32_e32 v5, 31, v4
	v_cvt_f16_f32_e32 v25, v6
	v_cvt_f16_f32_e32 v26, v7
	;; [unrolled: 1-line block ×4, first 2 shown]
	v_lshlrev_b64 v[6:7], 1, v[4:5]
	v_mov_b32_e32 v5, s3
	v_add_co_u32_e64 v6, s[0:1], s2, v6
	v_addc_co_u32_e64 v7, s[0:1], v5, v7, s[0:1]
	s_add_i32 s6, s6, 1
	v_cmp_ge_i32_e64 s[0:1], s6, v11
	v_pack_b32_f16 v9, v8, v9
	v_pack_b32_f16 v8, v25, v26
	v_add_u32_e32 v4, 0x80, v4
	s_or_b64 s[4:5], s[0:1], s[4:5]
	v_add_u32_e32 v14, 0x100, v14
	global_store_dwordx2 v[6:7], v[8:9], off
	s_andn2_b64 exec, exec, s[4:5]
	s_cbranch_execz .LBB56_12
.LBB56_10:                              ; =>This Inner Loop Header: Depth=1
	ds_read_b64 v[6:7], v14
	s_waitcnt lgkmcnt(0)
	v_cvt_f32_f16_sdwa v9, v7 dst_sel:DWORD dst_unused:UNUSED_PAD src0_sel:WORD_1
	v_cvt_f32_f16_e32 v8, v7
	v_cvt_f32_f16_sdwa v7, v6 dst_sel:DWORD dst_unused:UNUSED_PAD src0_sel:WORD_1
	v_cvt_f32_f16_e32 v6, v6
	v_pk_mul_f32 v[26:27], v[8:9], v[8:9]
	v_pk_mul_f32 v[28:29], v[6:7], v[6:7]
	v_add_f32_e32 v5, v28, v29
	v_add_f32_e32 v5, v5, v26
	;; [unrolled: 1-line block ×3, first 2 shown]
	ds_bpermute_b32 v25, v16, v5
	v_add_u32_e32 v26, s6, v10
	v_mov_b32_e32 v28, v12
	v_cmp_gt_i32_e64 s[0:1], s12, v26
	v_cndmask_b32_e64 v26, v22, v21, s[0:1]
	s_waitcnt lgkmcnt(0)
	v_add_f32_e32 v5, v5, v25
	ds_bpermute_b32 v25, v17, v5
	v_cndmask_b32_e64 v29, v2, v0, s[0:1]
	v_cndmask_b32_e64 v30, v24, v23, s[0:1]
	;; [unrolled: 1-line block ×3, first 2 shown]
	v_cvt_f32_f16_e32 v27, v26
	s_waitcnt lgkmcnt(0)
	v_add_f32_e32 v5, v5, v25
	ds_bpermute_b32 v25, v18, v5
	v_cvt_f32_f16_e32 v26, v29
	v_cvt_f32_f16_e32 v29, v30
	s_waitcnt lgkmcnt(0)
	v_add_f32_e32 v5, v5, v25
	ds_bpermute_b32 v25, v19, v5
	s_waitcnt lgkmcnt(0)
	v_add_f32_e32 v5, v5, v25
	ds_bpermute_b32 v25, v20, v5
	s_waitcnt lgkmcnt(0)
	v_add_f32_e32 v5, v5, v25
	v_fmac_f32_e32 v28, 0x3c000000, v5
	v_mul_f32_e32 v5, 0x4b800000, v28
	v_cmp_gt_f32_e64 s[0:1], s7, v28
	v_cndmask_b32_e64 v5, v28, v5, s[0:1]
	v_rsq_f32_e32 v5, v5
	v_cvt_f32_f16_e32 v28, v31
	v_mul_f32_e32 v25, 0x45800000, v5
	v_cndmask_b32_e64 v30, v5, v25, s[0:1]
	v_pk_mul_f32 v[26:27], v[30:31], v[26:27] op_sel_hi:[0,1]
	v_pk_mul_f32 v[28:29], v[30:31], v[28:29] op_sel_hi:[0,1]
	v_pk_mul_f32 v[6:7], v[26:27], v[6:7]
	v_pk_mul_f32 v[8:9], v[28:29], v[8:9]
	s_and_saveexec_b64 s[0:1], vcc
	s_cbranch_execz .LBB56_9
; %bb.11:                               ;   in Loop: Header=BB56_10 Depth=1
	ds_read_u16 v5, v13
	ds_read_u16 v25, v15
	ds_read_u16 v27, v13 offset:2
	ds_read_u16 v32, v15 offset:2
	s_waitcnt lgkmcnt(3)
	v_lshlrev_b32_e32 v26, 16, v5
	s_waitcnt lgkmcnt(2)
	v_lshlrev_b32_e32 v28, 16, v25
	v_pk_mul_f32 v[28:29], v[6:7], v[28:29] op_sel_hi:[1,0]
	s_waitcnt lgkmcnt(1)
	v_pk_mul_f32 v[30:31], v[6:7], v[26:27] op_sel_hi:[1,0]
	v_pk_fma_f32 v[6:7], v[6:7], v[26:27], v[28:29] op_sel:[0,0,1] op_sel_hi:[1,0,0]
	v_lshlrev_b32_e32 v27, 16, v27
	s_waitcnt lgkmcnt(0)
	v_lshlrev_b32_e32 v26, 16, v32
	v_mov_b32_e32 v28, v9
	v_mov_b32_e32 v6, v27
	v_pk_mul_f32 v[32:33], v[28:29], v[26:27]
	v_pk_mul_f32 v[34:35], v[8:9], v[26:27]
	v_pk_fma_f32 v[32:33], v[8:9], v[6:7], v[32:33] op_sel_hi:[1,0,1] neg_lo:[0,0,1] neg_hi:[0,0,1]
	v_mov_b32_e32 v6, v35
	v_pk_fma_f32 v[26:27], v[8:9], v[26:27], v[6:7]
	v_sub_f32_e32 v6, v30, v29
	v_mov_b32_e32 v8, v32
	v_mov_b32_e32 v9, v26
	s_branch .LBB56_9
.LBB56_12:
	s_endpgm
	.section	.rodata,"a",@progbits
	.p2align	6, 0x0
	.amdhsa_kernel _ZN12tensorrt_llm7kernels32fusedQKNormRopeKernelNTokenHeadsIN3c104HalfENS2_8BFloat16ELi128ELb1ELi2EEEvPviiifPKvS7_S7_PKlii
		.amdhsa_group_segment_fixed_size 0
		.amdhsa_private_segment_fixed_size 0
		.amdhsa_kernarg_size 320
		.amdhsa_user_sgpr_count 6
		.amdhsa_user_sgpr_private_segment_buffer 1
		.amdhsa_user_sgpr_dispatch_ptr 0
		.amdhsa_user_sgpr_queue_ptr 0
		.amdhsa_user_sgpr_kernarg_segment_ptr 1
		.amdhsa_user_sgpr_dispatch_id 0
		.amdhsa_user_sgpr_flat_scratch_init 0
		.amdhsa_user_sgpr_kernarg_preload_length 0
		.amdhsa_user_sgpr_kernarg_preload_offset 0
		.amdhsa_user_sgpr_private_segment_size 0
		.amdhsa_uses_dynamic_stack 0
		.amdhsa_system_sgpr_private_segment_wavefront_offset 0
		.amdhsa_system_sgpr_workgroup_id_x 1
		.amdhsa_system_sgpr_workgroup_id_y 0
		.amdhsa_system_sgpr_workgroup_id_z 0
		.amdhsa_system_sgpr_workgroup_info 0
		.amdhsa_system_vgpr_workitem_id 0
		.amdhsa_next_free_vgpr 36
		.amdhsa_next_free_sgpr 24
		.amdhsa_accum_offset 36
		.amdhsa_reserve_vcc 1
		.amdhsa_reserve_flat_scratch 0
		.amdhsa_float_round_mode_32 0
		.amdhsa_float_round_mode_16_64 0
		.amdhsa_float_denorm_mode_32 3
		.amdhsa_float_denorm_mode_16_64 3
		.amdhsa_dx10_clamp 1
		.amdhsa_ieee_mode 1
		.amdhsa_fp16_overflow 0
		.amdhsa_tg_split 0
		.amdhsa_exception_fp_ieee_invalid_op 0
		.amdhsa_exception_fp_denorm_src 0
		.amdhsa_exception_fp_ieee_div_zero 0
		.amdhsa_exception_fp_ieee_overflow 0
		.amdhsa_exception_fp_ieee_underflow 0
		.amdhsa_exception_fp_ieee_inexact 0
		.amdhsa_exception_int_div_zero 0
	.end_amdhsa_kernel
	.section	.text._ZN12tensorrt_llm7kernels32fusedQKNormRopeKernelNTokenHeadsIN3c104HalfENS2_8BFloat16ELi128ELb1ELi2EEEvPviiifPKvS7_S7_PKlii,"axG",@progbits,_ZN12tensorrt_llm7kernels32fusedQKNormRopeKernelNTokenHeadsIN3c104HalfENS2_8BFloat16ELi128ELb1ELi2EEEvPviiifPKvS7_S7_PKlii,comdat
.Lfunc_end56:
	.size	_ZN12tensorrt_llm7kernels32fusedQKNormRopeKernelNTokenHeadsIN3c104HalfENS2_8BFloat16ELi128ELb1ELi2EEEvPviiifPKvS7_S7_PKlii, .Lfunc_end56-_ZN12tensorrt_llm7kernels32fusedQKNormRopeKernelNTokenHeadsIN3c104HalfENS2_8BFloat16ELi128ELb1ELi2EEEvPviiifPKvS7_S7_PKlii
                                        ; -- End function
	.section	.AMDGPU.csdata,"",@progbits
; Kernel info:
; codeLenInByte = 1520
; NumSgprs: 28
; NumVgprs: 36
; NumAgprs: 0
; TotalNumVgprs: 36
; ScratchSize: 0
; MemoryBound: 0
; FloatMode: 240
; IeeeMode: 1
; LDSByteSize: 0 bytes/workgroup (compile time only)
; SGPRBlocks: 3
; VGPRBlocks: 4
; NumSGPRsForWavesPerEU: 28
; NumVGPRsForWavesPerEU: 36
; AccumOffset: 36
; Occupancy: 8
; WaveLimiterHint : 0
; COMPUTE_PGM_RSRC2:SCRATCH_EN: 0
; COMPUTE_PGM_RSRC2:USER_SGPR: 6
; COMPUTE_PGM_RSRC2:TRAP_HANDLER: 0
; COMPUTE_PGM_RSRC2:TGID_X_EN: 1
; COMPUTE_PGM_RSRC2:TGID_Y_EN: 0
; COMPUTE_PGM_RSRC2:TGID_Z_EN: 0
; COMPUTE_PGM_RSRC2:TIDIG_COMP_CNT: 0
; COMPUTE_PGM_RSRC3_GFX90A:ACCUM_OFFSET: 8
; COMPUTE_PGM_RSRC3_GFX90A:TG_SPLIT: 0
	.section	.text._ZN12tensorrt_llm7kernels32fusedQKNormRopeKernelNTokenHeadsIN3c104HalfENS2_8BFloat16ELi128ELb0ELi2EEEvPviiifPKvS7_S7_PKlii,"axG",@progbits,_ZN12tensorrt_llm7kernels32fusedQKNormRopeKernelNTokenHeadsIN3c104HalfENS2_8BFloat16ELi128ELb0ELi2EEEvPviiifPKvS7_S7_PKlii,comdat
	.protected	_ZN12tensorrt_llm7kernels32fusedQKNormRopeKernelNTokenHeadsIN3c104HalfENS2_8BFloat16ELi128ELb0ELi2EEEvPviiifPKvS7_S7_PKlii ; -- Begin function _ZN12tensorrt_llm7kernels32fusedQKNormRopeKernelNTokenHeadsIN3c104HalfENS2_8BFloat16ELi128ELb0ELi2EEEvPviiifPKvS7_S7_PKlii
	.globl	_ZN12tensorrt_llm7kernels32fusedQKNormRopeKernelNTokenHeadsIN3c104HalfENS2_8BFloat16ELi128ELb0ELi2EEEvPviiifPKvS7_S7_PKlii
	.p2align	8
	.type	_ZN12tensorrt_llm7kernels32fusedQKNormRopeKernelNTokenHeadsIN3c104HalfENS2_8BFloat16ELi128ELb0ELi2EEEvPviiifPKvS7_S7_PKlii,@function
_ZN12tensorrt_llm7kernels32fusedQKNormRopeKernelNTokenHeadsIN3c104HalfENS2_8BFloat16ELi128ELb0ELi2EEEvPviiifPKvS7_S7_PKlii: ; @_ZN12tensorrt_llm7kernels32fusedQKNormRopeKernelNTokenHeadsIN3c104HalfENS2_8BFloat16ELi128ELb0ELi2EEEvPviiifPKvS7_S7_PKlii
; %bb.0:
	s_load_dwordx4 s[12:15], s[4:5], 0x8
	s_load_dwordx2 s[2:3], s[4:5], 0x38
	s_load_dword s1, s[4:5], 0x4c
	v_lshrrev_b32_e32 v2, 5, v0
	s_waitcnt lgkmcnt(0)
	s_add_i32 s0, s13, s12
	s_add_i32 s7, s0, 1
	s_lshr_b32 s8, s7, 31
	s_add_i32 s7, s7, s8
	s_ashr_i32 s20, s7, 1
	s_abs_i32 s7, s20
	v_cvt_f32_u32_e32 v1, s7
	s_bfe_u32 s1, s1, 0xb0005
	s_mul_i32 s6, s6, s1
	v_rcp_iflag_f32_e32 v3, v1
	v_add_u32_e32 v1, s6, v2
	s_sub_i32 s6, 0, s7
	v_sub_u32_e32 v4, 0, v1
	v_mul_f32_e32 v3, 0x4f7ffffe, v3
	v_cvt_u32_f32_e32 v3, v3
	v_max_i32_e32 v4, v1, v4
	v_xor_b32_e32 v5, s20, v1
	v_ashrrev_i32_e32 v5, 31, v5
	v_mul_lo_u32 v6, s6, v3
	v_mul_hi_u32 v6, v3, v6
	v_add_u32_e32 v3, v3, v6
	v_mul_hi_u32 v3, v4, v3
	v_mul_lo_u32 v6, v3, s7
	v_sub_u32_e32 v4, v4, v6
	v_add_u32_e32 v6, 1, v3
	v_cmp_le_u32_e32 vcc, s7, v4
	v_cndmask_b32_e32 v3, v3, v6, vcc
	v_subrev_u32_e32 v6, s7, v4
	v_cndmask_b32_e32 v4, v4, v6, vcc
	v_add_u32_e32 v6, 1, v3
	v_cmp_le_u32_e32 vcc, s7, v4
	v_cndmask_b32_e32 v3, v3, v6, vcc
	v_xor_b32_e32 v3, v3, v5
	v_sub_u32_e32 v4, v3, v5
	v_cmp_gt_i32_e32 vcc, s2, v4
	s_and_saveexec_b64 s[6:7], vcc
	s_cbranch_execz .LBB57_12
; %bb.1:
	v_and_b32_e32 v8, 31, v0
	v_mul_lo_u32 v0, v4, s20
	v_sub_u32_e32 v0, v1, v0
	s_load_dwordx2 s[16:17], s[4:5], 0x0
	v_lshlrev_b32_e32 v6, 1, v0
	v_add_u32_e32 v0, 2, v6
	v_sub_u32_e32 v3, s0, v6
	v_cmp_lt_i32_e32 vcc, s0, v0
	v_cndmask_b32_e32 v7, 2, v3, vcc
	s_lshl_b32 s2, s3, 1
	s_mul_i32 s21, s2, s1
	v_lshlrev_b32_e32 v9, 9, v2
	v_cmp_lt_i32_e64 s[0:1], 0, v7
	v_lshlrev_b32_e32 v10, 3, v8
	v_lshlrev_b32_e32 v11, 8, v1
	s_and_saveexec_b64 s[6:7], s[0:1]
	s_cbranch_execz .LBB57_4
; %bb.2:
	s_add_i32 s8, s21, 0
	v_add3_u32 v3, s8, v9, v10
	s_add_i32 s8, s14, s13
	s_add_i32 s8, s8, s12
	s_lshl_b32 s9, s20, 1
	s_sub_i32 s8, s8, s9
	v_mul_lo_u32 v0, s8, v4
	v_lshl_add_u32 v0, v0, 7, v11
	s_mov_b32 s10, 0
	v_lshl_or_b32 v0, v8, 2, v0
	s_mov_b64 s[8:9], 0
	s_waitcnt lgkmcnt(0)
	v_mov_b32_e32 v5, s17
.LBB57_3:                               ; =>This Inner Loop Header: Depth=1
	v_ashrrev_i32_e32 v1, 31, v0
	v_lshlrev_b64 v[12:13], 1, v[0:1]
	v_add_co_u32_e32 v12, vcc, s16, v12
	v_addc_co_u32_e32 v13, vcc, v5, v13, vcc
	global_load_dwordx2 v[12:13], v[12:13], off
	s_add_i32 s10, s10, 1
	v_cmp_ge_i32_e32 vcc, s10, v7
	v_add_u32_e32 v0, 0x80, v0
	s_or_b64 s[8:9], vcc, s[8:9]
	s_waitcnt vmcnt(0)
	ds_write_b64 v3, v[12:13]
	v_add_u32_e32 v3, 0x100, v3
	s_andn2_b64 exec, exec, s[8:9]
	s_cbranch_execnz .LBB57_3
.LBB57_4:
	s_or_b64 exec, exec, s[6:7]
	s_add_i32 s2, s2, 15
	s_load_dwordx8 s[4:11], s[4:5], 0x18
	s_ashr_i32 s18, s2, 31
	s_lshr_b32 s18, s18, 28
	s_add_i32 s2, s2, s18
	s_ashr_i32 s2, s2, 4
	v_cmp_gt_i32_e32 vcc, s2, v8
	v_mul_lo_u32 v12, v2, s3
	s_and_saveexec_b64 s[18:19], vcc
	s_cbranch_execz .LBB57_7
; %bb.5:
	v_ashrrev_i32_e32 v5, 31, v4
	v_lshlrev_b64 v[0:1], 3, v[4:5]
	s_waitcnt lgkmcnt(0)
	v_mov_b32_e32 v2, s11
	v_add_co_u32_e32 v0, vcc, s10, v0
	v_addc_co_u32_e32 v1, vcc, v2, v1, vcc
	global_load_dwordx2 v[0:1], v[0:1], off
	s_ashr_i32 s22, s3, 31
	v_lshlrev_b32_e32 v3, 4, v8
	v_lshlrev_b32_e32 v2, 1, v12
	v_mov_b32_e32 v5, s9
	s_mov_b64 s[10:11], 0
	v_add3_u32 v2, v2, v3, 0
	s_waitcnt vmcnt(0)
	v_mul_lo_u32 v13, v1, s3
	v_mul_lo_u32 v14, v0, s22
	v_mad_u64_u32 v[0:1], s[22:23], v0, s3, 0
	v_add3_u32 v1, v1, v14, v13
	v_lshlrev_b64 v[0:1], 1, v[0:1]
	v_add_co_u32_e32 v0, vcc, v0, v3
	v_addc_co_u32_e32 v1, vcc, 0, v1, vcc
	v_add_co_u32_e32 v0, vcc, s8, v0
	v_addc_co_u32_e32 v1, vcc, v5, v1, vcc
	v_mov_b32_e32 v3, v8
.LBB57_6:                               ; =>This Inner Loop Header: Depth=1
	global_load_dwordx4 v[14:17], v[0:1], off
	v_add_co_u32_e32 v0, vcc, 0x200, v0
	v_add_u32_e32 v3, 32, v3
	v_addc_co_u32_e32 v1, vcc, 0, v1, vcc
	v_cmp_le_i32_e32 vcc, s2, v3
	s_or_b64 s[10:11], vcc, s[10:11]
	s_waitcnt vmcnt(0)
	ds_write_b128 v2, v[14:17]
	v_add_u32_e32 v2, 0x200, v2
	s_andn2_b64 exec, exec, s[10:11]
	s_cbranch_execnz .LBB57_6
.LBB57_7:
	s_or_b64 exec, exec, s[18:19]
	s_and_b64 exec, exec, s[0:1]
	s_cbranch_execz .LBB57_12
; %bb.8:
	s_waitcnt lgkmcnt(0)
	global_load_dwordx2 v[0:1], v10, s[4:5]
	global_load_dwordx2 v[2:3], v10, s[6:7]
	v_lshl_add_u32 v5, v12, 1, 0
	v_mbcnt_lo_u32_b32 v12, -1, 0
	s_abs_i32 s4, s3
	v_mbcnt_hi_u32_b32 v17, -1, v12
	v_cvt_f32_u32_e32 v14, s4
	v_and_b32_e32 v12, 0x60, v17
	v_xor_b32_e32 v13, 16, v17
	v_add_u32_e32 v12, 32, v12
	v_xor_b32_e32 v15, 8, v17
	v_cmp_lt_i32_e32 vcc, v13, v12
	v_xor_b32_e32 v16, 4, v17
	v_cndmask_b32_e32 v13, v17, v13, vcc
	v_cmp_lt_i32_e32 vcc, v15, v12
	v_rcp_iflag_f32_e32 v23, v14
	v_xor_b32_e32 v19, 2, v17
	v_cndmask_b32_e32 v15, v17, v15, vcc
	v_cmp_lt_i32_e32 vcc, v16, v12
	v_cndmask_b32_e32 v16, v17, v16, vcc
	v_cmp_lt_i32_e32 vcc, v19, v12
	v_xor_b32_e32 v20, 1, v17
	v_cndmask_b32_e32 v19, v17, v19, vcc
	v_cmp_lt_i32_e32 vcc, v20, v12
	v_lshlrev_b32_e32 v12, 2, v13
	v_lshlrev_b32_e32 v13, 2, v15
	;; [unrolled: 1-line block ×3, first 2 shown]
	v_mul_f32_e32 v19, 0x4f7ffffe, v23
	v_cvt_u32_f32_e32 v19, v19
	s_sub_i32 s5, 0, s4
	v_cndmask_b32_e32 v20, v17, v20, vcc
	s_ashr_i32 s1, s3, 31
	v_lshlrev_b32_e32 v14, 2, v16
	v_lshlrev_b32_e32 v16, 2, v20
	v_mul_lo_u32 v20, s5, v19
	s_lshr_b32 s2, s1, 30
	s_lshr_b32 s1, s1, 29
	v_mul_hi_u32 v20, v19, v20
	s_lshr_b32 s0, s3, 31
	s_add_i32 s1, s3, s1
	v_add_u32_e32 v30, v19, v20
	v_or_b32_e32 v18, 2, v10
	s_add_i32 s0, s3, s0
	v_and_b32_e32 v21, 64, v17
	s_ashr_i32 s1, s1, 3
	v_mul_hi_u32 v19, v10, v30
	s_and_b32 s0, s0, -2
	s_add_i32 s2, s3, s2
	v_add_u32_e32 v21, 64, v21
	v_xor_b32_e32 v22, s1, v17
	v_mul_hi_u32 v20, v18, v30
	v_mul_lo_u32 v19, v19, s4
	v_add_u32_e32 v29, s0, v5
	s_ashr_i32 s0, s2, 2
	v_cmp_lt_i32_e64 s[2:3], v22, v21
	v_mul_lo_u32 v20, v20, s4
	v_sub_u32_e32 v19, v10, v19
	v_or_b32_e32 v26, 4, v10
	v_cndmask_b32_e64 v17, v17, v22, s[2:3]
	v_sub_u32_e32 v18, v18, v20
	v_subrev_u32_e32 v20, s4, v19
	v_cmp_le_u32_e64 s[2:3], s4, v19
	v_subrev_u32_e32 v21, s4, v18
	v_cndmask_b32_e64 v19, v19, v20, s[2:3]
	v_cmp_le_u32_e64 s[2:3], s4, v18
	v_mul_hi_u32 v27, v26, v30
	v_cndmask_b32_e64 v24, v18, v21, s[2:3]
	v_subrev_u32_e32 v18, s4, v19
	v_cmp_le_u32_e64 s[2:3], s4, v19
	v_mul_lo_u32 v27, v27, s4
	v_or_b32_e32 v28, 6, v10
	v_cndmask_b32_e64 v18, v19, v18, s[2:3]
	v_subrev_u32_e32 v25, s4, v24
	v_cmp_le_u32_e64 s[2:3], s4, v24
	v_sub_u32_e32 v26, v26, v27
	v_cndmask_b32_e64 v24, v24, v25, s[2:3]
	v_subrev_u32_e32 v27, s4, v26
	v_cmp_le_u32_e64 s[2:3], s4, v26
	v_mul_hi_u32 v30, v28, v30
	v_cndmask_b32_e64 v26, v26, v27, s[2:3]
	v_mul_lo_u32 v30, v30, s4
	v_subrev_u32_e32 v27, s4, v26
	v_cmp_le_u32_e64 s[2:3], s4, v26
	v_sub_u32_e32 v28, v28, v30
	v_cndmask_b32_e64 v26, v26, v27, s[2:3]
	v_subrev_u32_e32 v30, s4, v28
	v_cmp_le_u32_e64 s[2:3], s4, v28
	v_cndmask_b32_e64 v28, v28, v30, s[2:3]
	v_subrev_u32_e32 v30, s4, v28
	v_cmp_le_u32_e64 s[2:3], s4, v28
	v_cndmask_b32_e64 v28, v28, v30, s[2:3]
	s_add_i32 s2, s14, s13
	s_add_i32 s2, s2, s12
	s_lshl_b32 s3, s20, 1
	s_sub_i32 s2, s2, s3
	v_and_b32_e32 v19, -2, v18
	v_and_b32_e32 v25, -2, v24
	;; [unrolled: 1-line block ×4, first 2 shown]
	v_mul_lo_u32 v4, s2, v4
	v_add_u32_e32 v18, v5, v19
	v_add_u32_e32 v24, v5, v25
	;; [unrolled: 1-line block ×4, first 2 shown]
	v_lshl_add_u32 v4, v4, 7, v11
	v_add_u32_e32 v5, s21, v9
	s_mov_b32 s6, 0
	v_cmp_gt_i32_e32 vcc, s0, v8
	v_cmp_gt_i32_e64 s[0:1], s1, v8
	v_lshlrev_b32_e32 v17, 2, v17
	v_add_u32_e32 v19, v29, v19
	s_waitcnt vmcnt(1)
	v_lshrrev_b32_e32 v20, 16, v0
	v_lshrrev_b32_e32 v21, 16, v1
	s_waitcnt vmcnt(0)
	v_lshrrev_b32_e32 v22, 16, v2
	v_lshrrev_b32_e32 v23, 16, v3
	v_add_u32_e32 v25, v29, v25
	v_add_u32_e32 v27, v29, v27
	;; [unrolled: 1-line block ×3, first 2 shown]
	v_lshl_or_b32 v4, v8, 2, v4
	v_add3_u32 v8, v5, v10, 0
	s_mov_b64 s[4:5], 0
	s_mov_b32 s7, 0x800000
	v_mov_b32_e32 v9, s15
	s_branch .LBB57_10
.LBB57_9:                               ;   in Loop: Header=BB57_10 Depth=1
	s_or_b64 exec, exec, s[2:3]
	v_cvt_f16_f32_e32 v33, v5
	v_ashrrev_i32_e32 v5, 31, v4
	v_cvt_f16_f32_e32 v30, v30
	v_cvt_f16_f32_e32 v32, v11
	v_cvt_f16_f32_e32 v31, v10
	v_lshlrev_b64 v[10:11], 1, v[4:5]
	v_mov_b32_e32 v5, s17
	v_add_co_u32_e64 v10, s[2:3], s16, v10
	v_addc_co_u32_e64 v11, s[2:3], v5, v11, s[2:3]
	s_add_i32 s6, s6, 1
	v_cmp_ge_i32_e64 s[2:3], s6, v7
	v_pack_b32_f16 v31, v31, v33
	v_pack_b32_f16 v30, v30, v32
	v_add_u32_e32 v4, 0x80, v4
	s_or_b64 s[4:5], s[2:3], s[4:5]
	v_add_u32_e32 v8, 0x100, v8
	global_store_dwordx2 v[10:11], v[30:31], off
	s_andn2_b64 exec, exec, s[4:5]
	s_cbranch_execz .LBB57_12
.LBB57_10:                              ; =>This Inner Loop Header: Depth=1
	ds_read_b64 v[10:11], v8
	v_add_u32_e32 v32, s6, v6
	v_mov_b32_e32 v33, v9
	v_cmp_gt_i32_e64 s[2:3], s12, v32
	v_cndmask_b32_e64 v32, v2, v0, s[2:3]
	s_waitcnt lgkmcnt(0)
	v_cvt_f32_f16_sdwa v5, v10 dst_sel:DWORD dst_unused:UNUSED_PAD src0_sel:WORD_1
	v_cndmask_b32_e64 v34, v22, v20, s[2:3]
	v_cndmask_b32_e64 v35, v3, v1, s[2:3]
	;; [unrolled: 1-line block ×3, first 2 shown]
	v_mul_f32_e32 v30, v5, v5
	v_fma_mix_f32 v30, v10, v10, v30 op_sel_hi:[1,1,0]
	v_fma_mix_f32 v30, v11, v11, v30 op_sel_hi:[1,1,0]
	v_fma_mix_f32 v30, v11, v11, v30 op_sel:[1,1,0] op_sel_hi:[1,1,0]
	ds_bpermute_b32 v31, v12, v30
	v_cvt_f32_f16_e32 v32, v32
	v_cvt_f32_f16_e32 v34, v34
	;; [unrolled: 1-line block ×4, first 2 shown]
	s_waitcnt lgkmcnt(0)
	v_add_f32_e32 v30, v30, v31
	ds_bpermute_b32 v31, v13, v30
	v_cvt_f32_f16_e32 v10, v10
	s_waitcnt lgkmcnt(0)
	v_add_f32_e32 v30, v30, v31
	ds_bpermute_b32 v31, v14, v30
	s_waitcnt lgkmcnt(0)
	v_add_f32_e32 v30, v30, v31
	ds_bpermute_b32 v31, v15, v30
	;; [unrolled: 3-line block ×3, first 2 shown]
	s_waitcnt lgkmcnt(0)
	v_add_f32_e32 v30, v30, v31
	v_fmac_f32_e32 v33, 0x3c000000, v30
	v_mul_f32_e32 v30, 0x4b800000, v33
	v_cmp_gt_f32_e64 s[2:3], s7, v33
	v_cndmask_b32_e64 v30, v33, v30, s[2:3]
	v_rsq_f32_e32 v30, v30
	v_cvt_f32_f16_e32 v31, v11
	v_cvt_f32_f16_sdwa v33, v11 dst_sel:DWORD dst_unused:UNUSED_PAD src0_sel:WORD_1
	v_mul_f32_e32 v11, 0x45800000, v30
	v_cndmask_b32_e64 v11, v30, v11, s[2:3]
	v_mul_f32_e32 v30, v11, v32
	v_mul_f32_e32 v32, v11, v34
	v_mul_f32_e32 v34, v11, v35
	v_mul_f32_e32 v35, v11, v36
	v_mul_f32_e32 v30, v30, v10
	v_mul_f32_e32 v11, v32, v5
	v_mul_f32_e32 v10, v34, v31
	v_mul_f32_e32 v5, v35, v33
	s_and_saveexec_b64 s[2:3], vcc
	s_cbranch_execz .LBB57_9
; %bb.11:                               ;   in Loop: Header=BB57_10 Depth=1
	ds_bpermute_b32 v31, v17, v30
	ds_bpermute_b32 v32, v17, v11
	; wave barrier
	ds_read_u16 v33, v18
	ds_read_u16 v34, v19
	;; [unrolled: 1-line block ×8, first 2 shown]
	s_waitcnt lgkmcnt(9)
	v_cndmask_b32_e64 v31, v31, -v31, s[0:1]
	s_waitcnt lgkmcnt(6)
	v_lshlrev_b32_e32 v34, 16, v34
	v_lshlrev_b32_e32 v33, 16, v33
	v_mul_f32_e32 v31, v31, v34
	v_fmac_f32_e32 v31, v30, v33
	v_cndmask_b32_e64 v30, v32, -v32, s[0:1]
	ds_bpermute_b32 v32, v17, v10
	s_waitcnt lgkmcnt(5)
	v_lshlrev_b32_e32 v34, 16, v36
	v_mul_f32_e32 v34, v30, v34
	ds_bpermute_b32 v30, v17, v5
	v_lshlrev_b32_e32 v33, 16, v35
	v_fmac_f32_e32 v34, v11, v33
	s_waitcnt lgkmcnt(1)
	v_cndmask_b32_e64 v11, v32, -v32, s[0:1]
	v_lshlrev_b32_e32 v33, 16, v38
	v_lshlrev_b32_e32 v32, 16, v37
	v_mul_f32_e32 v33, v11, v33
	v_fmac_f32_e32 v33, v10, v32
	s_waitcnt lgkmcnt(0)
	v_cndmask_b32_e64 v10, v30, -v30, s[0:1]
	v_lshlrev_b32_e32 v30, 16, v40
	v_lshlrev_b32_e32 v11, 16, v39
	v_mul_f32_e32 v32, v10, v30
	v_fmac_f32_e32 v32, v5, v11
	v_mov_b32_e32 v30, v31
	v_mov_b32_e32 v11, v34
	;; [unrolled: 1-line block ×4, first 2 shown]
	; wave barrier
	s_branch .LBB57_9
.LBB57_12:
	s_endpgm
	.section	.rodata,"a",@progbits
	.p2align	6, 0x0
	.amdhsa_kernel _ZN12tensorrt_llm7kernels32fusedQKNormRopeKernelNTokenHeadsIN3c104HalfENS2_8BFloat16ELi128ELb0ELi2EEEvPviiifPKvS7_S7_PKlii
		.amdhsa_group_segment_fixed_size 0
		.amdhsa_private_segment_fixed_size 0
		.amdhsa_kernarg_size 320
		.amdhsa_user_sgpr_count 6
		.amdhsa_user_sgpr_private_segment_buffer 1
		.amdhsa_user_sgpr_dispatch_ptr 0
		.amdhsa_user_sgpr_queue_ptr 0
		.amdhsa_user_sgpr_kernarg_segment_ptr 1
		.amdhsa_user_sgpr_dispatch_id 0
		.amdhsa_user_sgpr_flat_scratch_init 0
		.amdhsa_user_sgpr_kernarg_preload_length 0
		.amdhsa_user_sgpr_kernarg_preload_offset 0
		.amdhsa_user_sgpr_private_segment_size 0
		.amdhsa_uses_dynamic_stack 0
		.amdhsa_system_sgpr_private_segment_wavefront_offset 0
		.amdhsa_system_sgpr_workgroup_id_x 1
		.amdhsa_system_sgpr_workgroup_id_y 0
		.amdhsa_system_sgpr_workgroup_id_z 0
		.amdhsa_system_sgpr_workgroup_info 0
		.amdhsa_system_vgpr_workitem_id 0
		.amdhsa_next_free_vgpr 41
		.amdhsa_next_free_sgpr 24
		.amdhsa_accum_offset 44
		.amdhsa_reserve_vcc 1
		.amdhsa_reserve_flat_scratch 0
		.amdhsa_float_round_mode_32 0
		.amdhsa_float_round_mode_16_64 0
		.amdhsa_float_denorm_mode_32 3
		.amdhsa_float_denorm_mode_16_64 3
		.amdhsa_dx10_clamp 1
		.amdhsa_ieee_mode 1
		.amdhsa_fp16_overflow 0
		.amdhsa_tg_split 0
		.amdhsa_exception_fp_ieee_invalid_op 0
		.amdhsa_exception_fp_denorm_src 0
		.amdhsa_exception_fp_ieee_div_zero 0
		.amdhsa_exception_fp_ieee_overflow 0
		.amdhsa_exception_fp_ieee_underflow 0
		.amdhsa_exception_fp_ieee_inexact 0
		.amdhsa_exception_int_div_zero 0
	.end_amdhsa_kernel
	.section	.text._ZN12tensorrt_llm7kernels32fusedQKNormRopeKernelNTokenHeadsIN3c104HalfENS2_8BFloat16ELi128ELb0ELi2EEEvPviiifPKvS7_S7_PKlii,"axG",@progbits,_ZN12tensorrt_llm7kernels32fusedQKNormRopeKernelNTokenHeadsIN3c104HalfENS2_8BFloat16ELi128ELb0ELi2EEEvPviiifPKvS7_S7_PKlii,comdat
.Lfunc_end57:
	.size	_ZN12tensorrt_llm7kernels32fusedQKNormRopeKernelNTokenHeadsIN3c104HalfENS2_8BFloat16ELi128ELb0ELi2EEEvPviiifPKvS7_S7_PKlii, .Lfunc_end57-_ZN12tensorrt_llm7kernels32fusedQKNormRopeKernelNTokenHeadsIN3c104HalfENS2_8BFloat16ELi128ELb0ELi2EEEvPviiifPKvS7_S7_PKlii
                                        ; -- End function
	.section	.AMDGPU.csdata,"",@progbits
; Kernel info:
; codeLenInByte = 2004
; NumSgprs: 28
; NumVgprs: 41
; NumAgprs: 0
; TotalNumVgprs: 41
; ScratchSize: 0
; MemoryBound: 0
; FloatMode: 240
; IeeeMode: 1
; LDSByteSize: 0 bytes/workgroup (compile time only)
; SGPRBlocks: 3
; VGPRBlocks: 5
; NumSGPRsForWavesPerEU: 28
; NumVGPRsForWavesPerEU: 41
; AccumOffset: 44
; Occupancy: 8
; WaveLimiterHint : 0
; COMPUTE_PGM_RSRC2:SCRATCH_EN: 0
; COMPUTE_PGM_RSRC2:USER_SGPR: 6
; COMPUTE_PGM_RSRC2:TRAP_HANDLER: 0
; COMPUTE_PGM_RSRC2:TGID_X_EN: 1
; COMPUTE_PGM_RSRC2:TGID_Y_EN: 0
; COMPUTE_PGM_RSRC2:TGID_Z_EN: 0
; COMPUTE_PGM_RSRC2:TIDIG_COMP_CNT: 0
; COMPUTE_PGM_RSRC3_GFX90A:ACCUM_OFFSET: 10
; COMPUTE_PGM_RSRC3_GFX90A:TG_SPLIT: 0
	.section	.text._ZN12tensorrt_llm7kernels32fusedQKNormRopeKernelNTokenHeadsIN3c104HalfENS2_8BFloat16ELi256ELb1ELi2EEEvPviiifPKvS7_S7_PKlii,"axG",@progbits,_ZN12tensorrt_llm7kernels32fusedQKNormRopeKernelNTokenHeadsIN3c104HalfENS2_8BFloat16ELi256ELb1ELi2EEEvPviiifPKvS7_S7_PKlii,comdat
	.protected	_ZN12tensorrt_llm7kernels32fusedQKNormRopeKernelNTokenHeadsIN3c104HalfENS2_8BFloat16ELi256ELb1ELi2EEEvPviiifPKvS7_S7_PKlii ; -- Begin function _ZN12tensorrt_llm7kernels32fusedQKNormRopeKernelNTokenHeadsIN3c104HalfENS2_8BFloat16ELi256ELb1ELi2EEEvPviiifPKvS7_S7_PKlii
	.globl	_ZN12tensorrt_llm7kernels32fusedQKNormRopeKernelNTokenHeadsIN3c104HalfENS2_8BFloat16ELi256ELb1ELi2EEEvPviiifPKvS7_S7_PKlii
	.p2align	8
	.type	_ZN12tensorrt_llm7kernels32fusedQKNormRopeKernelNTokenHeadsIN3c104HalfENS2_8BFloat16ELi256ELb1ELi2EEEvPviiifPKvS7_S7_PKlii,@function
_ZN12tensorrt_llm7kernels32fusedQKNormRopeKernelNTokenHeadsIN3c104HalfENS2_8BFloat16ELi256ELb1ELi2EEEvPviiifPKvS7_S7_PKlii: ; @_ZN12tensorrt_llm7kernels32fusedQKNormRopeKernelNTokenHeadsIN3c104HalfENS2_8BFloat16ELi256ELb1ELi2EEEvPviiifPKvS7_S7_PKlii
; %bb.0:
	s_load_dwordx4 s[12:15], s[4:5], 0x8
	s_load_dwordx2 s[16:17], s[4:5], 0x38
	s_load_dword s1, s[4:5], 0x4c
	v_lshrrev_b32_e32 v1, 5, v0
	s_waitcnt lgkmcnt(0)
	s_add_i32 s0, s13, s12
	s_add_i32 s2, s0, 1
	s_lshr_b32 s3, s2, 31
	s_add_i32 s2, s2, s3
	s_ashr_i32 s20, s2, 1
	s_abs_i32 s2, s20
	v_cvt_f32_u32_e32 v2, s2
	s_bfe_u32 s1, s1, 0xb0005
	s_mul_i32 s6, s6, s1
	s_sub_i32 s3, 0, s2
	v_rcp_iflag_f32_e32 v3, v2
	v_add_u32_e32 v2, s6, v1
	v_sub_u32_e32 v4, 0, v2
	v_max_i32_e32 v4, v2, v4
	v_mul_f32_e32 v3, 0x4f7ffffe, v3
	v_cvt_u32_f32_e32 v3, v3
	v_xor_b32_e32 v5, s20, v2
	v_ashrrev_i32_e32 v5, 31, v5
	v_mul_lo_u32 v6, s3, v3
	v_mul_hi_u32 v6, v3, v6
	v_add_u32_e32 v3, v3, v6
	v_mul_hi_u32 v3, v4, v3
	v_mul_lo_u32 v6, v3, s2
	v_sub_u32_e32 v4, v4, v6
	v_add_u32_e32 v6, 1, v3
	v_cmp_le_u32_e32 vcc, s2, v4
	v_cndmask_b32_e32 v3, v3, v6, vcc
	v_subrev_u32_e32 v6, s2, v4
	v_cndmask_b32_e32 v4, v4, v6, vcc
	v_add_u32_e32 v6, 1, v3
	v_cmp_le_u32_e32 vcc, s2, v4
	v_cndmask_b32_e32 v3, v3, v6, vcc
	v_xor_b32_e32 v3, v3, v5
	v_sub_u32_e32 v8, v3, v5
	v_cmp_gt_i32_e32 vcc, s16, v8
	s_and_saveexec_b64 s[2:3], vcc
	s_cbranch_execz .LBB58_12
; %bb.1:
	v_mul_lo_u32 v3, v8, s20
	v_sub_u32_e32 v3, v2, v3
	s_load_dwordx2 s[2:3], s[4:5], 0x0
	v_lshlrev_b32_e32 v18, 1, v3
	v_add_u32_e32 v3, 2, v18
	v_sub_u32_e32 v4, s0, v18
	v_cmp_lt_i32_e32 vcc, s0, v3
	v_and_b32_e32 v10, 31, v0
	v_cndmask_b32_e32 v19, 2, v4, vcc
	s_lshl_b32 s18, s17, 1
	s_mul_i32 s16, s18, s1
	v_lshlrev_b32_e32 v13, 10, v1
	v_cmp_lt_i32_e64 s[0:1], 0, v19
	v_lshlrev_b32_e32 v12, 4, v10
	v_lshlrev_b32_e32 v11, 9, v2
	s_and_saveexec_b64 s[6:7], s[0:1]
	s_cbranch_execz .LBB58_4
; %bb.2:
	s_add_i32 s8, s16, 0
	v_add3_u32 v4, s8, v13, v12
	s_add_i32 s8, s14, s13
	s_add_i32 s8, s8, s12
	s_lshl_b32 s9, s20, 1
	s_sub_i32 s8, s8, s9
	v_mul_lo_u32 v2, s8, v8
	v_lshl_add_u32 v2, v2, 8, v11
	s_mov_b32 s10, 0
	v_lshl_or_b32 v2, v10, 3, v2
	s_mov_b64 s[8:9], 0
	s_waitcnt lgkmcnt(0)
	v_mov_b32_e32 v5, s3
.LBB58_3:                               ; =>This Inner Loop Header: Depth=1
	v_ashrrev_i32_e32 v3, 31, v2
	v_lshlrev_b64 v[6:7], 1, v[2:3]
	v_add_co_u32_e32 v6, vcc, s2, v6
	v_addc_co_u32_e32 v7, vcc, v5, v7, vcc
	global_load_dwordx4 v[14:17], v[6:7], off
	s_add_i32 s10, s10, 1
	v_cmp_ge_i32_e32 vcc, s10, v19
	v_add_u32_e32 v2, 0x100, v2
	s_or_b64 s[8:9], vcc, s[8:9]
	s_waitcnt vmcnt(0)
	ds_write_b128 v4, v[14:17]
	v_add_u32_e32 v4, 0x200, v4
	s_andn2_b64 exec, exec, s[8:9]
	s_cbranch_execnz .LBB58_3
.LBB58_4:
	s_or_b64 exec, exec, s[6:7]
	s_add_i32 s18, s18, 15
	s_load_dwordx8 s[4:11], s[4:5], 0x18
	s_ashr_i32 s19, s18, 31
	s_lshr_b32 s19, s19, 28
	s_add_i32 s18, s18, s19
	s_ashr_i32 s21, s18, 4
	v_mul_lo_u32 v1, v1, s17
	v_cmp_gt_i32_e32 vcc, s21, v10
	v_lshlrev_b32_e32 v14, 1, v1
	s_and_saveexec_b64 s[18:19], vcc
	s_cbranch_execz .LBB58_7
; %bb.5:
	v_ashrrev_i32_e32 v9, 31, v8
	v_lshlrev_b64 v[2:3], 3, v[8:9]
	s_waitcnt lgkmcnt(0)
	v_mov_b32_e32 v1, s11
	v_add_co_u32_e32 v2, vcc, s10, v2
	v_addc_co_u32_e32 v3, vcc, v1, v3, vcc
	global_load_dwordx2 v[4:5], v[2:3], off
	s_ashr_i32 s22, s17, 31
	v_and_b32_e32 v0, 31, v0
	v_lshlrev_b32_e32 v6, 4, v0
	v_mov_b32_e32 v3, s9
	v_add3_u32 v2, v14, v12, 0
	s_mov_b64 s[10:11], 0
	s_waitcnt vmcnt(0)
	v_mul_lo_u32 v5, v5, s17
	v_mul_lo_u32 v7, v4, s22
	v_mad_u64_u32 v[0:1], s[22:23], v4, s17, 0
	v_add3_u32 v1, v1, v7, v5
	v_lshlrev_b64 v[0:1], 1, v[0:1]
	v_add_co_u32_e32 v0, vcc, v0, v6
	v_addc_co_u32_e32 v1, vcc, 0, v1, vcc
	v_add_co_u32_e32 v0, vcc, s8, v0
	v_addc_co_u32_e32 v1, vcc, v3, v1, vcc
	v_mov_b32_e32 v3, v10
.LBB58_6:                               ; =>This Inner Loop Header: Depth=1
	global_load_dwordx4 v[4:7], v[0:1], off
	v_add_co_u32_e32 v0, vcc, 0x200, v0
	v_add_u32_e32 v3, 32, v3
	v_addc_co_u32_e32 v1, vcc, 0, v1, vcc
	v_cmp_le_i32_e32 vcc, s21, v3
	s_or_b64 s[10:11], vcc, s[10:11]
	s_waitcnt vmcnt(0)
	ds_write_b128 v2, v[4:7]
	v_add_u32_e32 v2, 0x200, v2
	s_andn2_b64 exec, exec, s[10:11]
	s_cbranch_execnz .LBB58_6
.LBB58_7:
	s_or_b64 exec, exec, s[18:19]
	s_and_b64 exec, exec, s[0:1]
	s_cbranch_execz .LBB58_12
; %bb.8:
	s_waitcnt lgkmcnt(0)
	global_load_dwordx4 v[0:3], v12, s[4:5]
	global_load_dwordx4 v[4:7], v12, s[6:7]
	v_mbcnt_lo_u32_b32 v15, -1, 0
	v_add_u32_e32 v13, s16, v13
	v_mbcnt_hi_u32_b32 v15, -1, v15
	v_add3_u32 v22, v13, v12, 0
	v_and_b32_e32 v12, 0x60, v15
	v_lshlrev_b32_e32 v9, 3, v10
	v_xor_b32_e32 v13, 16, v15
	v_add_u32_e32 v12, 32, v12
	v_add3_u32 v21, 0, v14, v9
	v_xor_b32_e32 v14, 8, v15
	v_cmp_lt_i32_e32 vcc, v13, v12
	s_add_i32 s8, s14, s13
	v_xor_b32_e32 v16, 4, v15
	v_cndmask_b32_e32 v13, v15, v13, vcc
	v_cmp_lt_i32_e32 vcc, v14, v12
	s_ashr_i32 s1, s17, 31
	s_lshl_b32 s9, s20, 1
	s_add_i32 s8, s8, s12
	v_xor_b32_e32 v17, 2, v15
	v_cndmask_b32_e32 v14, v15, v14, vcc
	v_cmp_lt_i32_e32 vcc, v16, v12
	s_lshr_b32 s0, s17, 31
	s_lshr_b32 s1, s1, 29
	v_xor_b32_e32 v24, 1, v15
	s_sub_i32 s8, s8, s9
	v_cndmask_b32_e32 v16, v15, v16, vcc
	v_cmp_lt_i32_e32 vcc, v17, v12
	s_add_i32 s0, s17, s0
	s_add_i32 s1, s17, s1
	v_mul_lo_u32 v8, s8, v8
	v_cndmask_b32_e32 v17, v15, v17, vcc
	v_cmp_lt_i32_e32 vcc, v24, v12
	s_and_b32 s0, s0, -2
	s_ashr_i32 s1, s1, 3
	v_cndmask_b32_e32 v12, v15, v24, vcc
	v_lshl_add_u32 v8, v8, 8, v11
	s_mov_b32 s6, 0
	s_mov_b64 s[4:5], 0
	v_mov_b32_e32 v20, s15
	s_mov_b32 s7, 0x800000
	v_add_u32_e32 v23, s0, v21
	v_cmp_gt_i32_e32 vcc, s1, v10
	v_lshlrev_b32_e32 v24, 2, v13
	v_lshlrev_b32_e32 v25, 2, v14
	;; [unrolled: 1-line block ×5, first 2 shown]
	v_or_b32_e32 v8, v8, v9
	s_waitcnt vmcnt(1)
	v_lshrrev_b32_e32 v29, 16, v0
	s_waitcnt vmcnt(0)
	v_lshrrev_b32_e32 v30, 16, v4
	v_lshrrev_b32_e32 v31, 16, v1
	;; [unrolled: 1-line block ×7, first 2 shown]
	s_branch .LBB58_10
.LBB58_9:                               ;   in Loop: Header=BB58_10 Depth=1
	s_or_b64 exec, exec, s[0:1]
	v_ashrrev_i32_e32 v9, 31, v8
	v_cvt_f16_f32_e32 v37, v10
	v_cvt_f16_f32_e32 v38, v11
	;; [unrolled: 1-line block ×8, first 2 shown]
	v_lshlrev_b64 v[10:11], 1, v[8:9]
	v_mov_b32_e32 v9, s3
	v_add_co_u32_e64 v14, s[0:1], s2, v10
	v_addc_co_u32_e64 v15, s[0:1], v9, v11, s[0:1]
	s_add_i32 s6, s6, 1
	v_cmp_ge_i32_e64 s[0:1], s6, v19
	v_pack_b32_f16 v13, v13, v16
	v_pack_b32_f16 v12, v12, v41
	v_pack_b32_f16 v11, v39, v40
	v_pack_b32_f16 v10, v37, v38
	v_add_u32_e32 v8, 0x100, v8
	s_or_b64 s[4:5], s[0:1], s[4:5]
	v_add_u32_e32 v22, 0x200, v22
	global_store_dwordx4 v[14:15], v[10:13], off
	s_andn2_b64 exec, exec, s[4:5]
	s_cbranch_execz .LBB58_12
.LBB58_10:                              ; =>This Inner Loop Header: Depth=1
	ds_read_b128 v[10:13], v22
	v_mov_b32_e32 v37, v20
	s_waitcnt lgkmcnt(0)
	v_cvt_f32_f16_sdwa v15, v10 dst_sel:DWORD dst_unused:UNUSED_PAD src0_sel:WORD_1
	v_cvt_f32_f16_e32 v14, v10
	v_cvt_f32_f16_sdwa v39, v11 dst_sel:DWORD dst_unused:UNUSED_PAD src0_sel:WORD_1
	v_cvt_f32_f16_e32 v38, v11
	;; [unrolled: 2-line block ×4, first 2 shown]
	v_pk_mul_f32 v[12:13], v[14:15], v[14:15]
	v_pk_mul_f32 v[42:43], v[38:39], v[38:39]
	v_add_f32_e32 v9, v12, v13
	v_add_f32_e32 v9, v9, v42
	v_pk_mul_f32 v[44:45], v[40:41], v[40:41]
	v_add_f32_e32 v9, v9, v43
	v_add_f32_e32 v9, v9, v44
	v_pk_mul_f32 v[10:11], v[16:17], v[16:17]
	v_add_f32_e32 v9, v9, v45
	v_add_f32_e32 v9, v9, v10
	v_add_f32_e32 v9, v9, v11
	ds_bpermute_b32 v10, v24, v9
	v_add_u32_e32 v11, s6, v18
	v_cmp_gt_i32_e64 s[0:1], s12, v11
	v_cndmask_b32_e64 v11, v30, v29, s[0:1]
	v_cndmask_b32_e64 v12, v4, v0, s[0:1]
	s_waitcnt lgkmcnt(0)
	v_add_f32_e32 v9, v9, v10
	ds_bpermute_b32 v10, v25, v9
	v_cndmask_b32_e64 v13, v32, v31, s[0:1]
	v_cndmask_b32_e64 v42, v5, v1, s[0:1]
	;; [unrolled: 1-line block ×4, first 2 shown]
	s_waitcnt lgkmcnt(0)
	v_add_f32_e32 v9, v9, v10
	ds_bpermute_b32 v10, v26, v9
	v_cndmask_b32_e64 v45, v36, v35, s[0:1]
	v_cndmask_b32_e64 v47, v7, v3, s[0:1]
	v_cvt_f32_f16_e32 v11, v11
	v_cvt_f32_f16_e32 v13, v13
	s_waitcnt lgkmcnt(0)
	v_add_f32_e32 v9, v9, v10
	ds_bpermute_b32 v10, v27, v9
	v_cvt_f32_f16_e32 v43, v43
	v_cvt_f32_f16_e32 v45, v45
	s_waitcnt lgkmcnt(0)
	v_add_f32_e32 v9, v9, v10
	ds_bpermute_b32 v46, v28, v9
	v_cvt_f32_f16_e32 v10, v12
	v_cvt_f32_f16_e32 v12, v42
	;; [unrolled: 1-line block ×4, first 2 shown]
	s_waitcnt lgkmcnt(0)
	v_add_f32_e32 v9, v9, v46
	v_fmac_f32_e32 v37, 0x3b800000, v9
	v_mul_f32_e32 v9, 0x4b800000, v37
	v_cmp_gt_f32_e64 s[0:1], s7, v37
	v_cndmask_b32_e64 v9, v37, v9, s[0:1]
	v_rsq_f32_e32 v9, v9
	v_mul_f32_e32 v37, 0x45800000, v9
	v_cndmask_b32_e64 v46, v9, v37, s[0:1]
	v_pk_mul_f32 v[10:11], v[46:47], v[10:11] op_sel_hi:[0,1]
	v_pk_mul_f32 v[12:13], v[46:47], v[12:13] op_sel_hi:[0,1]
	v_pk_mul_f32 v[10:11], v[10:11], v[14:15]
	v_pk_mul_f32 v[12:13], v[12:13], v[38:39]
	v_pk_mul_f32 v[14:15], v[46:47], v[42:43] op_sel_hi:[0,1]
	v_pk_mul_f32 v[38:39], v[46:47], v[44:45] op_sel_hi:[0,1]
	v_pk_mul_f32 v[14:15], v[14:15], v[40:41]
	v_pk_mul_f32 v[16:17], v[38:39], v[16:17]
	s_and_saveexec_b64 s[0:1], vcc
	s_cbranch_execz .LBB58_9
; %bb.11:                               ;   in Loop: Header=BB58_10 Depth=1
	ds_read_b64 v[38:39], v21
	ds_read_b64 v[40:41], v23
	s_waitcnt lgkmcnt(1)
	v_lshlrev_b32_e32 v42, 16, v38
	s_waitcnt lgkmcnt(0)
	v_lshlrev_b32_e32 v44, 16, v40
	v_pk_mul_f32 v[44:45], v[10:11], v[44:45] op_sel_hi:[1,0]
	v_pk_mul_f32 v[46:47], v[10:11], v[42:43] op_sel_hi:[1,0]
	v_pk_fma_f32 v[10:11], v[10:11], v[42:43], v[44:45] op_sel:[0,0,1] op_sel_hi:[1,0,0]
	v_and_b32_e32 v10, 0xffff0000, v40
	v_and_b32_e32 v38, 0xffff0000, v38
	v_pk_mul_f32 v[42:43], v[12:13], v[10:11] op_sel_hi:[1,0]
	v_pk_fma_f32 v[48:49], v[12:13], v[38:39], v[42:43] op_sel:[0,0,1] op_sel_hi:[1,0,0] neg_lo:[0,0,1] neg_hi:[0,0,1]
	v_pk_fma_f32 v[12:13], v[12:13], v[38:39], v[42:43] op_sel:[0,0,1] op_sel_hi:[1,0,0]
	v_lshlrev_b32_e32 v12, 16, v41
	v_lshlrev_b32_e32 v10, 16, v39
	v_pk_mul_f32 v[42:43], v[14:15], v[12:13] op_sel_hi:[1,0]
	v_and_b32_e32 v39, 0xffff0000, v39
	v_and_b32_e32 v38, 0xffff0000, v41
	v_mov_b32_e32 v12, v17
	v_pk_fma_f32 v[50:51], v[14:15], v[10:11], v[42:43] op_sel:[0,0,1] op_sel_hi:[1,0,0] neg_lo:[0,0,1] neg_hi:[0,0,1]
	v_pk_fma_f32 v[14:15], v[14:15], v[10:11], v[42:43] op_sel:[0,0,1] op_sel_hi:[1,0,0]
	v_mov_b32_e32 v10, v39
	v_pk_mul_f32 v[40:41], v[12:13], v[38:39]
	v_pk_mul_f32 v[42:43], v[16:17], v[38:39]
	v_pk_fma_f32 v[40:41], v[16:17], v[10:11], v[40:41] op_sel_hi:[1,0,1] neg_lo:[0,0,1] neg_hi:[0,0,1]
	v_mov_b32_e32 v10, v43
	v_pk_fma_f32 v[38:39], v[16:17], v[38:39], v[10:11]
	v_sub_f32_e32 v10, v46, v45
	v_mov_b32_e32 v12, v48
	v_mov_b32_e32 v14, v50
	;; [unrolled: 1-line block ×4, first 2 shown]
	s_branch .LBB58_9
.LBB58_12:
	s_endpgm
	.section	.rodata,"a",@progbits
	.p2align	6, 0x0
	.amdhsa_kernel _ZN12tensorrt_llm7kernels32fusedQKNormRopeKernelNTokenHeadsIN3c104HalfENS2_8BFloat16ELi256ELb1ELi2EEEvPviiifPKvS7_S7_PKlii
		.amdhsa_group_segment_fixed_size 0
		.amdhsa_private_segment_fixed_size 0
		.amdhsa_kernarg_size 320
		.amdhsa_user_sgpr_count 6
		.amdhsa_user_sgpr_private_segment_buffer 1
		.amdhsa_user_sgpr_dispatch_ptr 0
		.amdhsa_user_sgpr_queue_ptr 0
		.amdhsa_user_sgpr_kernarg_segment_ptr 1
		.amdhsa_user_sgpr_dispatch_id 0
		.amdhsa_user_sgpr_flat_scratch_init 0
		.amdhsa_user_sgpr_kernarg_preload_length 0
		.amdhsa_user_sgpr_kernarg_preload_offset 0
		.amdhsa_user_sgpr_private_segment_size 0
		.amdhsa_uses_dynamic_stack 0
		.amdhsa_system_sgpr_private_segment_wavefront_offset 0
		.amdhsa_system_sgpr_workgroup_id_x 1
		.amdhsa_system_sgpr_workgroup_id_y 0
		.amdhsa_system_sgpr_workgroup_id_z 0
		.amdhsa_system_sgpr_workgroup_info 0
		.amdhsa_system_vgpr_workitem_id 0
		.amdhsa_next_free_vgpr 52
		.amdhsa_next_free_sgpr 24
		.amdhsa_accum_offset 52
		.amdhsa_reserve_vcc 1
		.amdhsa_reserve_flat_scratch 0
		.amdhsa_float_round_mode_32 0
		.amdhsa_float_round_mode_16_64 0
		.amdhsa_float_denorm_mode_32 3
		.amdhsa_float_denorm_mode_16_64 3
		.amdhsa_dx10_clamp 1
		.amdhsa_ieee_mode 1
		.amdhsa_fp16_overflow 0
		.amdhsa_tg_split 0
		.amdhsa_exception_fp_ieee_invalid_op 0
		.amdhsa_exception_fp_denorm_src 0
		.amdhsa_exception_fp_ieee_div_zero 0
		.amdhsa_exception_fp_ieee_overflow 0
		.amdhsa_exception_fp_ieee_underflow 0
		.amdhsa_exception_fp_ieee_inexact 0
		.amdhsa_exception_int_div_zero 0
	.end_amdhsa_kernel
	.section	.text._ZN12tensorrt_llm7kernels32fusedQKNormRopeKernelNTokenHeadsIN3c104HalfENS2_8BFloat16ELi256ELb1ELi2EEEvPviiifPKvS7_S7_PKlii,"axG",@progbits,_ZN12tensorrt_llm7kernels32fusedQKNormRopeKernelNTokenHeadsIN3c104HalfENS2_8BFloat16ELi256ELb1ELi2EEEvPviiifPKvS7_S7_PKlii,comdat
.Lfunc_end58:
	.size	_ZN12tensorrt_llm7kernels32fusedQKNormRopeKernelNTokenHeadsIN3c104HalfENS2_8BFloat16ELi256ELb1ELi2EEEvPviiifPKvS7_S7_PKlii, .Lfunc_end58-_ZN12tensorrt_llm7kernels32fusedQKNormRopeKernelNTokenHeadsIN3c104HalfENS2_8BFloat16ELi256ELb1ELi2EEEvPviiifPKvS7_S7_PKlii
                                        ; -- End function
	.section	.AMDGPU.csdata,"",@progbits
; Kernel info:
; codeLenInByte = 1772
; NumSgprs: 28
; NumVgprs: 52
; NumAgprs: 0
; TotalNumVgprs: 52
; ScratchSize: 0
; MemoryBound: 0
; FloatMode: 240
; IeeeMode: 1
; LDSByteSize: 0 bytes/workgroup (compile time only)
; SGPRBlocks: 3
; VGPRBlocks: 6
; NumSGPRsForWavesPerEU: 28
; NumVGPRsForWavesPerEU: 52
; AccumOffset: 52
; Occupancy: 8
; WaveLimiterHint : 0
; COMPUTE_PGM_RSRC2:SCRATCH_EN: 0
; COMPUTE_PGM_RSRC2:USER_SGPR: 6
; COMPUTE_PGM_RSRC2:TRAP_HANDLER: 0
; COMPUTE_PGM_RSRC2:TGID_X_EN: 1
; COMPUTE_PGM_RSRC2:TGID_Y_EN: 0
; COMPUTE_PGM_RSRC2:TGID_Z_EN: 0
; COMPUTE_PGM_RSRC2:TIDIG_COMP_CNT: 0
; COMPUTE_PGM_RSRC3_GFX90A:ACCUM_OFFSET: 12
; COMPUTE_PGM_RSRC3_GFX90A:TG_SPLIT: 0
	.section	.text._ZN12tensorrt_llm7kernels32fusedQKNormRopeKernelNTokenHeadsIN3c104HalfENS2_8BFloat16ELi256ELb0ELi2EEEvPviiifPKvS7_S7_PKlii,"axG",@progbits,_ZN12tensorrt_llm7kernels32fusedQKNormRopeKernelNTokenHeadsIN3c104HalfENS2_8BFloat16ELi256ELb0ELi2EEEvPviiifPKvS7_S7_PKlii,comdat
	.protected	_ZN12tensorrt_llm7kernels32fusedQKNormRopeKernelNTokenHeadsIN3c104HalfENS2_8BFloat16ELi256ELb0ELi2EEEvPviiifPKvS7_S7_PKlii ; -- Begin function _ZN12tensorrt_llm7kernels32fusedQKNormRopeKernelNTokenHeadsIN3c104HalfENS2_8BFloat16ELi256ELb0ELi2EEEvPviiifPKvS7_S7_PKlii
	.globl	_ZN12tensorrt_llm7kernels32fusedQKNormRopeKernelNTokenHeadsIN3c104HalfENS2_8BFloat16ELi256ELb0ELi2EEEvPviiifPKvS7_S7_PKlii
	.p2align	8
	.type	_ZN12tensorrt_llm7kernels32fusedQKNormRopeKernelNTokenHeadsIN3c104HalfENS2_8BFloat16ELi256ELb0ELi2EEEvPviiifPKvS7_S7_PKlii,@function
_ZN12tensorrt_llm7kernels32fusedQKNormRopeKernelNTokenHeadsIN3c104HalfENS2_8BFloat16ELi256ELb0ELi2EEEvPviiifPKvS7_S7_PKlii: ; @_ZN12tensorrt_llm7kernels32fusedQKNormRopeKernelNTokenHeadsIN3c104HalfENS2_8BFloat16ELi256ELb0ELi2EEEvPviiifPKvS7_S7_PKlii
; %bb.0:
	s_load_dwordx4 s[12:15], s[4:5], 0x8
	s_load_dwordx2 s[2:3], s[4:5], 0x38
	s_load_dword s1, s[4:5], 0x4c
	v_lshrrev_b32_e32 v1, 5, v0
	s_waitcnt lgkmcnt(0)
	s_add_i32 s0, s13, s12
	s_add_i32 s7, s0, 1
	s_lshr_b32 s8, s7, 31
	s_add_i32 s7, s7, s8
	s_ashr_i32 s20, s7, 1
	s_abs_i32 s7, s20
	v_cvt_f32_u32_e32 v2, s7
	s_bfe_u32 s1, s1, 0xb0005
	s_mul_i32 s6, s6, s1
	v_rcp_iflag_f32_e32 v3, v2
	v_add_u32_e32 v2, s6, v1
	s_sub_i32 s6, 0, s7
	v_sub_u32_e32 v4, 0, v2
	v_mul_f32_e32 v3, 0x4f7ffffe, v3
	v_cvt_u32_f32_e32 v3, v3
	v_max_i32_e32 v4, v2, v4
	v_xor_b32_e32 v5, s20, v2
	v_ashrrev_i32_e32 v5, 31, v5
	v_mul_lo_u32 v6, s6, v3
	v_mul_hi_u32 v6, v3, v6
	v_add_u32_e32 v3, v3, v6
	v_mul_hi_u32 v3, v4, v3
	v_mul_lo_u32 v6, v3, s7
	v_sub_u32_e32 v4, v4, v6
	v_add_u32_e32 v6, 1, v3
	v_cmp_le_u32_e32 vcc, s7, v4
	v_cndmask_b32_e32 v3, v3, v6, vcc
	v_subrev_u32_e32 v6, s7, v4
	v_cndmask_b32_e32 v4, v4, v6, vcc
	v_add_u32_e32 v6, 1, v3
	v_cmp_le_u32_e32 vcc, s7, v4
	v_cndmask_b32_e32 v3, v3, v6, vcc
	v_xor_b32_e32 v3, v3, v5
	v_sub_u32_e32 v8, v3, v5
	v_cmp_gt_i32_e32 vcc, s2, v8
	s_and_saveexec_b64 s[6:7], vcc
	s_cbranch_execz .LBB59_12
; %bb.1:
	v_mul_lo_u32 v3, v8, s20
	v_sub_u32_e32 v3, v2, v3
	s_load_dwordx2 s[16:17], s[4:5], 0x0
	v_lshlrev_b32_e32 v10, 1, v3
	v_add_u32_e32 v3, 2, v10
	v_sub_u32_e32 v4, s0, v10
	v_cmp_lt_i32_e32 vcc, s0, v3
	v_and_b32_e32 v30, 31, v0
	v_cndmask_b32_e32 v11, 2, v4, vcc
	s_lshl_b32 s2, s3, 1
	s_mul_i32 s21, s2, s1
	v_lshlrev_b32_e32 v33, 10, v1
	v_cmp_lt_i32_e64 s[0:1], 0, v11
	v_lshlrev_b32_e32 v34, 4, v30
	v_lshlrev_b32_e32 v35, 9, v2
	s_and_saveexec_b64 s[6:7], s[0:1]
	s_cbranch_execz .LBB59_4
; %bb.2:
	s_add_i32 s8, s21, 0
	v_add3_u32 v4, s8, v33, v34
	s_add_i32 s8, s14, s13
	s_add_i32 s8, s8, s12
	s_lshl_b32 s9, s20, 1
	s_sub_i32 s8, s8, s9
	v_mul_lo_u32 v2, s8, v8
	v_lshl_add_u32 v2, v2, 8, v35
	s_mov_b32 s10, 0
	v_lshl_or_b32 v2, v30, 3, v2
	s_mov_b64 s[8:9], 0
	s_waitcnt lgkmcnt(0)
	v_mov_b32_e32 v5, s17
.LBB59_3:                               ; =>This Inner Loop Header: Depth=1
	v_ashrrev_i32_e32 v3, 31, v2
	v_lshlrev_b64 v[6:7], 1, v[2:3]
	v_add_co_u32_e32 v6, vcc, s16, v6
	v_addc_co_u32_e32 v7, vcc, v5, v7, vcc
	global_load_dwordx4 v[12:15], v[6:7], off
	s_add_i32 s10, s10, 1
	v_cmp_ge_i32_e32 vcc, s10, v11
	v_add_u32_e32 v2, 0x100, v2
	s_or_b64 s[8:9], vcc, s[8:9]
	s_waitcnt vmcnt(0)
	ds_write_b128 v4, v[12:15]
	v_add_u32_e32 v4, 0x200, v4
	s_andn2_b64 exec, exec, s[8:9]
	s_cbranch_execnz .LBB59_3
.LBB59_4:
	s_or_b64 exec, exec, s[6:7]
	s_add_i32 s2, s2, 15
	s_load_dwordx8 s[4:11], s[4:5], 0x18
	s_ashr_i32 s18, s2, 31
	s_lshr_b32 s18, s18, 28
	s_add_i32 s2, s2, s18
	s_ashr_i32 s2, s2, 4
	v_cmp_gt_i32_e32 vcc, s2, v30
	v_mul_lo_u32 v12, v1, s3
	s_and_saveexec_b64 s[18:19], vcc
	s_cbranch_execz .LBB59_7
; %bb.5:
	v_ashrrev_i32_e32 v9, 31, v8
	v_lshlrev_b64 v[2:3], 3, v[8:9]
	s_waitcnt lgkmcnt(0)
	v_mov_b32_e32 v1, s11
	v_add_co_u32_e32 v2, vcc, s10, v2
	v_addc_co_u32_e32 v3, vcc, v1, v3, vcc
	global_load_dwordx2 v[4:5], v[2:3], off
	s_ashr_i32 s22, s3, 31
	v_lshlrev_b32_e32 v1, 1, v12
	v_and_b32_e32 v0, 31, v0
	v_add3_u32 v2, v1, v34, 0
	v_lshlrev_b32_e32 v6, 4, v0
	v_mov_b32_e32 v3, s9
	s_mov_b64 s[10:11], 0
	s_waitcnt vmcnt(0)
	v_mul_lo_u32 v5, v5, s3
	v_mul_lo_u32 v7, v4, s22
	v_mad_u64_u32 v[0:1], s[22:23], v4, s3, 0
	v_add3_u32 v1, v1, v7, v5
	v_lshlrev_b64 v[0:1], 1, v[0:1]
	v_add_co_u32_e32 v0, vcc, v0, v6
	v_addc_co_u32_e32 v1, vcc, 0, v1, vcc
	v_add_co_u32_e32 v0, vcc, s8, v0
	v_addc_co_u32_e32 v1, vcc, v3, v1, vcc
	v_mov_b32_e32 v3, v30
.LBB59_6:                               ; =>This Inner Loop Header: Depth=1
	global_load_dwordx4 v[4:7], v[0:1], off
	v_add_co_u32_e32 v0, vcc, 0x200, v0
	v_add_u32_e32 v3, 32, v3
	v_addc_co_u32_e32 v1, vcc, 0, v1, vcc
	v_cmp_le_i32_e32 vcc, s2, v3
	s_or_b64 s[10:11], vcc, s[10:11]
	s_waitcnt vmcnt(0)
	ds_write_b128 v2, v[4:7]
	v_add_u32_e32 v2, 0x200, v2
	s_andn2_b64 exec, exec, s[10:11]
	s_cbranch_execnz .LBB59_6
.LBB59_7:
	s_or_b64 exec, exec, s[18:19]
	s_and_b64 exec, exec, s[0:1]
	s_cbranch_execz .LBB59_12
; %bb.8:
	s_waitcnt lgkmcnt(0)
	global_load_dwordx4 v[0:3], v34, s[4:5]
	global_load_dwordx4 v[4:7], v34, s[6:7]
	v_lshl_add_u32 v9, v12, 1, 0
	v_mbcnt_lo_u32_b32 v12, -1, 0
	s_abs_i32 s4, s3
	v_mbcnt_hi_u32_b32 v17, -1, v12
	v_cvt_f32_u32_e32 v14, s4
	v_and_b32_e32 v12, 0x60, v17
	v_xor_b32_e32 v13, 16, v17
	v_add_u32_e32 v12, 32, v12
	v_xor_b32_e32 v15, 8, v17
	v_cmp_lt_i32_e32 vcc, v13, v12
	v_xor_b32_e32 v16, 4, v17
	v_cndmask_b32_e32 v13, v17, v13, vcc
	v_cmp_lt_i32_e32 vcc, v15, v12
	v_rcp_iflag_f32_e32 v22, v14
	v_xor_b32_e32 v18, 2, v17
	v_cndmask_b32_e32 v15, v17, v15, vcc
	v_cmp_lt_i32_e32 vcc, v16, v12
	v_cndmask_b32_e32 v16, v17, v16, vcc
	v_cmp_lt_i32_e32 vcc, v18, v12
	v_xor_b32_e32 v19, 1, v17
	v_cndmask_b32_e32 v18, v17, v18, vcc
	v_cmp_lt_i32_e32 vcc, v19, v12
	v_lshlrev_b32_e32 v12, 2, v13
	v_lshlrev_b32_e32 v13, 2, v15
	;; [unrolled: 1-line block ×3, first 2 shown]
	v_mul_f32_e32 v18, 0x4f7ffffe, v22
	v_cvt_u32_f32_e32 v18, v18
	s_sub_i32 s5, 0, s4
	v_cndmask_b32_e32 v19, v17, v19, vcc
	s_ashr_i32 s1, s3, 31
	v_lshlrev_b32_e32 v14, 2, v16
	v_lshlrev_b32_e32 v16, 2, v19
	v_mul_lo_u32 v19, s5, v18
	s_lshr_b32 s2, s1, 29
	s_lshr_b32 s1, s1, 28
	v_mul_hi_u32 v19, v18, v19
	s_lshr_b32 s0, s3, 31
	s_add_i32 s1, s3, s1
	v_add_u32_e32 v46, v18, v19
	s_add_i32 s0, s3, s0
	v_and_b32_e32 v20, 64, v17
	s_ashr_i32 s1, s1, 4
	v_mul_hi_u32 v18, v34, v46
	s_and_b32 s0, s0, -2
	s_add_i32 s2, s3, s2
	v_add_u32_e32 v20, 64, v20
	v_xor_b32_e32 v21, s1, v17
	v_mul_lo_u32 v18, v18, s4
	v_or_b32_e32 v28, 2, v34
	v_add_u32_e32 v45, s0, v9
	s_ashr_i32 s0, s2, 3
	v_cmp_lt_i32_e64 s[2:3], v21, v20
	v_sub_u32_e32 v18, v34, v18
	v_cndmask_b32_e64 v17, v17, v21, s[2:3]
	v_subrev_u32_e32 v19, s4, v18
	v_cmp_le_u32_e64 s[2:3], s4, v18
	v_mul_hi_u32 v29, v28, v46
	v_cndmask_b32_e64 v18, v18, v19, s[2:3]
	v_mul_lo_u32 v29, v29, s4
	v_or_b32_e32 v31, 4, v34
	v_subrev_u32_e32 v19, s4, v18
	v_cmp_le_u32_e64 s[2:3], s4, v18
	v_sub_u32_e32 v28, v28, v29
	v_cndmask_b32_e64 v18, v18, v19, s[2:3]
	v_subrev_u32_e32 v29, s4, v28
	v_cmp_le_u32_e64 s[2:3], s4, v28
	v_mul_hi_u32 v32, v31, v46
	v_cndmask_b32_e64 v28, v28, v29, s[2:3]
	v_mul_lo_u32 v32, v32, s4
	v_or_b32_e32 v36, 6, v34
	v_subrev_u32_e32 v29, s4, v28
	v_cmp_le_u32_e64 s[2:3], s4, v28
	v_sub_u32_e32 v31, v31, v32
	v_cndmask_b32_e64 v28, v28, v29, s[2:3]
	v_subrev_u32_e32 v32, s4, v31
	v_cmp_le_u32_e64 s[2:3], s4, v31
	v_mul_hi_u32 v37, v36, v46
	v_cndmask_b32_e64 v31, v31, v32, s[2:3]
	v_mul_lo_u32 v37, v37, s4
	v_or_b32_e32 v38, 8, v34
	v_subrev_u32_e32 v32, s4, v31
	v_cmp_le_u32_e64 s[2:3], s4, v31
	v_sub_u32_e32 v36, v36, v37
	v_cndmask_b32_e64 v31, v31, v32, s[2:3]
	v_subrev_u32_e32 v37, s4, v36
	v_cmp_le_u32_e64 s[2:3], s4, v36
	v_mul_hi_u32 v39, v38, v46
	v_cndmask_b32_e64 v36, v36, v37, s[2:3]
	v_mul_lo_u32 v39, v39, s4
	v_or_b32_e32 v40, 10, v34
	v_subrev_u32_e32 v37, s4, v36
	v_cmp_le_u32_e64 s[2:3], s4, v36
	v_sub_u32_e32 v38, v38, v39
	v_cndmask_b32_e64 v36, v36, v37, s[2:3]
	v_subrev_u32_e32 v39, s4, v38
	v_cmp_le_u32_e64 s[2:3], s4, v38
	v_mul_hi_u32 v41, v40, v46
	v_cndmask_b32_e64 v38, v38, v39, s[2:3]
	v_mul_lo_u32 v41, v41, s4
	v_or_b32_e32 v42, 12, v34
	v_subrev_u32_e32 v39, s4, v38
	v_cmp_le_u32_e64 s[2:3], s4, v38
	v_sub_u32_e32 v40, v40, v41
	v_cndmask_b32_e64 v38, v38, v39, s[2:3]
	v_subrev_u32_e32 v41, s4, v40
	v_cmp_le_u32_e64 s[2:3], s4, v40
	v_mul_hi_u32 v43, v42, v46
	v_cndmask_b32_e64 v40, v40, v41, s[2:3]
	v_mul_lo_u32 v43, v43, s4
	v_or_b32_e32 v44, 14, v34
	v_subrev_u32_e32 v41, s4, v40
	v_cmp_le_u32_e64 s[2:3], s4, v40
	v_sub_u32_e32 v42, v42, v43
	v_cndmask_b32_e64 v40, v40, v41, s[2:3]
	v_subrev_u32_e32 v43, s4, v42
	v_cmp_le_u32_e64 s[2:3], s4, v42
	v_mul_hi_u32 v46, v44, v46
	v_cndmask_b32_e64 v42, v42, v43, s[2:3]
	v_mul_lo_u32 v46, v46, s4
	v_subrev_u32_e32 v43, s4, v42
	v_cmp_le_u32_e64 s[2:3], s4, v42
	v_sub_u32_e32 v44, v44, v46
	v_cndmask_b32_e64 v42, v42, v43, s[2:3]
	v_subrev_u32_e32 v46, s4, v44
	v_cmp_le_u32_e64 s[2:3], s4, v44
	v_cndmask_b32_e64 v44, v44, v46, s[2:3]
	v_subrev_u32_e32 v46, s4, v44
	v_cmp_le_u32_e64 s[2:3], s4, v44
	v_cndmask_b32_e64 v44, v44, v46, s[2:3]
	s_add_i32 s2, s14, s13
	s_add_i32 s2, s2, s12
	s_lshl_b32 s3, s20, 1
	s_sub_i32 s2, s2, s3
	v_and_b32_e32 v27, -2, v18
	v_and_b32_e32 v29, -2, v28
	;; [unrolled: 1-line block ×8, first 2 shown]
	v_mul_lo_u32 v8, s2, v8
	v_add_u32_e32 v26, v9, v27
	v_add_u32_e32 v28, v9, v29
	;; [unrolled: 1-line block ×8, first 2 shown]
	v_lshl_add_u32 v8, v8, 8, v35
	v_add_u32_e32 v9, s21, v33
	s_mov_b32 s8, 0
	v_cmp_gt_i32_e32 vcc, s0, v30
	v_cmp_gt_i32_e64 s[0:1], s1, v30
	v_lshlrev_b32_e32 v17, 2, v17
	s_waitcnt vmcnt(1)
	v_lshrrev_b32_e32 v18, 16, v0
	v_lshrrev_b32_e32 v19, 16, v1
	;; [unrolled: 1-line block ×4, first 2 shown]
	s_waitcnt vmcnt(0)
	v_lshrrev_b32_e32 v22, 16, v4
	v_lshrrev_b32_e32 v23, 16, v5
	v_lshrrev_b32_e32 v24, 16, v6
	v_lshrrev_b32_e32 v25, 16, v7
	v_add_u32_e32 v27, v45, v27
	v_add_u32_e32 v29, v45, v29
	;; [unrolled: 1-line block ×8, first 2 shown]
	v_lshl_or_b32 v8, v30, 3, v8
	v_add3_u32 v30, v9, v34, 0
	s_mov_b64 s[6:7], 0
	s_mov_b32 s9, 0x800000
	s_branch .LBB59_10
.LBB59_9:                               ;   in Loop: Header=BB59_10 Depth=1
	s_or_b64 exec, exec, s[2:3]
	v_cvt_f16_f32_e32 v52, v9
	v_ashrrev_i32_e32 v9, 31, v8
	v_cvt_f16_f32_e32 v50, v49
	v_cvt_f16_f32_e32 v51, v48
	;; [unrolled: 1-line block ×7, first 2 shown]
	v_lshlrev_b64 v[34:35], 1, v[8:9]
	v_mov_b32_e32 v9, s17
	v_add_co_u32_e64 v34, s[2:3], s16, v34
	v_addc_co_u32_e64 v35, s[2:3], v9, v35, s[2:3]
	s_add_i32 s8, s8, 1
	v_cmp_ge_i32_e64 s[2:3], s8, v11
	v_pack_b32_f16 v49, v49, v52
	v_pack_b32_f16 v48, v33, v48
	v_pack_b32_f16 v47, v47, v46
	v_pack_b32_f16 v46, v50, v51
	v_add_u32_e32 v8, 0x100, v8
	s_or_b64 s[6:7], s[2:3], s[6:7]
	v_add_u32_e32 v30, 0x200, v30
	global_store_dwordx4 v[34:35], v[46:49], off
	s_andn2_b64 exec, exec, s[6:7]
	s_cbranch_execz .LBB59_12
.LBB59_10:                              ; =>This Inner Loop Header: Depth=1
	ds_read_b128 v[46:49], v30
	s_waitcnt lgkmcnt(0)
	v_cvt_f32_f16_sdwa v9, v46 dst_sel:DWORD dst_unused:UNUSED_PAD src0_sel:WORD_1
	v_cvt_f32_f16_sdwa v35, v47 dst_sel:DWORD dst_unused:UNUSED_PAD src0_sel:WORD_1
	v_cvt_f32_f16_e32 v34, v47
	v_cvt_f32_f16_sdwa v51, v48 dst_sel:DWORD dst_unused:UNUSED_PAD src0_sel:WORD_1
	v_cvt_f32_f16_e32 v50, v48
	v_mul_f32_e32 v33, v9, v9
	v_cvt_f32_f16_sdwa v53, v49 dst_sel:DWORD dst_unused:UNUSED_PAD src0_sel:WORD_1
	v_cvt_f32_f16_e32 v52, v49
	v_pk_mul_f32 v[48:49], v[34:35], v[34:35]
	v_fma_mix_f32 v33, v46, v46, v33 op_sel_hi:[1,1,0]
	v_add_f32_e32 v33, v33, v48
	v_add_f32_e32 v33, v33, v49
	v_pk_mul_f32 v[48:49], v[50:51], v[50:51]
	v_add_f32_e32 v33, v33, v48
	v_add_f32_e32 v33, v33, v49
	v_pk_mul_f32 v[48:49], v[52:53], v[52:53]
	v_add_f32_e32 v33, v33, v48
	v_add_f32_e32 v33, v33, v49
	ds_bpermute_b32 v47, v12, v33
	v_mov_b32_e32 v49, s15
	v_add_u32_e32 v48, s8, v10
	v_cmp_gt_i32_e64 s[2:3], s12, v48
	v_cndmask_b32_e64 v48, v4, v0, s[2:3]
	s_waitcnt lgkmcnt(0)
	v_add_f32_e32 v33, v33, v47
	ds_bpermute_b32 v47, v13, v33
	v_cndmask_b32_e64 v54, v22, v18, s[2:3]
	v_cndmask_b32_e64 v55, v5, v1, s[2:3]
	v_cvt_f32_f16_e32 v48, v48
	v_cndmask_b32_e64 v56, v23, v19, s[2:3]
	s_waitcnt lgkmcnt(0)
	v_add_f32_e32 v33, v33, v47
	ds_bpermute_b32 v47, v14, v33
	v_cvt_f32_f16_e32 v54, v54
	v_cvt_f32_f16_e32 v55, v55
	v_cndmask_b32_e64 v57, v6, v2, s[2:3]
	v_cvt_f32_f16_e32 v46, v46
	s_waitcnt lgkmcnt(0)
	v_add_f32_e32 v33, v33, v47
	ds_bpermute_b32 v47, v15, v33
	v_cndmask_b32_e64 v58, v24, v20, s[2:3]
	s_waitcnt lgkmcnt(0)
	v_add_f32_e32 v33, v33, v47
	ds_bpermute_b32 v47, v16, v33
	s_waitcnt lgkmcnt(0)
	v_add_f32_e32 v33, v33, v47
	v_fmac_f32_e32 v49, 0x3b800000, v33
	v_mul_f32_e32 v33, 0x4b800000, v49
	v_cmp_gt_f32_e64 s[4:5], s9, v49
	v_cndmask_b32_e64 v33, v49, v33, s[4:5]
	v_rsq_f32_e32 v33, v33
	v_cvt_f32_f16_e32 v47, v56
	v_cvt_f32_f16_e32 v56, v57
	v_mul_f32_e32 v49, 0x45800000, v33
	v_cndmask_b32_e64 v57, v33, v49, s[4:5]
	v_mul_f32_e32 v33, v57, v48
	v_mul_f32_e32 v48, v57, v54
	;; [unrolled: 1-line block ×6, first 2 shown]
	v_cvt_f32_f16_e32 v9, v58
	v_cndmask_b32_e64 v34, v7, v3, s[2:3]
	v_mul_f32_e32 v49, v33, v46
	v_mul_f32_e32 v46, v55, v35
	;; [unrolled: 1-line block ×3, first 2 shown]
	v_cvt_f32_f16_e32 v34, v34
	v_cndmask_b32_e64 v35, v25, v21, s[2:3]
	v_mul_f32_e32 v33, v33, v50
	v_cvt_f32_f16_e32 v50, v35
	v_mul_f32_e32 v9, v57, v9
	v_mul_f32_e32 v35, v9, v51
	;; [unrolled: 1-line block ×6, first 2 shown]
	s_and_saveexec_b64 s[2:3], vcc
	s_cbranch_execz .LBB59_9
; %bb.11:                               ;   in Loop: Header=BB59_10 Depth=1
	ds_bpermute_b32 v50, v17, v49
	ds_bpermute_b32 v51, v17, v48
	; wave barrier
	ds_read_u16 v52, v26
	ds_read_u16 v53, v27
	;; [unrolled: 1-line block ×8, first 2 shown]
	s_waitcnt lgkmcnt(9)
	v_cndmask_b32_e64 v50, v50, -v50, s[0:1]
	s_waitcnt lgkmcnt(6)
	v_lshlrev_b32_e32 v53, 16, v53
	v_lshlrev_b32_e32 v52, 16, v52
	v_mul_f32_e32 v50, v50, v53
	v_fmac_f32_e32 v50, v49, v52
	v_cndmask_b32_e64 v49, v51, -v51, s[0:1]
	ds_bpermute_b32 v51, v17, v47
	s_waitcnt lgkmcnt(5)
	v_lshlrev_b32_e32 v53, 16, v55
	v_mul_f32_e32 v53, v49, v53
	ds_bpermute_b32 v49, v17, v46
	v_lshlrev_b32_e32 v52, 16, v54
	v_fmac_f32_e32 v53, v48, v52
	s_waitcnt lgkmcnt(1)
	v_cndmask_b32_e64 v48, v51, -v51, s[0:1]
	v_lshlrev_b32_e32 v52, 16, v57
	v_mul_f32_e32 v52, v48, v52
	ds_bpermute_b32 v48, v17, v33
	v_lshlrev_b32_e32 v51, 16, v56
	v_fmac_f32_e32 v52, v47, v51
	s_waitcnt lgkmcnt(1)
	v_cndmask_b32_e64 v47, v49, -v49, s[0:1]
	;; [unrolled: 7-line block ×3, first 2 shown]
	ds_read_u16 v48, v38
	ds_read_u16 v49, v39
	;; [unrolled: 1-line block ×8, first 2 shown]
	s_waitcnt lgkmcnt(6)
	v_lshlrev_b32_e32 v49, 16, v49
	v_lshlrev_b32_e32 v48, 16, v48
	v_mul_f32_e32 v60, v46, v49
	v_fmac_f32_e32 v60, v33, v48
	v_cndmask_b32_e64 v33, v47, -v47, s[0:1]
	s_waitcnt lgkmcnt(4)
	v_lshlrev_b32_e32 v48, 16, v55
	ds_bpermute_b32 v46, v17, v34
	v_lshlrev_b32_e32 v47, 16, v54
	v_mul_f32_e32 v54, v33, v48
	v_fmac_f32_e32 v54, v35, v47
	ds_bpermute_b32 v35, v17, v9
	s_waitcnt lgkmcnt(1)
	v_cndmask_b32_e64 v33, v46, -v46, s[0:1]
	v_lshlrev_b32_e32 v47, 16, v57
	v_lshlrev_b32_e32 v46, 16, v56
	v_mul_f32_e32 v55, v33, v47
	s_waitcnt lgkmcnt(0)
	v_cndmask_b32_e64 v33, v35, -v35, s[0:1]
	v_lshlrev_b32_e32 v35, 16, v59
	v_fmac_f32_e32 v55, v34, v46
	v_lshlrev_b32_e32 v34, 16, v58
	v_mul_f32_e32 v56, v33, v35
	v_fmac_f32_e32 v56, v9, v34
	v_mov_b32_e32 v49, v50
	v_mov_b32_e32 v48, v53
	;; [unrolled: 1-line block ×8, first 2 shown]
	; wave barrier
	s_branch .LBB59_9
.LBB59_12:
	s_endpgm
	.section	.rodata,"a",@progbits
	.p2align	6, 0x0
	.amdhsa_kernel _ZN12tensorrt_llm7kernels32fusedQKNormRopeKernelNTokenHeadsIN3c104HalfENS2_8BFloat16ELi256ELb0ELi2EEEvPviiifPKvS7_S7_PKlii
		.amdhsa_group_segment_fixed_size 0
		.amdhsa_private_segment_fixed_size 0
		.amdhsa_kernarg_size 320
		.amdhsa_user_sgpr_count 6
		.amdhsa_user_sgpr_private_segment_buffer 1
		.amdhsa_user_sgpr_dispatch_ptr 0
		.amdhsa_user_sgpr_queue_ptr 0
		.amdhsa_user_sgpr_kernarg_segment_ptr 1
		.amdhsa_user_sgpr_dispatch_id 0
		.amdhsa_user_sgpr_flat_scratch_init 0
		.amdhsa_user_sgpr_kernarg_preload_length 0
		.amdhsa_user_sgpr_kernarg_preload_offset 0
		.amdhsa_user_sgpr_private_segment_size 0
		.amdhsa_uses_dynamic_stack 0
		.amdhsa_system_sgpr_private_segment_wavefront_offset 0
		.amdhsa_system_sgpr_workgroup_id_x 1
		.amdhsa_system_sgpr_workgroup_id_y 0
		.amdhsa_system_sgpr_workgroup_id_z 0
		.amdhsa_system_sgpr_workgroup_info 0
		.amdhsa_system_vgpr_workitem_id 0
		.amdhsa_next_free_vgpr 61
		.amdhsa_next_free_sgpr 24
		.amdhsa_accum_offset 64
		.amdhsa_reserve_vcc 1
		.amdhsa_reserve_flat_scratch 0
		.amdhsa_float_round_mode_32 0
		.amdhsa_float_round_mode_16_64 0
		.amdhsa_float_denorm_mode_32 3
		.amdhsa_float_denorm_mode_16_64 3
		.amdhsa_dx10_clamp 1
		.amdhsa_ieee_mode 1
		.amdhsa_fp16_overflow 0
		.amdhsa_tg_split 0
		.amdhsa_exception_fp_ieee_invalid_op 0
		.amdhsa_exception_fp_denorm_src 0
		.amdhsa_exception_fp_ieee_div_zero 0
		.amdhsa_exception_fp_ieee_overflow 0
		.amdhsa_exception_fp_ieee_underflow 0
		.amdhsa_exception_fp_ieee_inexact 0
		.amdhsa_exception_int_div_zero 0
	.end_amdhsa_kernel
	.section	.text._ZN12tensorrt_llm7kernels32fusedQKNormRopeKernelNTokenHeadsIN3c104HalfENS2_8BFloat16ELi256ELb0ELi2EEEvPviiifPKvS7_S7_PKlii,"axG",@progbits,_ZN12tensorrt_llm7kernels32fusedQKNormRopeKernelNTokenHeadsIN3c104HalfENS2_8BFloat16ELi256ELb0ELi2EEEvPviiifPKvS7_S7_PKlii,comdat
.Lfunc_end59:
	.size	_ZN12tensorrt_llm7kernels32fusedQKNormRopeKernelNTokenHeadsIN3c104HalfENS2_8BFloat16ELi256ELb0ELi2EEEvPviiifPKvS7_S7_PKlii, .Lfunc_end59-_ZN12tensorrt_llm7kernels32fusedQKNormRopeKernelNTokenHeadsIN3c104HalfENS2_8BFloat16ELi256ELb0ELi2EEEvPviiifPKvS7_S7_PKlii
                                        ; -- End function
	.section	.AMDGPU.csdata,"",@progbits
; Kernel info:
; codeLenInByte = 2720
; NumSgprs: 28
; NumVgprs: 61
; NumAgprs: 0
; TotalNumVgprs: 61
; ScratchSize: 0
; MemoryBound: 0
; FloatMode: 240
; IeeeMode: 1
; LDSByteSize: 0 bytes/workgroup (compile time only)
; SGPRBlocks: 3
; VGPRBlocks: 7
; NumSGPRsForWavesPerEU: 28
; NumVGPRsForWavesPerEU: 61
; AccumOffset: 64
; Occupancy: 8
; WaveLimiterHint : 0
; COMPUTE_PGM_RSRC2:SCRATCH_EN: 0
; COMPUTE_PGM_RSRC2:USER_SGPR: 6
; COMPUTE_PGM_RSRC2:TRAP_HANDLER: 0
; COMPUTE_PGM_RSRC2:TGID_X_EN: 1
; COMPUTE_PGM_RSRC2:TGID_Y_EN: 0
; COMPUTE_PGM_RSRC2:TGID_Z_EN: 0
; COMPUTE_PGM_RSRC2:TIDIG_COMP_CNT: 0
; COMPUTE_PGM_RSRC3_GFX90A:ACCUM_OFFSET: 15
; COMPUTE_PGM_RSRC3_GFX90A:TG_SPLIT: 0
	.section	.text._ZN12tensorrt_llm7kernels32fusedQKNormRopeKernelNTokenHeadsIN3c104HalfENS2_8BFloat16ELi64ELb1ELi4EEEvPviiifPKvS7_S7_PKlii,"axG",@progbits,_ZN12tensorrt_llm7kernels32fusedQKNormRopeKernelNTokenHeadsIN3c104HalfENS2_8BFloat16ELi64ELb1ELi4EEEvPviiifPKvS7_S7_PKlii,comdat
	.protected	_ZN12tensorrt_llm7kernels32fusedQKNormRopeKernelNTokenHeadsIN3c104HalfENS2_8BFloat16ELi64ELb1ELi4EEEvPviiifPKvS7_S7_PKlii ; -- Begin function _ZN12tensorrt_llm7kernels32fusedQKNormRopeKernelNTokenHeadsIN3c104HalfENS2_8BFloat16ELi64ELb1ELi4EEEvPviiifPKvS7_S7_PKlii
	.globl	_ZN12tensorrt_llm7kernels32fusedQKNormRopeKernelNTokenHeadsIN3c104HalfENS2_8BFloat16ELi64ELb1ELi4EEEvPviiifPKvS7_S7_PKlii
	.p2align	8
	.type	_ZN12tensorrt_llm7kernels32fusedQKNormRopeKernelNTokenHeadsIN3c104HalfENS2_8BFloat16ELi64ELb1ELi4EEEvPviiifPKvS7_S7_PKlii,@function
_ZN12tensorrt_llm7kernels32fusedQKNormRopeKernelNTokenHeadsIN3c104HalfENS2_8BFloat16ELi64ELb1ELi4EEEvPviiifPKvS7_S7_PKlii: ; @_ZN12tensorrt_llm7kernels32fusedQKNormRopeKernelNTokenHeadsIN3c104HalfENS2_8BFloat16ELi64ELb1ELi4EEEvPviiifPKvS7_S7_PKlii
; %bb.0:
	s_load_dwordx4 s[12:15], s[4:5], 0x8
	s_load_dwordx2 s[2:3], s[4:5], 0x38
	s_load_dword s0, s[4:5], 0x4c
	v_lshrrev_b32_e32 v13, 5, v0
	s_waitcnt lgkmcnt(0)
	s_add_i32 s21, s13, s12
	s_add_i32 s1, s21, 3
	s_ashr_i32 s7, s1, 31
	s_lshr_b32 s7, s7, 30
	s_add_i32 s1, s1, s7
	s_ashr_i32 s20, s1, 2
	s_abs_i32 s1, s20
	v_cvt_f32_u32_e32 v1, s1
	s_bfe_u32 s0, s0, 0xb0005
	s_mul_i32 s6, s6, s0
	v_add_u32_e32 v9, s6, v13
	v_rcp_iflag_f32_e32 v1, v1
	s_sub_i32 s6, 0, s1
	v_sub_u32_e32 v2, 0, v9
	v_max_i32_e32 v2, v9, v2
	v_mul_f32_e32 v1, 0x4f7ffffe, v1
	v_cvt_u32_f32_e32 v1, v1
	v_xor_b32_e32 v3, s20, v9
	v_ashrrev_i32_e32 v3, 31, v3
	v_mul_lo_u32 v4, s6, v1
	v_mul_hi_u32 v4, v1, v4
	v_add_u32_e32 v1, v1, v4
	v_mul_hi_u32 v1, v2, v1
	v_mul_lo_u32 v4, v1, s1
	v_sub_u32_e32 v2, v2, v4
	v_add_u32_e32 v4, 1, v1
	v_cmp_le_u32_e32 vcc, s1, v2
	v_cndmask_b32_e32 v1, v1, v4, vcc
	v_subrev_u32_e32 v4, s1, v2
	v_cndmask_b32_e32 v2, v2, v4, vcc
	v_add_u32_e32 v4, 1, v1
	v_cmp_le_u32_e32 vcc, s1, v2
	v_cndmask_b32_e32 v1, v1, v4, vcc
	v_xor_b32_e32 v1, v1, v3
	v_sub_u32_e32 v2, v1, v3
	v_cmp_gt_i32_e32 vcc, s2, v2
	s_and_saveexec_b64 s[6:7], vcc
	s_cbranch_execz .LBB60_17
; %bb.1:
	v_and_b32_e32 v10, 31, v0
	v_mul_lo_u32 v0, v2, s20
	v_sub_u32_e32 v0, v9, v0
	s_load_dwordx2 s[16:17], s[4:5], 0x0
	v_lshlrev_b32_e32 v0, 2, v0
	v_add_u32_e32 v1, 4, v0
	v_sub_u32_e32 v3, s21, v0
	v_cmp_lt_i32_e32 vcc, s21, v1
	v_cndmask_b32_e32 v8, 4, v3, vcc
	s_lshl_b32 s18, s3, 1
	s_mul_i32 s2, s18, s0
	v_lshlrev_b32_e32 v12, 9, v13
	v_cmp_lt_i32_e64 s[0:1], 0, v8
	v_lshlrev_b32_e32 v4, 1, v10
	v_lshlrev_b32_e32 v11, 2, v10
	s_and_saveexec_b64 s[6:7], s[0:1]
	s_cbranch_execz .LBB60_9
; %bb.2:
	s_mov_b32 s19, 1
	v_cmp_ne_u32_e32 vcc, 1, v8
	s_mov_b64 s[10:11], -1
	v_mov_b32_e32 v1, 0
	s_and_saveexec_b64 s[8:9], vcc
	s_cbranch_execz .LBB60_6
; %bb.3:
	s_add_i32 s21, s21, s14
	s_add_i32 s10, s2, 0
	v_mul_lo_u32 v6, v2, s21
	s_mov_b32 s22, 0
	v_add3_u32 v7, s10, v12, v11
	v_mov_b32_e32 v1, v0
	s_mov_b32 s21, s12
	s_mov_b32 s23, s12
	v_mov_b32_e32 v3, v6
	v_mov_b32_e32 v5, v4
	v_and_b32_e32 v14, 0x7ffffffe, v8
	s_mov_b64 s[10:11], 0
	v_mov_b32_e32 v15, s12
	v_mov_b32_e32 v16, s12
	s_waitcnt lgkmcnt(0)
	v_mov_b32_e32 v17, s17
.LBB60_4:                               ; =>This Inner Loop Header: Depth=1
	v_add_u32_e32 v19, s19, v1
	v_add_u32_e32 v18, s22, v0
	v_cmp_le_i32_e32 vcc, s23, v19
	v_cndmask_b32_e32 v20, 0, v15, vcc
	v_cmp_le_i32_e32 vcc, s21, v18
	v_cndmask_b32_e32 v21, 0, v16, vcc
	v_sub_u32_e32 v18, v18, v21
	v_sub_u32_e32 v19, v19, v20
	v_add3_u32 v18, v6, v21, v18
	v_add3_u32 v19, v3, v20, v19
	v_lshl_or_b32 v18, v18, 6, v4
	v_lshl_or_b32 v20, v19, 6, v5
	v_ashrrev_i32_e32 v19, 31, v18
	v_lshlrev_b64 v[18:19], 1, v[18:19]
	v_ashrrev_i32_e32 v21, 31, v20
	v_add_co_u32_e32 v18, vcc, s16, v18
	v_lshlrev_b64 v[20:21], 1, v[20:21]
	v_addc_co_u32_e32 v19, vcc, v17, v19, vcc
	v_add_co_u32_e32 v20, vcc, s16, v20
	v_addc_co_u32_e32 v21, vcc, v17, v21, vcc
	global_load_dword v22, v[18:19], off
	global_load_dword v23, v[20:21], off
	v_add_u32_e32 v14, -2, v14
	v_lshl_add_u32 v18, s22, 7, v7
	v_lshl_add_u32 v19, s19, 7, v7
	s_add_i32 s22, s22, 2
	s_add_i32 s19, s19, 2
	v_cmp_eq_u32_e32 vcc, 0, v14
	s_or_b64 s[10:11], vcc, s[10:11]
	s_waitcnt vmcnt(1)
	ds_write_b32 v18, v22
	s_waitcnt vmcnt(0)
	ds_write_b32 v19, v23
	s_andn2_b64 exec, exec, s[10:11]
	s_cbranch_execnz .LBB60_4
; %bb.5:
	s_or_b64 exec, exec, s[10:11]
	v_and_b32_e32 v1, 0x7ffffffe, v8
	v_cmp_ne_u32_e32 vcc, v8, v1
	s_orn2_b64 s[10:11], vcc, exec
.LBB60_6:
	s_or_b64 exec, exec, s[8:9]
	s_and_b64 exec, exec, s[10:11]
	s_cbranch_execz .LBB60_9
; %bb.7:
	s_add_i32 s8, s14, s13
	s_add_i32 s8, s8, s12
	s_lshl_b32 s9, s20, 2
	s_sub_i32 s8, s8, s9
	v_mul_lo_u32 v3, s8, v2
	v_lshlrev_b32_e32 v5, 2, v9
	v_add3_u32 v3, v1, v3, v5
	v_lshl_or_b32 v6, v3, 6, v4
	v_lshlrev_b32_e32 v3, 7, v1
	v_add3_u32 v3, s2, v12, v3
	v_add3_u32 v3, v3, v11, 0
	s_mov_b64 s[8:9], 0
	s_waitcnt lgkmcnt(0)
	v_mov_b32_e32 v5, s17
.LBB60_8:                               ; =>This Inner Loop Header: Depth=1
	v_ashrrev_i32_e32 v7, 31, v6
	v_lshlrev_b64 v[14:15], 1, v[6:7]
	v_add_co_u32_e32 v14, vcc, s16, v14
	v_addc_co_u32_e32 v15, vcc, v5, v15, vcc
	global_load_dword v7, v[14:15], off
	v_add_u32_e32 v1, 1, v1
	v_cmp_ge_i32_e32 vcc, v1, v8
	v_add_u32_e32 v6, 64, v6
	s_or_b64 s[8:9], vcc, s[8:9]
	s_waitcnt vmcnt(0)
	ds_write_b32 v3, v7
	v_add_u32_e32 v3, 0x80, v3
	s_andn2_b64 exec, exec, s[8:9]
	s_cbranch_execnz .LBB60_8
.LBB60_9:
	s_or_b64 exec, exec, s[6:7]
	s_add_i32 s18, s18, 15
	s_load_dwordx8 s[4:11], s[4:5], 0x18
	s_ashr_i32 s19, s18, 31
	s_lshr_b32 s19, s19, 28
	s_add_i32 s18, s18, s19
	s_ashr_i32 s21, s18, 4
	v_mul_lo_u32 v1, v13, s3
	v_cmp_gt_i32_e32 vcc, s21, v10
	v_lshlrev_b32_e32 v5, 1, v1
	s_and_saveexec_b64 s[18:19], vcc
	s_cbranch_execz .LBB60_12
; %bb.10:
	v_ashrrev_i32_e32 v3, 31, v2
	v_lshlrev_b64 v[6:7], 3, v[2:3]
	s_waitcnt lgkmcnt(0)
	v_mov_b32_e32 v1, s11
	v_add_co_u32_e32 v6, vcc, s10, v6
	v_addc_co_u32_e32 v7, vcc, v1, v7, vcc
	global_load_dwordx2 v[6:7], v[6:7], off
	s_ashr_i32 s22, s3, 31
	v_lshlrev_b32_e32 v3, 4, v10
	v_add3_u32 v1, v5, v3, 0
	v_mov_b32_e32 v13, s9
	s_mov_b64 s[10:11], 0
	s_waitcnt vmcnt(0)
	v_mul_lo_u32 v14, v7, s3
	v_mul_lo_u32 v15, v6, s22
	v_mad_u64_u32 v[6:7], s[22:23], v6, s3, 0
	v_add3_u32 v7, v7, v15, v14
	v_lshlrev_b64 v[6:7], 1, v[6:7]
	v_add_co_u32_e32 v3, vcc, v6, v3
	v_addc_co_u32_e32 v7, vcc, 0, v7, vcc
	v_add_co_u32_e32 v6, vcc, s8, v3
	v_addc_co_u32_e32 v7, vcc, v13, v7, vcc
	v_mov_b32_e32 v3, v10
.LBB60_11:                              ; =>This Inner Loop Header: Depth=1
	global_load_dwordx4 v[14:17], v[6:7], off
	v_add_co_u32_e32 v6, vcc, 0x200, v6
	v_add_u32_e32 v3, 32, v3
	v_addc_co_u32_e32 v7, vcc, 0, v7, vcc
	v_cmp_le_i32_e32 vcc, s21, v3
	s_or_b64 s[10:11], vcc, s[10:11]
	s_waitcnt vmcnt(0)
	ds_write_b128 v1, v[14:17]
	v_add_u32_e32 v1, 0x200, v1
	s_andn2_b64 exec, exec, s[10:11]
	s_cbranch_execnz .LBB60_11
.LBB60_12:
	s_or_b64 exec, exec, s[18:19]
	s_and_b64 exec, exec, s[0:1]
	s_cbranch_execz .LBB60_17
; %bb.13:
	s_waitcnt lgkmcnt(0)
	global_load_dword v1, v11, s[4:5]
	global_load_dword v6, v11, s[6:7]
	v_mbcnt_lo_u32_b32 v3, -1, 0
	s_lshr_b32 s0, s3, 31
	s_add_i32 s1, s14, s13
	v_add_u32_e32 v12, s2, v12
	v_mbcnt_hi_u32_b32 v3, -1, v3
	s_lshl_b32 s8, s20, 2
	s_add_i32 s0, s3, s0
	s_add_i32 s1, s1, s12
	v_add3_u32 v11, v12, v11, 0
	v_and_b32_e32 v12, 0x60, v3
	v_add3_u32 v7, 0, v5, v4
	s_ashr_i32 s2, s0, 1
	s_and_b32 s0, s0, -2
	v_xor_b32_e32 v13, 16, v3
	s_sub_i32 s1, s1, s8
	v_add_u32_e32 v12, 32, v12
	v_xor_b32_e32 v14, 8, v3
	v_cmp_gt_i32_e32 vcc, s2, v10
	v_add_u32_e32 v10, s0, v7
	v_mul_lo_u32 v2, s1, v2
	v_cmp_lt_i32_e64 s[0:1], v13, v12
	v_xor_b32_e32 v15, 4, v3
	v_cndmask_b32_e64 v13, v3, v13, s[0:1]
	v_cmp_lt_i32_e64 s[0:1], v14, v12
	v_xor_b32_e32 v16, 2, v3
	v_cndmask_b32_e64 v14, v3, v14, s[0:1]
	;; [unrolled: 3-line block ×3, first 2 shown]
	v_cmp_lt_i32_e64 s[0:1], v16, v12
	v_lshlrev_b32_e32 v5, 8, v9
	v_cndmask_b32_e64 v16, v3, v16, s[0:1]
	v_cmp_lt_i32_e64 s[0:1], v17, v12
	v_cndmask_b32_e64 v3, v3, v17, s[0:1]
	v_lshl_add_u32 v2, v2, 6, v5
	s_mov_b32 s6, 0
	s_mov_b64 s[4:5], 0
	v_mov_b32_e32 v9, s15
	s_mov_b32 s7, 0x800000
	v_lshlrev_b32_e32 v12, 2, v13
	v_lshlrev_b32_e32 v13, 2, v14
	;; [unrolled: 1-line block ×5, first 2 shown]
	v_or_b32_e32 v2, v2, v4
	v_mov_b32_e32 v19, s17
	s_waitcnt vmcnt(1)
	v_lshrrev_b32_e32 v17, 16, v1
	s_waitcnt vmcnt(0)
	v_lshrrev_b32_e32 v18, 16, v6
	s_branch .LBB60_15
.LBB60_14:                              ;   in Loop: Header=BB60_15 Depth=1
	s_or_b64 exec, exec, s[0:1]
	v_ashrrev_i32_e32 v3, 31, v2
	v_cvt_f16_f32_e32 v20, v4
	v_cvt_f16_f32_e32 v21, v5
	v_lshlrev_b64 v[4:5], 1, v[2:3]
	v_add_co_u32_e64 v4, s[0:1], s16, v4
	v_addc_co_u32_e64 v5, s[0:1], v19, v5, s[0:1]
	s_add_i32 s6, s6, 1
	v_cmp_ge_i32_e64 s[0:1], s6, v8
	v_pack_b32_f16 v3, v20, v21
	v_add_u32_e32 v2, 64, v2
	s_or_b64 s[4:5], s[0:1], s[4:5]
	v_add_u32_e32 v11, 0x80, v11
	global_store_dword v[4:5], v3, off
	s_andn2_b64 exec, exec, s[4:5]
	s_cbranch_execz .LBB60_17
.LBB60_15:                              ; =>This Inner Loop Header: Depth=1
	ds_read_b32 v3, v11
	v_mov_b32_e32 v22, v9
	s_waitcnt lgkmcnt(0)
	v_cvt_f32_f16_sdwa v5, v3 dst_sel:DWORD dst_unused:UNUSED_PAD src0_sel:WORD_1
	v_cvt_f32_f16_e32 v4, v3
	v_pk_mul_f32 v[20:21], v[4:5], v[4:5]
	v_add_f32_e32 v3, v21, v20
	ds_bpermute_b32 v20, v12, v3
	v_add_u32_e32 v21, s6, v0
	v_cmp_gt_i32_e64 s[0:1], s12, v21
	v_cndmask_b32_e64 v21, v18, v17, s[0:1]
	v_cvt_f32_f16_e32 v21, v21
	s_waitcnt lgkmcnt(0)
	v_add_f32_e32 v3, v3, v20
	ds_bpermute_b32 v20, v13, v3
	s_waitcnt lgkmcnt(0)
	v_add_f32_e32 v3, v3, v20
	ds_bpermute_b32 v20, v14, v3
	s_waitcnt lgkmcnt(0)
	v_add_f32_e32 v3, v3, v20
	ds_bpermute_b32 v20, v15, v3
	s_waitcnt lgkmcnt(0)
	v_add_f32_e32 v3, v3, v20
	ds_bpermute_b32 v20, v16, v3
	s_waitcnt lgkmcnt(0)
	v_add_f32_e32 v3, v3, v20
	v_fmac_f32_e32 v22, 0x3c800000, v3
	v_mul_f32_e32 v3, 0x4b800000, v22
	v_cmp_gt_f32_e64 s[2:3], s7, v22
	v_cndmask_b32_e64 v3, v22, v3, s[2:3]
	v_rsq_f32_e32 v3, v3
	v_cndmask_b32_e64 v20, v6, v1, s[0:1]
	v_cvt_f32_f16_e32 v20, v20
	v_mul_f32_e32 v22, 0x45800000, v3
	v_cndmask_b32_e64 v22, v3, v22, s[2:3]
	v_pk_mul_f32 v[20:21], v[22:23], v[20:21] op_sel_hi:[0,1]
	v_pk_mul_f32 v[4:5], v[20:21], v[4:5]
	s_and_saveexec_b64 s[0:1], vcc
	s_cbranch_execz .LBB60_14
; %bb.16:                               ;   in Loop: Header=BB60_15 Depth=1
	ds_read_u16 v3, v7
	ds_read_u16 v20, v10
	s_waitcnt lgkmcnt(1)
	v_lshlrev_b32_e32 v21, 16, v3
	s_waitcnt lgkmcnt(0)
	v_lshlrev_b32_e32 v20, 16, v20
	v_pk_mul_f32 v[22:23], v[4:5], v[20:21]
	v_mov_b32_e32 v3, v22
	v_mul_f32_e32 v24, v4, v21
	v_pk_fma_f32 v[22:23], v[4:5], v[20:21], v[2:3]
	v_fma_f32 v4, -v5, v20, v24
	v_mov_b32_e32 v5, v23
	s_branch .LBB60_14
.LBB60_17:
	s_endpgm
	.section	.rodata,"a",@progbits
	.p2align	6, 0x0
	.amdhsa_kernel _ZN12tensorrt_llm7kernels32fusedQKNormRopeKernelNTokenHeadsIN3c104HalfENS2_8BFloat16ELi64ELb1ELi4EEEvPviiifPKvS7_S7_PKlii
		.amdhsa_group_segment_fixed_size 0
		.amdhsa_private_segment_fixed_size 0
		.amdhsa_kernarg_size 320
		.amdhsa_user_sgpr_count 6
		.amdhsa_user_sgpr_private_segment_buffer 1
		.amdhsa_user_sgpr_dispatch_ptr 0
		.amdhsa_user_sgpr_queue_ptr 0
		.amdhsa_user_sgpr_kernarg_segment_ptr 1
		.amdhsa_user_sgpr_dispatch_id 0
		.amdhsa_user_sgpr_flat_scratch_init 0
		.amdhsa_user_sgpr_kernarg_preload_length 0
		.amdhsa_user_sgpr_kernarg_preload_offset 0
		.amdhsa_user_sgpr_private_segment_size 0
		.amdhsa_uses_dynamic_stack 0
		.amdhsa_system_sgpr_private_segment_wavefront_offset 0
		.amdhsa_system_sgpr_workgroup_id_x 1
		.amdhsa_system_sgpr_workgroup_id_y 0
		.amdhsa_system_sgpr_workgroup_id_z 0
		.amdhsa_system_sgpr_workgroup_info 0
		.amdhsa_system_vgpr_workitem_id 0
		.amdhsa_next_free_vgpr 25
		.amdhsa_next_free_sgpr 24
		.amdhsa_accum_offset 28
		.amdhsa_reserve_vcc 1
		.amdhsa_reserve_flat_scratch 0
		.amdhsa_float_round_mode_32 0
		.amdhsa_float_round_mode_16_64 0
		.amdhsa_float_denorm_mode_32 3
		.amdhsa_float_denorm_mode_16_64 3
		.amdhsa_dx10_clamp 1
		.amdhsa_ieee_mode 1
		.amdhsa_fp16_overflow 0
		.amdhsa_tg_split 0
		.amdhsa_exception_fp_ieee_invalid_op 0
		.amdhsa_exception_fp_denorm_src 0
		.amdhsa_exception_fp_ieee_div_zero 0
		.amdhsa_exception_fp_ieee_overflow 0
		.amdhsa_exception_fp_ieee_underflow 0
		.amdhsa_exception_fp_ieee_inexact 0
		.amdhsa_exception_int_div_zero 0
	.end_amdhsa_kernel
	.section	.text._ZN12tensorrt_llm7kernels32fusedQKNormRopeKernelNTokenHeadsIN3c104HalfENS2_8BFloat16ELi64ELb1ELi4EEEvPviiifPKvS7_S7_PKlii,"axG",@progbits,_ZN12tensorrt_llm7kernels32fusedQKNormRopeKernelNTokenHeadsIN3c104HalfENS2_8BFloat16ELi64ELb1ELi4EEEvPviiifPKvS7_S7_PKlii,comdat
.Lfunc_end60:
	.size	_ZN12tensorrt_llm7kernels32fusedQKNormRopeKernelNTokenHeadsIN3c104HalfENS2_8BFloat16ELi64ELb1ELi4EEEvPviiifPKvS7_S7_PKlii, .Lfunc_end60-_ZN12tensorrt_llm7kernels32fusedQKNormRopeKernelNTokenHeadsIN3c104HalfENS2_8BFloat16ELi64ELb1ELi4EEEvPviiifPKvS7_S7_PKlii
                                        ; -- End function
	.section	.AMDGPU.csdata,"",@progbits
; Kernel info:
; codeLenInByte = 1704
; NumSgprs: 28
; NumVgprs: 25
; NumAgprs: 0
; TotalNumVgprs: 25
; ScratchSize: 0
; MemoryBound: 0
; FloatMode: 240
; IeeeMode: 1
; LDSByteSize: 0 bytes/workgroup (compile time only)
; SGPRBlocks: 3
; VGPRBlocks: 3
; NumSGPRsForWavesPerEU: 28
; NumVGPRsForWavesPerEU: 25
; AccumOffset: 28
; Occupancy: 8
; WaveLimiterHint : 0
; COMPUTE_PGM_RSRC2:SCRATCH_EN: 0
; COMPUTE_PGM_RSRC2:USER_SGPR: 6
; COMPUTE_PGM_RSRC2:TRAP_HANDLER: 0
; COMPUTE_PGM_RSRC2:TGID_X_EN: 1
; COMPUTE_PGM_RSRC2:TGID_Y_EN: 0
; COMPUTE_PGM_RSRC2:TGID_Z_EN: 0
; COMPUTE_PGM_RSRC2:TIDIG_COMP_CNT: 0
; COMPUTE_PGM_RSRC3_GFX90A:ACCUM_OFFSET: 6
; COMPUTE_PGM_RSRC3_GFX90A:TG_SPLIT: 0
	.section	.text._ZN12tensorrt_llm7kernels32fusedQKNormRopeKernelNTokenHeadsIN3c104HalfENS2_8BFloat16ELi64ELb0ELi4EEEvPviiifPKvS7_S7_PKlii,"axG",@progbits,_ZN12tensorrt_llm7kernels32fusedQKNormRopeKernelNTokenHeadsIN3c104HalfENS2_8BFloat16ELi64ELb0ELi4EEEvPviiifPKvS7_S7_PKlii,comdat
	.protected	_ZN12tensorrt_llm7kernels32fusedQKNormRopeKernelNTokenHeadsIN3c104HalfENS2_8BFloat16ELi64ELb0ELi4EEEvPviiifPKvS7_S7_PKlii ; -- Begin function _ZN12tensorrt_llm7kernels32fusedQKNormRopeKernelNTokenHeadsIN3c104HalfENS2_8BFloat16ELi64ELb0ELi4EEEvPviiifPKvS7_S7_PKlii
	.globl	_ZN12tensorrt_llm7kernels32fusedQKNormRopeKernelNTokenHeadsIN3c104HalfENS2_8BFloat16ELi64ELb0ELi4EEEvPviiifPKvS7_S7_PKlii
	.p2align	8
	.type	_ZN12tensorrt_llm7kernels32fusedQKNormRopeKernelNTokenHeadsIN3c104HalfENS2_8BFloat16ELi64ELb0ELi4EEEvPviiifPKvS7_S7_PKlii,@function
_ZN12tensorrt_llm7kernels32fusedQKNormRopeKernelNTokenHeadsIN3c104HalfENS2_8BFloat16ELi64ELb0ELi4EEEvPviiifPKvS7_S7_PKlii: ; @_ZN12tensorrt_llm7kernels32fusedQKNormRopeKernelNTokenHeadsIN3c104HalfENS2_8BFloat16ELi64ELb0ELi4EEEvPviiifPKvS7_S7_PKlii
; %bb.0:
	s_load_dwordx4 s[12:15], s[4:5], 0x8
	s_load_dwordx2 s[2:3], s[4:5], 0x38
	s_load_dword s0, s[4:5], 0x4c
	v_lshrrev_b32_e32 v12, 5, v0
	s_waitcnt lgkmcnt(0)
	s_add_i32 s19, s13, s12
	s_add_i32 s1, s19, 3
	s_ashr_i32 s7, s1, 31
	s_lshr_b32 s7, s7, 30
	s_add_i32 s1, s1, s7
	s_ashr_i32 s21, s1, 2
	s_abs_i32 s1, s21
	v_cvt_f32_u32_e32 v1, s1
	s_bfe_u32 s0, s0, 0xb0005
	s_mul_i32 s6, s6, s0
	v_add_u32_e32 v8, s6, v12
	v_rcp_iflag_f32_e32 v1, v1
	s_sub_i32 s6, 0, s1
	v_sub_u32_e32 v2, 0, v8
	v_max_i32_e32 v2, v8, v2
	v_mul_f32_e32 v1, 0x4f7ffffe, v1
	v_cvt_u32_f32_e32 v1, v1
	v_xor_b32_e32 v3, s21, v8
	v_ashrrev_i32_e32 v3, 31, v3
	v_mul_lo_u32 v4, s6, v1
	v_mul_hi_u32 v4, v1, v4
	v_add_u32_e32 v1, v1, v4
	v_mul_hi_u32 v1, v2, v1
	v_mul_lo_u32 v4, v1, s1
	v_sub_u32_e32 v2, v2, v4
	v_add_u32_e32 v4, 1, v1
	v_cmp_le_u32_e32 vcc, s1, v2
	v_cndmask_b32_e32 v1, v1, v4, vcc
	v_subrev_u32_e32 v4, s1, v2
	v_cndmask_b32_e32 v2, v2, v4, vcc
	v_add_u32_e32 v4, 1, v1
	v_cmp_le_u32_e32 vcc, s1, v2
	v_cndmask_b32_e32 v1, v1, v4, vcc
	v_xor_b32_e32 v1, v1, v3
	v_sub_u32_e32 v2, v1, v3
	v_cmp_gt_i32_e32 vcc, s2, v2
	s_and_saveexec_b64 s[6:7], vcc
	s_cbranch_execz .LBB61_17
; %bb.1:
	v_and_b32_e32 v9, 31, v0
	v_mul_lo_u32 v0, v2, s21
	v_sub_u32_e32 v0, v8, v0
	s_load_dwordx2 s[16:17], s[4:5], 0x0
	v_lshlrev_b32_e32 v0, 2, v0
	v_add_u32_e32 v1, 4, v0
	v_sub_u32_e32 v3, s19, v0
	v_cmp_lt_i32_e32 vcc, s19, v1
	v_cndmask_b32_e32 v7, 4, v3, vcc
	s_lshl_b32 s2, s3, 1
	s_mul_i32 s20, s2, s0
	v_lshlrev_b32_e32 v10, 9, v12
	v_cmp_lt_i32_e64 s[0:1], 0, v7
	v_lshlrev_b32_e32 v11, 2, v9
	s_and_saveexec_b64 s[6:7], s[0:1]
	s_cbranch_execz .LBB61_9
; %bb.2:
	s_mov_b32 s18, 1
	v_lshlrev_b32_e32 v4, 1, v9
	v_cmp_ne_u32_e32 vcc, 1, v7
	s_mov_b64 s[10:11], -1
	v_mov_b32_e32 v1, 0
	s_and_saveexec_b64 s[8:9], vcc
	s_cbranch_execz .LBB61_6
; %bb.3:
	s_add_i32 s19, s19, s14
	s_add_i32 s10, s20, 0
	v_mul_lo_u32 v6, v2, s19
	s_mov_b32 s22, 0
	v_add3_u32 v13, s10, v10, v11
	v_mov_b32_e32 v1, v0
	s_mov_b32 s19, s12
	s_mov_b32 s23, s12
	v_mov_b32_e32 v3, v6
	v_mov_b32_e32 v5, v4
	v_and_b32_e32 v14, 0x7ffffffe, v7
	s_mov_b64 s[10:11], 0
	v_mov_b32_e32 v15, s12
	v_mov_b32_e32 v16, s12
	s_waitcnt lgkmcnt(0)
	v_mov_b32_e32 v17, s17
.LBB61_4:                               ; =>This Inner Loop Header: Depth=1
	v_add_u32_e32 v19, s18, v1
	v_add_u32_e32 v18, s22, v0
	v_cmp_le_i32_e32 vcc, s23, v19
	v_cndmask_b32_e32 v20, 0, v15, vcc
	v_cmp_le_i32_e32 vcc, s19, v18
	v_cndmask_b32_e32 v21, 0, v16, vcc
	v_sub_u32_e32 v18, v18, v21
	v_sub_u32_e32 v19, v19, v20
	v_add3_u32 v18, v6, v21, v18
	v_add3_u32 v19, v3, v20, v19
	v_lshl_or_b32 v18, v18, 6, v4
	v_lshl_or_b32 v20, v19, 6, v5
	v_ashrrev_i32_e32 v19, 31, v18
	v_lshlrev_b64 v[18:19], 1, v[18:19]
	v_ashrrev_i32_e32 v21, 31, v20
	v_add_co_u32_e32 v18, vcc, s16, v18
	v_lshlrev_b64 v[20:21], 1, v[20:21]
	v_addc_co_u32_e32 v19, vcc, v17, v19, vcc
	v_add_co_u32_e32 v20, vcc, s16, v20
	v_addc_co_u32_e32 v21, vcc, v17, v21, vcc
	global_load_dword v22, v[18:19], off
	global_load_dword v23, v[20:21], off
	v_add_u32_e32 v14, -2, v14
	v_lshl_add_u32 v18, s22, 7, v13
	v_lshl_add_u32 v19, s18, 7, v13
	s_add_i32 s22, s22, 2
	s_add_i32 s18, s18, 2
	v_cmp_eq_u32_e32 vcc, 0, v14
	s_or_b64 s[10:11], vcc, s[10:11]
	s_waitcnt vmcnt(1)
	ds_write_b32 v18, v22
	s_waitcnt vmcnt(0)
	ds_write_b32 v19, v23
	s_andn2_b64 exec, exec, s[10:11]
	s_cbranch_execnz .LBB61_4
; %bb.5:
	s_or_b64 exec, exec, s[10:11]
	v_and_b32_e32 v1, 0x7ffffffe, v7
	v_cmp_ne_u32_e32 vcc, v7, v1
	s_orn2_b64 s[10:11], vcc, exec
.LBB61_6:
	s_or_b64 exec, exec, s[8:9]
	s_and_b64 exec, exec, s[10:11]
	s_cbranch_execz .LBB61_9
; %bb.7:
	s_add_i32 s8, s14, s13
	s_add_i32 s8, s8, s12
	s_lshl_b32 s9, s21, 2
	s_sub_i32 s8, s8, s9
	v_mul_lo_u32 v3, s8, v2
	v_lshlrev_b32_e32 v5, 2, v8
	v_add3_u32 v3, v1, v3, v5
	v_lshl_or_b32 v4, v3, 6, v4
	v_lshlrev_b32_e32 v3, 7, v1
	v_add3_u32 v3, s20, v10, v3
	v_add3_u32 v3, v3, v11, 0
	s_mov_b64 s[8:9], 0
	s_waitcnt lgkmcnt(0)
	v_mov_b32_e32 v6, s17
.LBB61_8:                               ; =>This Inner Loop Header: Depth=1
	v_ashrrev_i32_e32 v5, 31, v4
	v_lshlrev_b64 v[14:15], 1, v[4:5]
	v_add_co_u32_e32 v14, vcc, s16, v14
	v_addc_co_u32_e32 v15, vcc, v6, v15, vcc
	global_load_dword v5, v[14:15], off
	v_add_u32_e32 v1, 1, v1
	v_cmp_ge_i32_e32 vcc, v1, v7
	v_add_u32_e32 v4, 64, v4
	s_or_b64 s[8:9], vcc, s[8:9]
	s_waitcnt vmcnt(0)
	ds_write_b32 v3, v5
	v_add_u32_e32 v3, 0x80, v3
	s_andn2_b64 exec, exec, s[8:9]
	s_cbranch_execnz .LBB61_8
.LBB61_9:
	s_or_b64 exec, exec, s[6:7]
	s_add_i32 s2, s2, 15
	s_load_dwordx8 s[4:11], s[4:5], 0x18
	s_ashr_i32 s18, s2, 31
	s_lshr_b32 s18, s18, 28
	s_add_i32 s2, s2, s18
	s_ashr_i32 s2, s2, 4
	v_cmp_gt_i32_e32 vcc, s2, v9
	v_mul_lo_u32 v6, v12, s3
	s_and_saveexec_b64 s[18:19], vcc
	s_cbranch_execz .LBB61_12
; %bb.10:
	v_ashrrev_i32_e32 v3, 31, v2
	v_lshlrev_b64 v[4:5], 3, v[2:3]
	s_waitcnt lgkmcnt(0)
	v_mov_b32_e32 v1, s11
	v_add_co_u32_e32 v4, vcc, s10, v4
	v_addc_co_u32_e32 v5, vcc, v1, v5, vcc
	global_load_dwordx2 v[4:5], v[4:5], off
	s_ashr_i32 s22, s3, 31
	v_lshlrev_b32_e32 v1, 1, v6
	v_lshlrev_b32_e32 v3, 4, v9
	v_add3_u32 v1, v1, v3, 0
	v_mov_b32_e32 v12, s9
	s_mov_b64 s[10:11], 0
	s_waitcnt vmcnt(0)
	v_mul_lo_u32 v13, v5, s3
	v_mul_lo_u32 v14, v4, s22
	v_mad_u64_u32 v[4:5], s[22:23], v4, s3, 0
	v_add3_u32 v5, v5, v14, v13
	v_lshlrev_b64 v[4:5], 1, v[4:5]
	v_add_co_u32_e32 v3, vcc, v4, v3
	v_addc_co_u32_e32 v5, vcc, 0, v5, vcc
	v_add_co_u32_e32 v4, vcc, s8, v3
	v_addc_co_u32_e32 v5, vcc, v12, v5, vcc
	v_mov_b32_e32 v3, v9
.LBB61_11:                              ; =>This Inner Loop Header: Depth=1
	global_load_dwordx4 v[12:15], v[4:5], off
	v_add_co_u32_e32 v4, vcc, 0x200, v4
	v_add_u32_e32 v3, 32, v3
	v_addc_co_u32_e32 v5, vcc, 0, v5, vcc
	v_cmp_le_i32_e32 vcc, s2, v3
	s_or_b64 s[10:11], vcc, s[10:11]
	s_waitcnt vmcnt(0)
	ds_write_b128 v1, v[12:15]
	v_add_u32_e32 v1, 0x200, v1
	s_andn2_b64 exec, exec, s[10:11]
	s_cbranch_execnz .LBB61_11
.LBB61_12:
	s_or_b64 exec, exec, s[18:19]
	s_and_b64 exec, exec, s[0:1]
	s_cbranch_execz .LBB61_17
; %bb.13:
	s_waitcnt lgkmcnt(0)
	global_load_dword v1, v11, s[4:5]
	global_load_dword v4, v11, s[6:7]
	v_mbcnt_lo_u32_b32 v5, -1, 0
	s_abs_i32 s4, s3
	s_lshr_b32 s0, s3, 31
	v_mbcnt_hi_u32_b32 v15, -1, v5
	v_cvt_f32_u32_e32 v12, s4
	s_add_i32 s1, s14, s13
	s_add_i32 s0, s3, s0
	v_and_b32_e32 v5, 0x60, v15
	v_lshl_add_u32 v3, v6, 1, 0
	s_add_i32 s7, s1, s12
	s_ashr_i32 s1, s0, 1
	s_and_b32 s0, s0, -2
	v_xor_b32_e32 v6, 16, v15
	v_add_u32_e32 v5, 32, v5
	v_xor_b32_e32 v13, 8, v15
	v_add_u32_e32 v20, s0, v3
	v_cmp_gt_i32_e32 vcc, s1, v9
	s_lshr_b32 s2, s1, 1
	v_cmp_lt_i32_e64 s[0:1], v6, v5
	v_xor_b32_e32 v14, 4, v15
	v_cndmask_b32_e64 v6, v15, v6, s[0:1]
	v_cmp_lt_i32_e64 s[0:1], v13, v5
	v_rcp_iflag_f32_e32 v22, v12
	v_xor_b32_e32 v17, 2, v15
	v_cndmask_b32_e64 v13, v15, v13, s[0:1]
	v_cmp_lt_i32_e64 s[0:1], v14, v5
	v_cndmask_b32_e64 v14, v15, v14, s[0:1]
	v_cmp_lt_i32_e64 s[0:1], v17, v5
	v_xor_b32_e32 v18, 1, v15
	v_cndmask_b32_e64 v17, v15, v17, s[0:1]
	v_cmp_lt_i32_e64 s[0:1], v18, v5
	v_lshlrev_b32_e32 v5, 2, v6
	v_lshlrev_b32_e32 v6, 2, v13
	;; [unrolled: 1-line block ×3, first 2 shown]
	v_mul_f32_e32 v17, 0x4f7ffffe, v22
	v_cvt_u32_f32_e32 v17, v17
	s_sub_i32 s6, 0, s4
	v_cndmask_b32_e64 v18, v15, v18, s[0:1]
	v_lshlrev_b32_e32 v12, 2, v14
	v_lshlrev_b32_e32 v14, 2, v18
	v_mul_lo_u32 v18, s6, v17
	v_mul_hi_u32 v18, v17, v18
	v_add_u32_e32 v17, v17, v18
	v_or_b32_e32 v16, 2, v11
	v_and_b32_e32 v19, 64, v15
	v_mul_hi_u32 v18, v11, v17
	v_add_u32_e32 v19, 64, v19
	v_xor_b32_e32 v21, s2, v15
	v_mul_hi_u32 v17, v16, v17
	v_mul_lo_u32 v18, v18, s4
	v_cmp_gt_u32_e64 s[0:1], s2, v9
	v_cmp_lt_i32_e64 s[2:3], v21, v19
	v_mul_lo_u32 v17, v17, s4
	v_sub_u32_e32 v18, v11, v18
	v_cndmask_b32_e64 v15, v15, v21, s[2:3]
	v_sub_u32_e32 v16, v16, v17
	v_subrev_u32_e32 v17, s4, v18
	v_cmp_le_u32_e64 s[2:3], s4, v18
	v_subrev_u32_e32 v19, s4, v16
	v_cndmask_b32_e64 v17, v18, v17, s[2:3]
	v_cmp_le_u32_e64 s[2:3], s4, v16
	v_cndmask_b32_e64 v16, v16, v19, s[2:3]
	v_subrev_u32_e32 v18, s4, v17
	v_cmp_le_u32_e64 s[2:3], s4, v17
	v_subrev_u32_e32 v19, s4, v16
	v_cndmask_b32_e64 v17, v17, v18, s[2:3]
	v_cmp_le_u32_e64 s[2:3], s4, v16
	s_lshl_b32 s5, s21, 2
	v_cndmask_b32_e64 v16, v16, v19, s[2:3]
	v_and_b32_e32 v17, -2, v17
	v_and_b32_e32 v19, -2, v16
	s_sub_i32 s2, s7, s5
	v_add_u32_e32 v16, v3, v17
	v_add_u32_e32 v18, v3, v19
	v_mul_lo_u32 v2, s2, v2
	v_lshlrev_b32_e32 v3, 8, v8
	v_lshl_add_u32 v2, v2, 6, v3
	v_add_u32_e32 v3, s20, v10
	s_mov_b32 s8, 0
	v_lshlrev_b32_e32 v15, 2, v15
	v_add_u32_e32 v17, v20, v17
	v_add_u32_e32 v19, v20, v19
	s_waitcnt vmcnt(1)
	v_lshrrev_b32_e32 v20, 16, v1
	s_waitcnt vmcnt(0)
	v_lshrrev_b32_e32 v21, 16, v4
	v_lshl_or_b32 v2, v9, 1, v2
	v_add3_u32 v8, v3, v11, 0
	s_mov_b64 s[6:7], 0
	v_mov_b32_e32 v9, s15
	s_mov_b32 s9, 0x800000
	v_mov_b32_e32 v10, s17
	s_branch .LBB61_15
.LBB61_14:                              ;   in Loop: Header=BB61_15 Depth=1
	s_or_b64 exec, exec, s[2:3]
	v_cvt_f16_f32_e32 v24, v3
	v_ashrrev_i32_e32 v3, 31, v2
	v_cvt_f16_f32_e32 v11, v11
	v_lshlrev_b64 v[22:23], 1, v[2:3]
	v_add_co_u32_e64 v22, s[2:3], s16, v22
	v_addc_co_u32_e64 v23, s[2:3], v10, v23, s[2:3]
	s_add_i32 s8, s8, 1
	v_cmp_ge_i32_e64 s[2:3], s8, v7
	v_pack_b32_f16 v3, v11, v24
	v_add_u32_e32 v2, 64, v2
	s_or_b64 s[6:7], s[2:3], s[6:7]
	v_add_u32_e32 v8, 0x80, v8
	global_store_dword v[22:23], v3, off
	s_andn2_b64 exec, exec, s[6:7]
	s_cbranch_execz .LBB61_17
.LBB61_15:                              ; =>This Inner Loop Header: Depth=1
	ds_read_b32 v3, v8
	s_waitcnt lgkmcnt(0)
	v_cvt_f32_f16_sdwa v22, v3 dst_sel:DWORD dst_unused:UNUSED_PAD src0_sel:WORD_1
	v_cvt_f32_f16_e32 v23, v3
	v_pk_mul_f32 v[24:25], v[22:23], v[22:23]
	v_add_f32_e32 v3, v24, v25
	ds_bpermute_b32 v11, v5, v3
	v_mov_b32_e32 v25, v9
	v_add_u32_e32 v24, s8, v0
	v_cmp_gt_i32_e64 s[2:3], s12, v24
	v_cndmask_b32_e64 v24, v4, v1, s[2:3]
	s_waitcnt lgkmcnt(0)
	v_add_f32_e32 v3, v3, v11
	ds_bpermute_b32 v11, v6, v3
	s_waitcnt lgkmcnt(0)
	v_add_f32_e32 v3, v3, v11
	ds_bpermute_b32 v11, v12, v3
	;; [unrolled: 3-line block ×4, first 2 shown]
	s_waitcnt lgkmcnt(0)
	v_add_f32_e32 v3, v3, v11
	v_fmac_f32_e32 v25, 0x3c800000, v3
	v_mul_f32_e32 v3, 0x4b800000, v25
	v_cmp_gt_f32_e64 s[4:5], s9, v25
	v_cndmask_b32_e64 v3, v25, v3, s[4:5]
	v_rsq_f32_e32 v3, v3
	v_cvt_f32_f16_e32 v11, v24
	v_cndmask_b32_e64 v24, v21, v20, s[2:3]
	v_cvt_f32_f16_e32 v24, v24
	v_mul_f32_e32 v25, 0x45800000, v3
	v_cndmask_b32_e64 v3, v3, v25, s[4:5]
	v_mul_f32_e32 v11, v3, v11
	v_mul_f32_e32 v3, v3, v24
	;; [unrolled: 1-line block ×4, first 2 shown]
	s_and_saveexec_b64 s[2:3], vcc
	s_cbranch_execz .LBB61_14
; %bb.16:                               ;   in Loop: Header=BB61_15 Depth=1
	ds_bpermute_b32 v22, v15, v11
	; wave barrier
	ds_read_u16 v23, v16
	ds_read_u16 v24, v17
	ds_bpermute_b32 v25, v15, v3
	ds_read_u16 v26, v18
	ds_read_u16 v27, v19
	s_waitcnt lgkmcnt(5)
	v_cndmask_b32_e64 v22, v22, -v22, s[0:1]
	s_waitcnt lgkmcnt(4)
	v_lshlrev_b32_e32 v23, 16, v23
	s_waitcnt lgkmcnt(3)
	v_lshlrev_b32_e32 v24, 16, v24
	v_mul_f32_e32 v22, v22, v24
	v_fmac_f32_e32 v22, v11, v23
	s_waitcnt lgkmcnt(2)
	v_cndmask_b32_e64 v11, v25, -v25, s[0:1]
	s_waitcnt lgkmcnt(0)
	v_lshlrev_b32_e32 v24, 16, v27
	v_lshlrev_b32_e32 v23, 16, v26
	v_mul_f32_e32 v24, v11, v24
	v_fmac_f32_e32 v24, v3, v23
	v_mov_b32_e32 v11, v22
	v_mov_b32_e32 v3, v24
	; wave barrier
	s_branch .LBB61_14
.LBB61_17:
	s_endpgm
	.section	.rodata,"a",@progbits
	.p2align	6, 0x0
	.amdhsa_kernel _ZN12tensorrt_llm7kernels32fusedQKNormRopeKernelNTokenHeadsIN3c104HalfENS2_8BFloat16ELi64ELb0ELi4EEEvPviiifPKvS7_S7_PKlii
		.amdhsa_group_segment_fixed_size 0
		.amdhsa_private_segment_fixed_size 0
		.amdhsa_kernarg_size 320
		.amdhsa_user_sgpr_count 6
		.amdhsa_user_sgpr_private_segment_buffer 1
		.amdhsa_user_sgpr_dispatch_ptr 0
		.amdhsa_user_sgpr_queue_ptr 0
		.amdhsa_user_sgpr_kernarg_segment_ptr 1
		.amdhsa_user_sgpr_dispatch_id 0
		.amdhsa_user_sgpr_flat_scratch_init 0
		.amdhsa_user_sgpr_kernarg_preload_length 0
		.amdhsa_user_sgpr_kernarg_preload_offset 0
		.amdhsa_user_sgpr_private_segment_size 0
		.amdhsa_uses_dynamic_stack 0
		.amdhsa_system_sgpr_private_segment_wavefront_offset 0
		.amdhsa_system_sgpr_workgroup_id_x 1
		.amdhsa_system_sgpr_workgroup_id_y 0
		.amdhsa_system_sgpr_workgroup_id_z 0
		.amdhsa_system_sgpr_workgroup_info 0
		.amdhsa_system_vgpr_workitem_id 0
		.amdhsa_next_free_vgpr 28
		.amdhsa_next_free_sgpr 24
		.amdhsa_accum_offset 28
		.amdhsa_reserve_vcc 1
		.amdhsa_reserve_flat_scratch 0
		.amdhsa_float_round_mode_32 0
		.amdhsa_float_round_mode_16_64 0
		.amdhsa_float_denorm_mode_32 3
		.amdhsa_float_denorm_mode_16_64 3
		.amdhsa_dx10_clamp 1
		.amdhsa_ieee_mode 1
		.amdhsa_fp16_overflow 0
		.amdhsa_tg_split 0
		.amdhsa_exception_fp_ieee_invalid_op 0
		.amdhsa_exception_fp_denorm_src 0
		.amdhsa_exception_fp_ieee_div_zero 0
		.amdhsa_exception_fp_ieee_overflow 0
		.amdhsa_exception_fp_ieee_underflow 0
		.amdhsa_exception_fp_ieee_inexact 0
		.amdhsa_exception_int_div_zero 0
	.end_amdhsa_kernel
	.section	.text._ZN12tensorrt_llm7kernels32fusedQKNormRopeKernelNTokenHeadsIN3c104HalfENS2_8BFloat16ELi64ELb0ELi4EEEvPviiifPKvS7_S7_PKlii,"axG",@progbits,_ZN12tensorrt_llm7kernels32fusedQKNormRopeKernelNTokenHeadsIN3c104HalfENS2_8BFloat16ELi64ELb0ELi4EEEvPviiifPKvS7_S7_PKlii,comdat
.Lfunc_end61:
	.size	_ZN12tensorrt_llm7kernels32fusedQKNormRopeKernelNTokenHeadsIN3c104HalfENS2_8BFloat16ELi64ELb0ELi4EEEvPviiifPKvS7_S7_PKlii, .Lfunc_end61-_ZN12tensorrt_llm7kernels32fusedQKNormRopeKernelNTokenHeadsIN3c104HalfENS2_8BFloat16ELi64ELb0ELi4EEEvPviiifPKvS7_S7_PKlii
                                        ; -- End function
	.section	.AMDGPU.csdata,"",@progbits
; Kernel info:
; codeLenInByte = 2004
; NumSgprs: 28
; NumVgprs: 28
; NumAgprs: 0
; TotalNumVgprs: 28
; ScratchSize: 0
; MemoryBound: 0
; FloatMode: 240
; IeeeMode: 1
; LDSByteSize: 0 bytes/workgroup (compile time only)
; SGPRBlocks: 3
; VGPRBlocks: 3
; NumSGPRsForWavesPerEU: 28
; NumVGPRsForWavesPerEU: 28
; AccumOffset: 28
; Occupancy: 8
; WaveLimiterHint : 0
; COMPUTE_PGM_RSRC2:SCRATCH_EN: 0
; COMPUTE_PGM_RSRC2:USER_SGPR: 6
; COMPUTE_PGM_RSRC2:TRAP_HANDLER: 0
; COMPUTE_PGM_RSRC2:TGID_X_EN: 1
; COMPUTE_PGM_RSRC2:TGID_Y_EN: 0
; COMPUTE_PGM_RSRC2:TGID_Z_EN: 0
; COMPUTE_PGM_RSRC2:TIDIG_COMP_CNT: 0
; COMPUTE_PGM_RSRC3_GFX90A:ACCUM_OFFSET: 6
; COMPUTE_PGM_RSRC3_GFX90A:TG_SPLIT: 0
	.section	.text._ZN12tensorrt_llm7kernels32fusedQKNormRopeKernelNTokenHeadsIN3c104HalfENS2_8BFloat16ELi128ELb1ELi4EEEvPviiifPKvS7_S7_PKlii,"axG",@progbits,_ZN12tensorrt_llm7kernels32fusedQKNormRopeKernelNTokenHeadsIN3c104HalfENS2_8BFloat16ELi128ELb1ELi4EEEvPviiifPKvS7_S7_PKlii,comdat
	.protected	_ZN12tensorrt_llm7kernels32fusedQKNormRopeKernelNTokenHeadsIN3c104HalfENS2_8BFloat16ELi128ELb1ELi4EEEvPviiifPKvS7_S7_PKlii ; -- Begin function _ZN12tensorrt_llm7kernels32fusedQKNormRopeKernelNTokenHeadsIN3c104HalfENS2_8BFloat16ELi128ELb1ELi4EEEvPviiifPKvS7_S7_PKlii
	.globl	_ZN12tensorrt_llm7kernels32fusedQKNormRopeKernelNTokenHeadsIN3c104HalfENS2_8BFloat16ELi128ELb1ELi4EEEvPviiifPKvS7_S7_PKlii
	.p2align	8
	.type	_ZN12tensorrt_llm7kernels32fusedQKNormRopeKernelNTokenHeadsIN3c104HalfENS2_8BFloat16ELi128ELb1ELi4EEEvPviiifPKvS7_S7_PKlii,@function
_ZN12tensorrt_llm7kernels32fusedQKNormRopeKernelNTokenHeadsIN3c104HalfENS2_8BFloat16ELi128ELb1ELi4EEEvPviiifPKvS7_S7_PKlii: ; @_ZN12tensorrt_llm7kernels32fusedQKNormRopeKernelNTokenHeadsIN3c104HalfENS2_8BFloat16ELi128ELb1ELi4EEEvPviiifPKvS7_S7_PKlii
; %bb.0:
	s_load_dwordx4 s[12:15], s[4:5], 0x8
	s_load_dwordx2 s[16:17], s[4:5], 0x38
	s_load_dword s1, s[4:5], 0x4c
	v_lshrrev_b32_e32 v2, 5, v0
	s_waitcnt lgkmcnt(0)
	s_add_i32 s0, s13, s12
	s_add_i32 s2, s0, 3
	s_ashr_i32 s3, s2, 31
	s_lshr_b32 s3, s3, 30
	s_add_i32 s2, s2, s3
	s_ashr_i32 s20, s2, 2
	s_abs_i32 s2, s20
	v_cvt_f32_u32_e32 v1, s2
	s_bfe_u32 s1, s1, 0xb0005
	s_mul_i32 s6, s6, s1
	s_sub_i32 s3, 0, s2
	v_rcp_iflag_f32_e32 v3, v1
	v_add_u32_e32 v1, s6, v2
	v_sub_u32_e32 v4, 0, v1
	v_max_i32_e32 v4, v1, v4
	v_mul_f32_e32 v3, 0x4f7ffffe, v3
	v_cvt_u32_f32_e32 v3, v3
	v_xor_b32_e32 v5, s20, v1
	v_ashrrev_i32_e32 v5, 31, v5
	v_mul_lo_u32 v6, s3, v3
	v_mul_hi_u32 v6, v3, v6
	v_add_u32_e32 v3, v3, v6
	v_mul_hi_u32 v3, v4, v3
	v_mul_lo_u32 v6, v3, s2
	v_sub_u32_e32 v4, v4, v6
	v_add_u32_e32 v6, 1, v3
	v_cmp_le_u32_e32 vcc, s2, v4
	v_cndmask_b32_e32 v3, v3, v6, vcc
	v_subrev_u32_e32 v6, s2, v4
	v_cndmask_b32_e32 v4, v4, v6, vcc
	v_add_u32_e32 v6, 1, v3
	v_cmp_le_u32_e32 vcc, s2, v4
	v_cndmask_b32_e32 v3, v3, v6, vcc
	v_xor_b32_e32 v3, v3, v5
	v_sub_u32_e32 v4, v3, v5
	v_cmp_gt_i32_e32 vcc, s16, v4
	s_and_saveexec_b64 s[2:3], vcc
	s_cbranch_execz .LBB62_12
; %bb.1:
	v_and_b32_e32 v6, 31, v0
	v_mul_lo_u32 v0, v4, s20
	v_sub_u32_e32 v0, v1, v0
	s_load_dwordx2 s[2:3], s[4:5], 0x0
	v_lshlrev_b32_e32 v10, 2, v0
	v_add_u32_e32 v0, 4, v10
	v_sub_u32_e32 v3, s0, v10
	v_cmp_lt_i32_e32 vcc, s0, v0
	v_cndmask_b32_e32 v11, 4, v3, vcc
	s_lshl_b32 s18, s17, 1
	s_mul_i32 s16, s18, s1
	v_lshlrev_b32_e32 v9, 10, v2
	v_cmp_lt_i32_e64 s[0:1], 0, v11
	v_lshlrev_b32_e32 v8, 3, v6
	v_lshlrev_b32_e32 v7, 9, v1
	s_and_saveexec_b64 s[6:7], s[0:1]
	s_cbranch_execz .LBB62_4
; %bb.2:
	s_add_i32 s8, s16, 0
	v_add3_u32 v3, s8, v9, v8
	s_add_i32 s8, s14, s13
	s_add_i32 s8, s8, s12
	s_lshl_b32 s9, s20, 2
	s_sub_i32 s8, s8, s9
	v_mul_lo_u32 v0, s8, v4
	v_lshl_add_u32 v0, v0, 7, v7
	s_mov_b32 s10, 0
	v_lshl_or_b32 v0, v6, 2, v0
	s_mov_b64 s[8:9], 0
	s_waitcnt lgkmcnt(0)
	v_mov_b32_e32 v5, s3
.LBB62_3:                               ; =>This Inner Loop Header: Depth=1
	v_ashrrev_i32_e32 v1, 31, v0
	v_lshlrev_b64 v[12:13], 1, v[0:1]
	v_add_co_u32_e32 v12, vcc, s2, v12
	v_addc_co_u32_e32 v13, vcc, v5, v13, vcc
	global_load_dwordx2 v[12:13], v[12:13], off
	s_add_i32 s10, s10, 1
	v_cmp_ge_i32_e32 vcc, s10, v11
	v_add_u32_e32 v0, 0x80, v0
	s_or_b64 s[8:9], vcc, s[8:9]
	s_waitcnt vmcnt(0)
	ds_write_b64 v3, v[12:13]
	v_add_u32_e32 v3, 0x100, v3
	s_andn2_b64 exec, exec, s[8:9]
	s_cbranch_execnz .LBB62_3
.LBB62_4:
	s_or_b64 exec, exec, s[6:7]
	s_add_i32 s18, s18, 15
	s_load_dwordx8 s[4:11], s[4:5], 0x18
	s_ashr_i32 s19, s18, 31
	s_lshr_b32 s19, s19, 28
	s_add_i32 s18, s18, s19
	s_ashr_i32 s21, s18, 4
	v_mul_lo_u32 v0, v2, s17
	v_cmp_gt_i32_e32 vcc, s21, v6
	v_lshlrev_b32_e32 v13, 1, v0
	s_and_saveexec_b64 s[18:19], vcc
	s_cbranch_execz .LBB62_7
; %bb.5:
	v_ashrrev_i32_e32 v5, 31, v4
	v_lshlrev_b64 v[0:1], 3, v[4:5]
	s_waitcnt lgkmcnt(0)
	v_mov_b32_e32 v2, s11
	v_add_co_u32_e32 v0, vcc, s10, v0
	v_addc_co_u32_e32 v1, vcc, v2, v1, vcc
	global_load_dwordx2 v[0:1], v[0:1], off
	s_ashr_i32 s22, s17, 31
	v_lshlrev_b32_e32 v3, 4, v6
	v_mov_b32_e32 v5, s9
	s_mov_b64 s[10:11], 0
	v_add3_u32 v2, v13, v3, 0
	s_waitcnt vmcnt(0)
	v_mul_lo_u32 v12, v1, s17
	v_mul_lo_u32 v14, v0, s22
	v_mad_u64_u32 v[0:1], s[22:23], v0, s17, 0
	v_add3_u32 v1, v1, v14, v12
	v_lshlrev_b64 v[0:1], 1, v[0:1]
	v_add_co_u32_e32 v0, vcc, v0, v3
	v_addc_co_u32_e32 v1, vcc, 0, v1, vcc
	v_add_co_u32_e32 v0, vcc, s8, v0
	v_addc_co_u32_e32 v1, vcc, v5, v1, vcc
	v_mov_b32_e32 v3, v6
.LBB62_6:                               ; =>This Inner Loop Header: Depth=1
	global_load_dwordx4 v[14:17], v[0:1], off
	v_add_co_u32_e32 v0, vcc, 0x200, v0
	v_add_u32_e32 v3, 32, v3
	v_addc_co_u32_e32 v1, vcc, 0, v1, vcc
	v_cmp_le_i32_e32 vcc, s21, v3
	s_or_b64 s[10:11], vcc, s[10:11]
	s_waitcnt vmcnt(0)
	ds_write_b128 v2, v[14:17]
	v_add_u32_e32 v2, 0x200, v2
	s_andn2_b64 exec, exec, s[10:11]
	s_cbranch_execnz .LBB62_6
.LBB62_7:
	s_or_b64 exec, exec, s[18:19]
	s_and_b64 exec, exec, s[0:1]
	s_cbranch_execz .LBB62_12
; %bb.8:
	s_waitcnt lgkmcnt(0)
	global_load_dwordx2 v[0:1], v8, s[4:5]
	global_load_dwordx2 v[2:3], v8, s[6:7]
	v_mbcnt_lo_u32_b32 v14, -1, 0
	v_add_u32_e32 v9, s16, v9
	v_mbcnt_hi_u32_b32 v16, -1, v14
	v_add3_u32 v14, v9, v8, 0
	v_and_b32_e32 v8, 0x60, v16
	v_xor_b32_e32 v9, 16, v16
	v_add_u32_e32 v8, 32, v8
	v_xor_b32_e32 v17, 8, v16
	v_cmp_lt_i32_e32 vcc, v9, v8
	s_add_i32 s8, s14, s13
	v_xor_b32_e32 v18, 4, v16
	v_cndmask_b32_e32 v9, v16, v9, vcc
	v_cmp_lt_i32_e32 vcc, v17, v8
	s_ashr_i32 s1, s17, 31
	s_lshl_b32 s9, s20, 2
	s_add_i32 s8, s8, s12
	v_xor_b32_e32 v19, 2, v16
	v_cndmask_b32_e32 v17, v16, v17, vcc
	v_cmp_lt_i32_e32 vcc, v18, v8
	s_lshr_b32 s0, s17, 31
	s_lshr_b32 s1, s1, 30
	v_xor_b32_e32 v20, 1, v16
	s_sub_i32 s8, s8, s9
	v_cndmask_b32_e32 v18, v16, v18, vcc
	v_cmp_lt_i32_e32 vcc, v19, v8
	v_lshlrev_b32_e32 v5, 2, v6
	s_add_i32 s0, s17, s0
	s_add_i32 s1, s17, s1
	v_mul_lo_u32 v4, s8, v4
	v_cndmask_b32_e32 v19, v16, v19, vcc
	v_cmp_lt_i32_e32 vcc, v20, v8
	v_add3_u32 v13, 0, v13, v5
	s_and_b32 s0, s0, -2
	s_ashr_i32 s1, s1, 2
	v_cndmask_b32_e32 v8, v16, v20, vcc
	v_lshl_add_u32 v4, v4, 7, v7
	s_mov_b32 s6, 0
	s_mov_b64 s[4:5], 0
	v_mov_b32_e32 v12, s15
	s_mov_b32 s7, 0x800000
	v_add_u32_e32 v15, s0, v13
	v_cmp_gt_i32_e32 vcc, s1, v6
	v_lshlrev_b32_e32 v16, 2, v9
	v_lshlrev_b32_e32 v17, 2, v17
	;; [unrolled: 1-line block ×5, first 2 shown]
	v_or_b32_e32 v4, v4, v5
	s_waitcnt vmcnt(1)
	v_lshrrev_b32_e32 v21, 16, v0
	s_waitcnt vmcnt(0)
	v_lshrrev_b32_e32 v22, 16, v2
	v_lshrrev_b32_e32 v23, 16, v1
	;; [unrolled: 1-line block ×3, first 2 shown]
	s_branch .LBB62_10
.LBB62_9:                               ;   in Loop: Header=BB62_10 Depth=1
	s_or_b64 exec, exec, s[0:1]
	v_ashrrev_i32_e32 v5, 31, v4
	v_cvt_f16_f32_e32 v25, v6
	v_cvt_f16_f32_e32 v26, v7
	;; [unrolled: 1-line block ×4, first 2 shown]
	v_lshlrev_b64 v[6:7], 1, v[4:5]
	v_mov_b32_e32 v5, s3
	v_add_co_u32_e64 v6, s[0:1], s2, v6
	v_addc_co_u32_e64 v7, s[0:1], v5, v7, s[0:1]
	s_add_i32 s6, s6, 1
	v_cmp_ge_i32_e64 s[0:1], s6, v11
	v_pack_b32_f16 v9, v8, v9
	v_pack_b32_f16 v8, v25, v26
	v_add_u32_e32 v4, 0x80, v4
	s_or_b64 s[4:5], s[0:1], s[4:5]
	v_add_u32_e32 v14, 0x100, v14
	global_store_dwordx2 v[6:7], v[8:9], off
	s_andn2_b64 exec, exec, s[4:5]
	s_cbranch_execz .LBB62_12
.LBB62_10:                              ; =>This Inner Loop Header: Depth=1
	ds_read_b64 v[6:7], v14
	s_waitcnt lgkmcnt(0)
	v_cvt_f32_f16_sdwa v9, v7 dst_sel:DWORD dst_unused:UNUSED_PAD src0_sel:WORD_1
	v_cvt_f32_f16_e32 v8, v7
	v_cvt_f32_f16_sdwa v7, v6 dst_sel:DWORD dst_unused:UNUSED_PAD src0_sel:WORD_1
	v_cvt_f32_f16_e32 v6, v6
	v_pk_mul_f32 v[26:27], v[8:9], v[8:9]
	v_pk_mul_f32 v[28:29], v[6:7], v[6:7]
	v_add_f32_e32 v5, v28, v29
	v_add_f32_e32 v5, v5, v26
	v_add_f32_e32 v5, v5, v27
	ds_bpermute_b32 v25, v16, v5
	v_add_u32_e32 v26, s6, v10
	v_mov_b32_e32 v28, v12
	v_cmp_gt_i32_e64 s[0:1], s12, v26
	v_cndmask_b32_e64 v26, v22, v21, s[0:1]
	s_waitcnt lgkmcnt(0)
	v_add_f32_e32 v5, v5, v25
	ds_bpermute_b32 v25, v17, v5
	v_cndmask_b32_e64 v29, v2, v0, s[0:1]
	v_cndmask_b32_e64 v30, v24, v23, s[0:1]
	;; [unrolled: 1-line block ×3, first 2 shown]
	v_cvt_f32_f16_e32 v27, v26
	s_waitcnt lgkmcnt(0)
	v_add_f32_e32 v5, v5, v25
	ds_bpermute_b32 v25, v18, v5
	v_cvt_f32_f16_e32 v26, v29
	v_cvt_f32_f16_e32 v29, v30
	s_waitcnt lgkmcnt(0)
	v_add_f32_e32 v5, v5, v25
	ds_bpermute_b32 v25, v19, v5
	s_waitcnt lgkmcnt(0)
	v_add_f32_e32 v5, v5, v25
	ds_bpermute_b32 v25, v20, v5
	s_waitcnt lgkmcnt(0)
	v_add_f32_e32 v5, v5, v25
	v_fmac_f32_e32 v28, 0x3c000000, v5
	v_mul_f32_e32 v5, 0x4b800000, v28
	v_cmp_gt_f32_e64 s[0:1], s7, v28
	v_cndmask_b32_e64 v5, v28, v5, s[0:1]
	v_rsq_f32_e32 v5, v5
	v_cvt_f32_f16_e32 v28, v31
	v_mul_f32_e32 v25, 0x45800000, v5
	v_cndmask_b32_e64 v30, v5, v25, s[0:1]
	v_pk_mul_f32 v[26:27], v[30:31], v[26:27] op_sel_hi:[0,1]
	v_pk_mul_f32 v[28:29], v[30:31], v[28:29] op_sel_hi:[0,1]
	v_pk_mul_f32 v[6:7], v[26:27], v[6:7]
	v_pk_mul_f32 v[8:9], v[28:29], v[8:9]
	s_and_saveexec_b64 s[0:1], vcc
	s_cbranch_execz .LBB62_9
; %bb.11:                               ;   in Loop: Header=BB62_10 Depth=1
	ds_read_u16 v5, v13
	ds_read_u16 v25, v15
	ds_read_u16 v27, v13 offset:2
	ds_read_u16 v32, v15 offset:2
	s_waitcnt lgkmcnt(3)
	v_lshlrev_b32_e32 v26, 16, v5
	s_waitcnt lgkmcnt(2)
	v_lshlrev_b32_e32 v28, 16, v25
	v_pk_mul_f32 v[28:29], v[6:7], v[28:29] op_sel_hi:[1,0]
	s_waitcnt lgkmcnt(1)
	v_pk_mul_f32 v[30:31], v[6:7], v[26:27] op_sel_hi:[1,0]
	v_pk_fma_f32 v[6:7], v[6:7], v[26:27], v[28:29] op_sel:[0,0,1] op_sel_hi:[1,0,0]
	v_lshlrev_b32_e32 v27, 16, v27
	s_waitcnt lgkmcnt(0)
	v_lshlrev_b32_e32 v26, 16, v32
	v_mov_b32_e32 v28, v9
	v_mov_b32_e32 v6, v27
	v_pk_mul_f32 v[32:33], v[28:29], v[26:27]
	v_pk_mul_f32 v[34:35], v[8:9], v[26:27]
	v_pk_fma_f32 v[32:33], v[8:9], v[6:7], v[32:33] op_sel_hi:[1,0,1] neg_lo:[0,0,1] neg_hi:[0,0,1]
	v_mov_b32_e32 v6, v35
	v_pk_fma_f32 v[26:27], v[8:9], v[26:27], v[6:7]
	v_sub_f32_e32 v6, v30, v29
	v_mov_b32_e32 v8, v32
	v_mov_b32_e32 v9, v26
	s_branch .LBB62_9
.LBB62_12:
	s_endpgm
	.section	.rodata,"a",@progbits
	.p2align	6, 0x0
	.amdhsa_kernel _ZN12tensorrt_llm7kernels32fusedQKNormRopeKernelNTokenHeadsIN3c104HalfENS2_8BFloat16ELi128ELb1ELi4EEEvPviiifPKvS7_S7_PKlii
		.amdhsa_group_segment_fixed_size 0
		.amdhsa_private_segment_fixed_size 0
		.amdhsa_kernarg_size 320
		.amdhsa_user_sgpr_count 6
		.amdhsa_user_sgpr_private_segment_buffer 1
		.amdhsa_user_sgpr_dispatch_ptr 0
		.amdhsa_user_sgpr_queue_ptr 0
		.amdhsa_user_sgpr_kernarg_segment_ptr 1
		.amdhsa_user_sgpr_dispatch_id 0
		.amdhsa_user_sgpr_flat_scratch_init 0
		.amdhsa_user_sgpr_kernarg_preload_length 0
		.amdhsa_user_sgpr_kernarg_preload_offset 0
		.amdhsa_user_sgpr_private_segment_size 0
		.amdhsa_uses_dynamic_stack 0
		.amdhsa_system_sgpr_private_segment_wavefront_offset 0
		.amdhsa_system_sgpr_workgroup_id_x 1
		.amdhsa_system_sgpr_workgroup_id_y 0
		.amdhsa_system_sgpr_workgroup_id_z 0
		.amdhsa_system_sgpr_workgroup_info 0
		.amdhsa_system_vgpr_workitem_id 0
		.amdhsa_next_free_vgpr 36
		.amdhsa_next_free_sgpr 24
		.amdhsa_accum_offset 36
		.amdhsa_reserve_vcc 1
		.amdhsa_reserve_flat_scratch 0
		.amdhsa_float_round_mode_32 0
		.amdhsa_float_round_mode_16_64 0
		.amdhsa_float_denorm_mode_32 3
		.amdhsa_float_denorm_mode_16_64 3
		.amdhsa_dx10_clamp 1
		.amdhsa_ieee_mode 1
		.amdhsa_fp16_overflow 0
		.amdhsa_tg_split 0
		.amdhsa_exception_fp_ieee_invalid_op 0
		.amdhsa_exception_fp_denorm_src 0
		.amdhsa_exception_fp_ieee_div_zero 0
		.amdhsa_exception_fp_ieee_overflow 0
		.amdhsa_exception_fp_ieee_underflow 0
		.amdhsa_exception_fp_ieee_inexact 0
		.amdhsa_exception_int_div_zero 0
	.end_amdhsa_kernel
	.section	.text._ZN12tensorrt_llm7kernels32fusedQKNormRopeKernelNTokenHeadsIN3c104HalfENS2_8BFloat16ELi128ELb1ELi4EEEvPviiifPKvS7_S7_PKlii,"axG",@progbits,_ZN12tensorrt_llm7kernels32fusedQKNormRopeKernelNTokenHeadsIN3c104HalfENS2_8BFloat16ELi128ELb1ELi4EEEvPviiifPKvS7_S7_PKlii,comdat
.Lfunc_end62:
	.size	_ZN12tensorrt_llm7kernels32fusedQKNormRopeKernelNTokenHeadsIN3c104HalfENS2_8BFloat16ELi128ELb1ELi4EEEvPviiifPKvS7_S7_PKlii, .Lfunc_end62-_ZN12tensorrt_llm7kernels32fusedQKNormRopeKernelNTokenHeadsIN3c104HalfENS2_8BFloat16ELi128ELb1ELi4EEEvPviiifPKvS7_S7_PKlii
                                        ; -- End function
	.section	.AMDGPU.csdata,"",@progbits
; Kernel info:
; codeLenInByte = 1524
; NumSgprs: 28
; NumVgprs: 36
; NumAgprs: 0
; TotalNumVgprs: 36
; ScratchSize: 0
; MemoryBound: 0
; FloatMode: 240
; IeeeMode: 1
; LDSByteSize: 0 bytes/workgroup (compile time only)
; SGPRBlocks: 3
; VGPRBlocks: 4
; NumSGPRsForWavesPerEU: 28
; NumVGPRsForWavesPerEU: 36
; AccumOffset: 36
; Occupancy: 8
; WaveLimiterHint : 0
; COMPUTE_PGM_RSRC2:SCRATCH_EN: 0
; COMPUTE_PGM_RSRC2:USER_SGPR: 6
; COMPUTE_PGM_RSRC2:TRAP_HANDLER: 0
; COMPUTE_PGM_RSRC2:TGID_X_EN: 1
; COMPUTE_PGM_RSRC2:TGID_Y_EN: 0
; COMPUTE_PGM_RSRC2:TGID_Z_EN: 0
; COMPUTE_PGM_RSRC2:TIDIG_COMP_CNT: 0
; COMPUTE_PGM_RSRC3_GFX90A:ACCUM_OFFSET: 8
; COMPUTE_PGM_RSRC3_GFX90A:TG_SPLIT: 0
	.section	.text._ZN12tensorrt_llm7kernels32fusedQKNormRopeKernelNTokenHeadsIN3c104HalfENS2_8BFloat16ELi128ELb0ELi4EEEvPviiifPKvS7_S7_PKlii,"axG",@progbits,_ZN12tensorrt_llm7kernels32fusedQKNormRopeKernelNTokenHeadsIN3c104HalfENS2_8BFloat16ELi128ELb0ELi4EEEvPviiifPKvS7_S7_PKlii,comdat
	.protected	_ZN12tensorrt_llm7kernels32fusedQKNormRopeKernelNTokenHeadsIN3c104HalfENS2_8BFloat16ELi128ELb0ELi4EEEvPviiifPKvS7_S7_PKlii ; -- Begin function _ZN12tensorrt_llm7kernels32fusedQKNormRopeKernelNTokenHeadsIN3c104HalfENS2_8BFloat16ELi128ELb0ELi4EEEvPviiifPKvS7_S7_PKlii
	.globl	_ZN12tensorrt_llm7kernels32fusedQKNormRopeKernelNTokenHeadsIN3c104HalfENS2_8BFloat16ELi128ELb0ELi4EEEvPviiifPKvS7_S7_PKlii
	.p2align	8
	.type	_ZN12tensorrt_llm7kernels32fusedQKNormRopeKernelNTokenHeadsIN3c104HalfENS2_8BFloat16ELi128ELb0ELi4EEEvPviiifPKvS7_S7_PKlii,@function
_ZN12tensorrt_llm7kernels32fusedQKNormRopeKernelNTokenHeadsIN3c104HalfENS2_8BFloat16ELi128ELb0ELi4EEEvPviiifPKvS7_S7_PKlii: ; @_ZN12tensorrt_llm7kernels32fusedQKNormRopeKernelNTokenHeadsIN3c104HalfENS2_8BFloat16ELi128ELb0ELi4EEEvPviiifPKvS7_S7_PKlii
; %bb.0:
	s_load_dwordx4 s[12:15], s[4:5], 0x8
	s_load_dwordx2 s[2:3], s[4:5], 0x38
	s_load_dword s1, s[4:5], 0x4c
	v_lshrrev_b32_e32 v2, 5, v0
	s_waitcnt lgkmcnt(0)
	s_add_i32 s0, s13, s12
	s_add_i32 s7, s0, 3
	s_ashr_i32 s8, s7, 31
	s_lshr_b32 s8, s8, 30
	s_add_i32 s7, s7, s8
	s_ashr_i32 s20, s7, 2
	s_abs_i32 s7, s20
	v_cvt_f32_u32_e32 v1, s7
	s_bfe_u32 s1, s1, 0xb0005
	s_mul_i32 s6, s6, s1
	v_rcp_iflag_f32_e32 v3, v1
	v_add_u32_e32 v1, s6, v2
	s_sub_i32 s6, 0, s7
	v_sub_u32_e32 v4, 0, v1
	v_mul_f32_e32 v3, 0x4f7ffffe, v3
	v_cvt_u32_f32_e32 v3, v3
	v_max_i32_e32 v4, v1, v4
	v_xor_b32_e32 v5, s20, v1
	v_ashrrev_i32_e32 v5, 31, v5
	v_mul_lo_u32 v6, s6, v3
	v_mul_hi_u32 v6, v3, v6
	v_add_u32_e32 v3, v3, v6
	v_mul_hi_u32 v3, v4, v3
	v_mul_lo_u32 v6, v3, s7
	v_sub_u32_e32 v4, v4, v6
	v_add_u32_e32 v6, 1, v3
	v_cmp_le_u32_e32 vcc, s7, v4
	v_cndmask_b32_e32 v3, v3, v6, vcc
	v_subrev_u32_e32 v6, s7, v4
	v_cndmask_b32_e32 v4, v4, v6, vcc
	v_add_u32_e32 v6, 1, v3
	v_cmp_le_u32_e32 vcc, s7, v4
	v_cndmask_b32_e32 v3, v3, v6, vcc
	v_xor_b32_e32 v3, v3, v5
	v_sub_u32_e32 v4, v3, v5
	v_cmp_gt_i32_e32 vcc, s2, v4
	s_and_saveexec_b64 s[6:7], vcc
	s_cbranch_execz .LBB63_12
; %bb.1:
	v_and_b32_e32 v8, 31, v0
	v_mul_lo_u32 v0, v4, s20
	v_sub_u32_e32 v0, v1, v0
	s_load_dwordx2 s[16:17], s[4:5], 0x0
	v_lshlrev_b32_e32 v6, 2, v0
	v_add_u32_e32 v0, 4, v6
	v_sub_u32_e32 v3, s0, v6
	v_cmp_lt_i32_e32 vcc, s0, v0
	v_cndmask_b32_e32 v7, 4, v3, vcc
	s_lshl_b32 s2, s3, 1
	s_mul_i32 s21, s2, s1
	v_lshlrev_b32_e32 v9, 10, v2
	v_cmp_lt_i32_e64 s[0:1], 0, v7
	v_lshlrev_b32_e32 v10, 3, v8
	v_lshlrev_b32_e32 v11, 9, v1
	s_and_saveexec_b64 s[6:7], s[0:1]
	s_cbranch_execz .LBB63_4
; %bb.2:
	s_add_i32 s8, s21, 0
	v_add3_u32 v3, s8, v9, v10
	s_add_i32 s8, s14, s13
	s_add_i32 s8, s8, s12
	s_lshl_b32 s9, s20, 2
	s_sub_i32 s8, s8, s9
	v_mul_lo_u32 v0, s8, v4
	v_lshl_add_u32 v0, v0, 7, v11
	s_mov_b32 s10, 0
	v_lshl_or_b32 v0, v8, 2, v0
	s_mov_b64 s[8:9], 0
	s_waitcnt lgkmcnt(0)
	v_mov_b32_e32 v5, s17
.LBB63_3:                               ; =>This Inner Loop Header: Depth=1
	v_ashrrev_i32_e32 v1, 31, v0
	v_lshlrev_b64 v[12:13], 1, v[0:1]
	v_add_co_u32_e32 v12, vcc, s16, v12
	v_addc_co_u32_e32 v13, vcc, v5, v13, vcc
	global_load_dwordx2 v[12:13], v[12:13], off
	s_add_i32 s10, s10, 1
	v_cmp_ge_i32_e32 vcc, s10, v7
	v_add_u32_e32 v0, 0x80, v0
	s_or_b64 s[8:9], vcc, s[8:9]
	s_waitcnt vmcnt(0)
	ds_write_b64 v3, v[12:13]
	v_add_u32_e32 v3, 0x100, v3
	s_andn2_b64 exec, exec, s[8:9]
	s_cbranch_execnz .LBB63_3
.LBB63_4:
	s_or_b64 exec, exec, s[6:7]
	s_add_i32 s2, s2, 15
	s_load_dwordx8 s[4:11], s[4:5], 0x18
	s_ashr_i32 s18, s2, 31
	s_lshr_b32 s18, s18, 28
	s_add_i32 s2, s2, s18
	s_ashr_i32 s2, s2, 4
	v_cmp_gt_i32_e32 vcc, s2, v8
	v_mul_lo_u32 v12, v2, s3
	s_and_saveexec_b64 s[18:19], vcc
	s_cbranch_execz .LBB63_7
; %bb.5:
	v_ashrrev_i32_e32 v5, 31, v4
	v_lshlrev_b64 v[0:1], 3, v[4:5]
	s_waitcnt lgkmcnt(0)
	v_mov_b32_e32 v2, s11
	v_add_co_u32_e32 v0, vcc, s10, v0
	v_addc_co_u32_e32 v1, vcc, v2, v1, vcc
	global_load_dwordx2 v[0:1], v[0:1], off
	s_ashr_i32 s22, s3, 31
	v_lshlrev_b32_e32 v3, 4, v8
	v_lshlrev_b32_e32 v2, 1, v12
	v_mov_b32_e32 v5, s9
	s_mov_b64 s[10:11], 0
	v_add3_u32 v2, v2, v3, 0
	s_waitcnt vmcnt(0)
	v_mul_lo_u32 v13, v1, s3
	v_mul_lo_u32 v14, v0, s22
	v_mad_u64_u32 v[0:1], s[22:23], v0, s3, 0
	v_add3_u32 v1, v1, v14, v13
	v_lshlrev_b64 v[0:1], 1, v[0:1]
	v_add_co_u32_e32 v0, vcc, v0, v3
	v_addc_co_u32_e32 v1, vcc, 0, v1, vcc
	v_add_co_u32_e32 v0, vcc, s8, v0
	v_addc_co_u32_e32 v1, vcc, v5, v1, vcc
	v_mov_b32_e32 v3, v8
.LBB63_6:                               ; =>This Inner Loop Header: Depth=1
	global_load_dwordx4 v[14:17], v[0:1], off
	v_add_co_u32_e32 v0, vcc, 0x200, v0
	v_add_u32_e32 v3, 32, v3
	v_addc_co_u32_e32 v1, vcc, 0, v1, vcc
	v_cmp_le_i32_e32 vcc, s2, v3
	s_or_b64 s[10:11], vcc, s[10:11]
	s_waitcnt vmcnt(0)
	ds_write_b128 v2, v[14:17]
	v_add_u32_e32 v2, 0x200, v2
	s_andn2_b64 exec, exec, s[10:11]
	s_cbranch_execnz .LBB63_6
.LBB63_7:
	s_or_b64 exec, exec, s[18:19]
	s_and_b64 exec, exec, s[0:1]
	s_cbranch_execz .LBB63_12
; %bb.8:
	s_waitcnt lgkmcnt(0)
	global_load_dwordx2 v[0:1], v10, s[4:5]
	global_load_dwordx2 v[2:3], v10, s[6:7]
	v_lshl_add_u32 v5, v12, 1, 0
	v_mbcnt_lo_u32_b32 v12, -1, 0
	s_abs_i32 s4, s3
	v_mbcnt_hi_u32_b32 v17, -1, v12
	v_cvt_f32_u32_e32 v14, s4
	v_and_b32_e32 v12, 0x60, v17
	v_xor_b32_e32 v13, 16, v17
	v_add_u32_e32 v12, 32, v12
	v_xor_b32_e32 v15, 8, v17
	v_cmp_lt_i32_e32 vcc, v13, v12
	v_xor_b32_e32 v16, 4, v17
	v_cndmask_b32_e32 v13, v17, v13, vcc
	v_cmp_lt_i32_e32 vcc, v15, v12
	v_rcp_iflag_f32_e32 v23, v14
	v_xor_b32_e32 v19, 2, v17
	v_cndmask_b32_e32 v15, v17, v15, vcc
	v_cmp_lt_i32_e32 vcc, v16, v12
	v_cndmask_b32_e32 v16, v17, v16, vcc
	v_cmp_lt_i32_e32 vcc, v19, v12
	v_xor_b32_e32 v20, 1, v17
	v_cndmask_b32_e32 v19, v17, v19, vcc
	v_cmp_lt_i32_e32 vcc, v20, v12
	v_lshlrev_b32_e32 v12, 2, v13
	v_lshlrev_b32_e32 v13, 2, v15
	;; [unrolled: 1-line block ×3, first 2 shown]
	v_mul_f32_e32 v19, 0x4f7ffffe, v23
	v_cvt_u32_f32_e32 v19, v19
	s_sub_i32 s5, 0, s4
	v_cndmask_b32_e32 v20, v17, v20, vcc
	s_ashr_i32 s1, s3, 31
	v_lshlrev_b32_e32 v14, 2, v16
	v_lshlrev_b32_e32 v16, 2, v20
	v_mul_lo_u32 v20, s5, v19
	s_lshr_b32 s2, s1, 30
	s_lshr_b32 s1, s1, 29
	v_mul_hi_u32 v20, v19, v20
	s_lshr_b32 s0, s3, 31
	s_add_i32 s1, s3, s1
	v_add_u32_e32 v30, v19, v20
	v_or_b32_e32 v18, 2, v10
	s_add_i32 s0, s3, s0
	v_and_b32_e32 v21, 64, v17
	s_ashr_i32 s1, s1, 3
	v_mul_hi_u32 v19, v10, v30
	s_and_b32 s0, s0, -2
	s_add_i32 s2, s3, s2
	v_add_u32_e32 v21, 64, v21
	v_xor_b32_e32 v22, s1, v17
	v_mul_hi_u32 v20, v18, v30
	v_mul_lo_u32 v19, v19, s4
	v_add_u32_e32 v29, s0, v5
	s_ashr_i32 s0, s2, 2
	v_cmp_lt_i32_e64 s[2:3], v22, v21
	v_mul_lo_u32 v20, v20, s4
	v_sub_u32_e32 v19, v10, v19
	v_or_b32_e32 v26, 4, v10
	v_cndmask_b32_e64 v17, v17, v22, s[2:3]
	v_sub_u32_e32 v18, v18, v20
	v_subrev_u32_e32 v20, s4, v19
	v_cmp_le_u32_e64 s[2:3], s4, v19
	v_subrev_u32_e32 v21, s4, v18
	v_cndmask_b32_e64 v19, v19, v20, s[2:3]
	v_cmp_le_u32_e64 s[2:3], s4, v18
	v_mul_hi_u32 v27, v26, v30
	v_cndmask_b32_e64 v24, v18, v21, s[2:3]
	v_subrev_u32_e32 v18, s4, v19
	v_cmp_le_u32_e64 s[2:3], s4, v19
	v_mul_lo_u32 v27, v27, s4
	v_or_b32_e32 v28, 6, v10
	v_cndmask_b32_e64 v18, v19, v18, s[2:3]
	v_subrev_u32_e32 v25, s4, v24
	v_cmp_le_u32_e64 s[2:3], s4, v24
	v_sub_u32_e32 v26, v26, v27
	v_cndmask_b32_e64 v24, v24, v25, s[2:3]
	v_subrev_u32_e32 v27, s4, v26
	v_cmp_le_u32_e64 s[2:3], s4, v26
	v_mul_hi_u32 v30, v28, v30
	v_cndmask_b32_e64 v26, v26, v27, s[2:3]
	v_mul_lo_u32 v30, v30, s4
	v_subrev_u32_e32 v27, s4, v26
	v_cmp_le_u32_e64 s[2:3], s4, v26
	v_sub_u32_e32 v28, v28, v30
	v_cndmask_b32_e64 v26, v26, v27, s[2:3]
	v_subrev_u32_e32 v30, s4, v28
	v_cmp_le_u32_e64 s[2:3], s4, v28
	v_cndmask_b32_e64 v28, v28, v30, s[2:3]
	v_subrev_u32_e32 v30, s4, v28
	v_cmp_le_u32_e64 s[2:3], s4, v28
	v_cndmask_b32_e64 v28, v28, v30, s[2:3]
	s_add_i32 s2, s14, s13
	s_add_i32 s2, s2, s12
	s_lshl_b32 s3, s20, 2
	s_sub_i32 s2, s2, s3
	v_and_b32_e32 v19, -2, v18
	v_and_b32_e32 v25, -2, v24
	;; [unrolled: 1-line block ×4, first 2 shown]
	v_mul_lo_u32 v4, s2, v4
	v_add_u32_e32 v18, v5, v19
	v_add_u32_e32 v24, v5, v25
	;; [unrolled: 1-line block ×4, first 2 shown]
	v_lshl_add_u32 v4, v4, 7, v11
	v_add_u32_e32 v5, s21, v9
	s_mov_b32 s6, 0
	v_cmp_gt_i32_e32 vcc, s0, v8
	v_cmp_gt_i32_e64 s[0:1], s1, v8
	v_lshlrev_b32_e32 v17, 2, v17
	v_add_u32_e32 v19, v29, v19
	s_waitcnt vmcnt(1)
	v_lshrrev_b32_e32 v20, 16, v0
	v_lshrrev_b32_e32 v21, 16, v1
	s_waitcnt vmcnt(0)
	v_lshrrev_b32_e32 v22, 16, v2
	v_lshrrev_b32_e32 v23, 16, v3
	v_add_u32_e32 v25, v29, v25
	v_add_u32_e32 v27, v29, v27
	;; [unrolled: 1-line block ×3, first 2 shown]
	v_lshl_or_b32 v4, v8, 2, v4
	v_add3_u32 v8, v5, v10, 0
	s_mov_b64 s[4:5], 0
	s_mov_b32 s7, 0x800000
	v_mov_b32_e32 v9, s15
	s_branch .LBB63_10
.LBB63_9:                               ;   in Loop: Header=BB63_10 Depth=1
	s_or_b64 exec, exec, s[2:3]
	v_cvt_f16_f32_e32 v33, v5
	v_ashrrev_i32_e32 v5, 31, v4
	v_cvt_f16_f32_e32 v30, v30
	v_cvt_f16_f32_e32 v32, v11
	;; [unrolled: 1-line block ×3, first 2 shown]
	v_lshlrev_b64 v[10:11], 1, v[4:5]
	v_mov_b32_e32 v5, s17
	v_add_co_u32_e64 v10, s[2:3], s16, v10
	v_addc_co_u32_e64 v11, s[2:3], v5, v11, s[2:3]
	s_add_i32 s6, s6, 1
	v_cmp_ge_i32_e64 s[2:3], s6, v7
	v_pack_b32_f16 v31, v31, v33
	v_pack_b32_f16 v30, v30, v32
	v_add_u32_e32 v4, 0x80, v4
	s_or_b64 s[4:5], s[2:3], s[4:5]
	v_add_u32_e32 v8, 0x100, v8
	global_store_dwordx2 v[10:11], v[30:31], off
	s_andn2_b64 exec, exec, s[4:5]
	s_cbranch_execz .LBB63_12
.LBB63_10:                              ; =>This Inner Loop Header: Depth=1
	ds_read_b64 v[10:11], v8
	v_add_u32_e32 v32, s6, v6
	v_mov_b32_e32 v33, v9
	v_cmp_gt_i32_e64 s[2:3], s12, v32
	v_cndmask_b32_e64 v32, v2, v0, s[2:3]
	s_waitcnt lgkmcnt(0)
	v_cvt_f32_f16_sdwa v5, v10 dst_sel:DWORD dst_unused:UNUSED_PAD src0_sel:WORD_1
	v_cndmask_b32_e64 v34, v22, v20, s[2:3]
	v_cndmask_b32_e64 v35, v3, v1, s[2:3]
	;; [unrolled: 1-line block ×3, first 2 shown]
	v_mul_f32_e32 v30, v5, v5
	v_fma_mix_f32 v30, v10, v10, v30 op_sel_hi:[1,1,0]
	v_fma_mix_f32 v30, v11, v11, v30 op_sel_hi:[1,1,0]
	v_fma_mix_f32 v30, v11, v11, v30 op_sel:[1,1,0] op_sel_hi:[1,1,0]
	ds_bpermute_b32 v31, v12, v30
	v_cvt_f32_f16_e32 v32, v32
	v_cvt_f32_f16_e32 v34, v34
	;; [unrolled: 1-line block ×4, first 2 shown]
	s_waitcnt lgkmcnt(0)
	v_add_f32_e32 v30, v30, v31
	ds_bpermute_b32 v31, v13, v30
	v_cvt_f32_f16_e32 v10, v10
	s_waitcnt lgkmcnt(0)
	v_add_f32_e32 v30, v30, v31
	ds_bpermute_b32 v31, v14, v30
	s_waitcnt lgkmcnt(0)
	v_add_f32_e32 v30, v30, v31
	ds_bpermute_b32 v31, v15, v30
	s_waitcnt lgkmcnt(0)
	v_add_f32_e32 v30, v30, v31
	ds_bpermute_b32 v31, v16, v30
	s_waitcnt lgkmcnt(0)
	v_add_f32_e32 v30, v30, v31
	v_fmac_f32_e32 v33, 0x3c000000, v30
	v_mul_f32_e32 v30, 0x4b800000, v33
	v_cmp_gt_f32_e64 s[2:3], s7, v33
	v_cndmask_b32_e64 v30, v33, v30, s[2:3]
	v_rsq_f32_e32 v30, v30
	v_cvt_f32_f16_e32 v31, v11
	v_cvt_f32_f16_sdwa v33, v11 dst_sel:DWORD dst_unused:UNUSED_PAD src0_sel:WORD_1
	v_mul_f32_e32 v11, 0x45800000, v30
	v_cndmask_b32_e64 v11, v30, v11, s[2:3]
	v_mul_f32_e32 v30, v11, v32
	v_mul_f32_e32 v32, v11, v34
	;; [unrolled: 1-line block ×8, first 2 shown]
	s_and_saveexec_b64 s[2:3], vcc
	s_cbranch_execz .LBB63_9
; %bb.11:                               ;   in Loop: Header=BB63_10 Depth=1
	ds_bpermute_b32 v31, v17, v30
	ds_bpermute_b32 v32, v17, v11
	; wave barrier
	ds_read_u16 v33, v18
	ds_read_u16 v34, v19
	;; [unrolled: 1-line block ×8, first 2 shown]
	s_waitcnt lgkmcnt(9)
	v_cndmask_b32_e64 v31, v31, -v31, s[0:1]
	s_waitcnt lgkmcnt(6)
	v_lshlrev_b32_e32 v34, 16, v34
	v_lshlrev_b32_e32 v33, 16, v33
	v_mul_f32_e32 v31, v31, v34
	v_fmac_f32_e32 v31, v30, v33
	v_cndmask_b32_e64 v30, v32, -v32, s[0:1]
	ds_bpermute_b32 v32, v17, v10
	s_waitcnt lgkmcnt(5)
	v_lshlrev_b32_e32 v34, 16, v36
	v_mul_f32_e32 v34, v30, v34
	ds_bpermute_b32 v30, v17, v5
	v_lshlrev_b32_e32 v33, 16, v35
	v_fmac_f32_e32 v34, v11, v33
	s_waitcnt lgkmcnt(1)
	v_cndmask_b32_e64 v11, v32, -v32, s[0:1]
	v_lshlrev_b32_e32 v33, 16, v38
	v_lshlrev_b32_e32 v32, 16, v37
	v_mul_f32_e32 v33, v11, v33
	v_fmac_f32_e32 v33, v10, v32
	s_waitcnt lgkmcnt(0)
	v_cndmask_b32_e64 v10, v30, -v30, s[0:1]
	v_lshlrev_b32_e32 v30, 16, v40
	v_lshlrev_b32_e32 v11, 16, v39
	v_mul_f32_e32 v32, v10, v30
	v_fmac_f32_e32 v32, v5, v11
	v_mov_b32_e32 v30, v31
	v_mov_b32_e32 v11, v34
	;; [unrolled: 1-line block ×4, first 2 shown]
	; wave barrier
	s_branch .LBB63_9
.LBB63_12:
	s_endpgm
	.section	.rodata,"a",@progbits
	.p2align	6, 0x0
	.amdhsa_kernel _ZN12tensorrt_llm7kernels32fusedQKNormRopeKernelNTokenHeadsIN3c104HalfENS2_8BFloat16ELi128ELb0ELi4EEEvPviiifPKvS7_S7_PKlii
		.amdhsa_group_segment_fixed_size 0
		.amdhsa_private_segment_fixed_size 0
		.amdhsa_kernarg_size 320
		.amdhsa_user_sgpr_count 6
		.amdhsa_user_sgpr_private_segment_buffer 1
		.amdhsa_user_sgpr_dispatch_ptr 0
		.amdhsa_user_sgpr_queue_ptr 0
		.amdhsa_user_sgpr_kernarg_segment_ptr 1
		.amdhsa_user_sgpr_dispatch_id 0
		.amdhsa_user_sgpr_flat_scratch_init 0
		.amdhsa_user_sgpr_kernarg_preload_length 0
		.amdhsa_user_sgpr_kernarg_preload_offset 0
		.amdhsa_user_sgpr_private_segment_size 0
		.amdhsa_uses_dynamic_stack 0
		.amdhsa_system_sgpr_private_segment_wavefront_offset 0
		.amdhsa_system_sgpr_workgroup_id_x 1
		.amdhsa_system_sgpr_workgroup_id_y 0
		.amdhsa_system_sgpr_workgroup_id_z 0
		.amdhsa_system_sgpr_workgroup_info 0
		.amdhsa_system_vgpr_workitem_id 0
		.amdhsa_next_free_vgpr 41
		.amdhsa_next_free_sgpr 24
		.amdhsa_accum_offset 44
		.amdhsa_reserve_vcc 1
		.amdhsa_reserve_flat_scratch 0
		.amdhsa_float_round_mode_32 0
		.amdhsa_float_round_mode_16_64 0
		.amdhsa_float_denorm_mode_32 3
		.amdhsa_float_denorm_mode_16_64 3
		.amdhsa_dx10_clamp 1
		.amdhsa_ieee_mode 1
		.amdhsa_fp16_overflow 0
		.amdhsa_tg_split 0
		.amdhsa_exception_fp_ieee_invalid_op 0
		.amdhsa_exception_fp_denorm_src 0
		.amdhsa_exception_fp_ieee_div_zero 0
		.amdhsa_exception_fp_ieee_overflow 0
		.amdhsa_exception_fp_ieee_underflow 0
		.amdhsa_exception_fp_ieee_inexact 0
		.amdhsa_exception_int_div_zero 0
	.end_amdhsa_kernel
	.section	.text._ZN12tensorrt_llm7kernels32fusedQKNormRopeKernelNTokenHeadsIN3c104HalfENS2_8BFloat16ELi128ELb0ELi4EEEvPviiifPKvS7_S7_PKlii,"axG",@progbits,_ZN12tensorrt_llm7kernels32fusedQKNormRopeKernelNTokenHeadsIN3c104HalfENS2_8BFloat16ELi128ELb0ELi4EEEvPviiifPKvS7_S7_PKlii,comdat
.Lfunc_end63:
	.size	_ZN12tensorrt_llm7kernels32fusedQKNormRopeKernelNTokenHeadsIN3c104HalfENS2_8BFloat16ELi128ELb0ELi4EEEvPviiifPKvS7_S7_PKlii, .Lfunc_end63-_ZN12tensorrt_llm7kernels32fusedQKNormRopeKernelNTokenHeadsIN3c104HalfENS2_8BFloat16ELi128ELb0ELi4EEEvPviiifPKvS7_S7_PKlii
                                        ; -- End function
	.section	.AMDGPU.csdata,"",@progbits
; Kernel info:
; codeLenInByte = 2008
; NumSgprs: 28
; NumVgprs: 41
; NumAgprs: 0
; TotalNumVgprs: 41
; ScratchSize: 0
; MemoryBound: 0
; FloatMode: 240
; IeeeMode: 1
; LDSByteSize: 0 bytes/workgroup (compile time only)
; SGPRBlocks: 3
; VGPRBlocks: 5
; NumSGPRsForWavesPerEU: 28
; NumVGPRsForWavesPerEU: 41
; AccumOffset: 44
; Occupancy: 8
; WaveLimiterHint : 0
; COMPUTE_PGM_RSRC2:SCRATCH_EN: 0
; COMPUTE_PGM_RSRC2:USER_SGPR: 6
; COMPUTE_PGM_RSRC2:TRAP_HANDLER: 0
; COMPUTE_PGM_RSRC2:TGID_X_EN: 1
; COMPUTE_PGM_RSRC2:TGID_Y_EN: 0
; COMPUTE_PGM_RSRC2:TGID_Z_EN: 0
; COMPUTE_PGM_RSRC2:TIDIG_COMP_CNT: 0
; COMPUTE_PGM_RSRC3_GFX90A:ACCUM_OFFSET: 10
; COMPUTE_PGM_RSRC3_GFX90A:TG_SPLIT: 0
	.section	.text._ZN12tensorrt_llm7kernels32fusedQKNormRopeKernelNTokenHeadsIN3c104HalfENS2_8BFloat16ELi256ELb1ELi4EEEvPviiifPKvS7_S7_PKlii,"axG",@progbits,_ZN12tensorrt_llm7kernels32fusedQKNormRopeKernelNTokenHeadsIN3c104HalfENS2_8BFloat16ELi256ELb1ELi4EEEvPviiifPKvS7_S7_PKlii,comdat
	.protected	_ZN12tensorrt_llm7kernels32fusedQKNormRopeKernelNTokenHeadsIN3c104HalfENS2_8BFloat16ELi256ELb1ELi4EEEvPviiifPKvS7_S7_PKlii ; -- Begin function _ZN12tensorrt_llm7kernels32fusedQKNormRopeKernelNTokenHeadsIN3c104HalfENS2_8BFloat16ELi256ELb1ELi4EEEvPviiifPKvS7_S7_PKlii
	.globl	_ZN12tensorrt_llm7kernels32fusedQKNormRopeKernelNTokenHeadsIN3c104HalfENS2_8BFloat16ELi256ELb1ELi4EEEvPviiifPKvS7_S7_PKlii
	.p2align	8
	.type	_ZN12tensorrt_llm7kernels32fusedQKNormRopeKernelNTokenHeadsIN3c104HalfENS2_8BFloat16ELi256ELb1ELi4EEEvPviiifPKvS7_S7_PKlii,@function
_ZN12tensorrt_llm7kernels32fusedQKNormRopeKernelNTokenHeadsIN3c104HalfENS2_8BFloat16ELi256ELb1ELi4EEEvPviiifPKvS7_S7_PKlii: ; @_ZN12tensorrt_llm7kernels32fusedQKNormRopeKernelNTokenHeadsIN3c104HalfENS2_8BFloat16ELi256ELb1ELi4EEEvPviiifPKvS7_S7_PKlii
; %bb.0:
	s_load_dwordx4 s[12:15], s[4:5], 0x8
	s_load_dwordx2 s[16:17], s[4:5], 0x38
	s_load_dword s1, s[4:5], 0x4c
	v_lshrrev_b32_e32 v1, 5, v0
	s_waitcnt lgkmcnt(0)
	s_add_i32 s0, s13, s12
	s_add_i32 s2, s0, 3
	s_ashr_i32 s3, s2, 31
	s_lshr_b32 s3, s3, 30
	s_add_i32 s2, s2, s3
	s_ashr_i32 s20, s2, 2
	s_abs_i32 s2, s20
	v_cvt_f32_u32_e32 v2, s2
	s_bfe_u32 s1, s1, 0xb0005
	s_mul_i32 s6, s6, s1
	s_sub_i32 s3, 0, s2
	v_rcp_iflag_f32_e32 v3, v2
	v_add_u32_e32 v2, s6, v1
	v_sub_u32_e32 v4, 0, v2
	v_max_i32_e32 v4, v2, v4
	v_mul_f32_e32 v3, 0x4f7ffffe, v3
	v_cvt_u32_f32_e32 v3, v3
	v_xor_b32_e32 v5, s20, v2
	v_ashrrev_i32_e32 v5, 31, v5
	v_mul_lo_u32 v6, s3, v3
	v_mul_hi_u32 v6, v3, v6
	v_add_u32_e32 v3, v3, v6
	v_mul_hi_u32 v3, v4, v3
	v_mul_lo_u32 v6, v3, s2
	v_sub_u32_e32 v4, v4, v6
	v_add_u32_e32 v6, 1, v3
	v_cmp_le_u32_e32 vcc, s2, v4
	v_cndmask_b32_e32 v3, v3, v6, vcc
	v_subrev_u32_e32 v6, s2, v4
	v_cndmask_b32_e32 v4, v4, v6, vcc
	v_add_u32_e32 v6, 1, v3
	v_cmp_le_u32_e32 vcc, s2, v4
	v_cndmask_b32_e32 v3, v3, v6, vcc
	v_xor_b32_e32 v3, v3, v5
	v_sub_u32_e32 v8, v3, v5
	v_cmp_gt_i32_e32 vcc, s16, v8
	s_and_saveexec_b64 s[2:3], vcc
	s_cbranch_execz .LBB64_12
; %bb.1:
	v_mul_lo_u32 v3, v8, s20
	v_sub_u32_e32 v3, v2, v3
	s_load_dwordx2 s[2:3], s[4:5], 0x0
	v_lshlrev_b32_e32 v18, 2, v3
	v_add_u32_e32 v3, 4, v18
	v_sub_u32_e32 v4, s0, v18
	v_cmp_lt_i32_e32 vcc, s0, v3
	v_and_b32_e32 v10, 31, v0
	v_cndmask_b32_e32 v19, 4, v4, vcc
	s_lshl_b32 s18, s17, 1
	s_mul_i32 s16, s18, s1
	v_lshlrev_b32_e32 v13, 11, v1
	v_cmp_lt_i32_e64 s[0:1], 0, v19
	v_lshlrev_b32_e32 v12, 4, v10
	v_lshlrev_b32_e32 v11, 10, v2
	s_and_saveexec_b64 s[6:7], s[0:1]
	s_cbranch_execz .LBB64_4
; %bb.2:
	s_add_i32 s8, s16, 0
	v_add3_u32 v4, s8, v13, v12
	s_add_i32 s8, s14, s13
	s_add_i32 s8, s8, s12
	s_lshl_b32 s9, s20, 2
	s_sub_i32 s8, s8, s9
	v_mul_lo_u32 v2, s8, v8
	v_lshl_add_u32 v2, v2, 8, v11
	s_mov_b32 s10, 0
	v_lshl_or_b32 v2, v10, 3, v2
	s_mov_b64 s[8:9], 0
	s_waitcnt lgkmcnt(0)
	v_mov_b32_e32 v5, s3
.LBB64_3:                               ; =>This Inner Loop Header: Depth=1
	v_ashrrev_i32_e32 v3, 31, v2
	v_lshlrev_b64 v[6:7], 1, v[2:3]
	v_add_co_u32_e32 v6, vcc, s2, v6
	v_addc_co_u32_e32 v7, vcc, v5, v7, vcc
	global_load_dwordx4 v[14:17], v[6:7], off
	s_add_i32 s10, s10, 1
	v_cmp_ge_i32_e32 vcc, s10, v19
	v_add_u32_e32 v2, 0x100, v2
	s_or_b64 s[8:9], vcc, s[8:9]
	s_waitcnt vmcnt(0)
	ds_write_b128 v4, v[14:17]
	v_add_u32_e32 v4, 0x200, v4
	s_andn2_b64 exec, exec, s[8:9]
	s_cbranch_execnz .LBB64_3
.LBB64_4:
	s_or_b64 exec, exec, s[6:7]
	s_add_i32 s18, s18, 15
	s_load_dwordx8 s[4:11], s[4:5], 0x18
	s_ashr_i32 s19, s18, 31
	s_lshr_b32 s19, s19, 28
	s_add_i32 s18, s18, s19
	s_ashr_i32 s21, s18, 4
	v_mul_lo_u32 v1, v1, s17
	v_cmp_gt_i32_e32 vcc, s21, v10
	v_lshlrev_b32_e32 v14, 1, v1
	s_and_saveexec_b64 s[18:19], vcc
	s_cbranch_execz .LBB64_7
; %bb.5:
	v_ashrrev_i32_e32 v9, 31, v8
	v_lshlrev_b64 v[2:3], 3, v[8:9]
	s_waitcnt lgkmcnt(0)
	v_mov_b32_e32 v1, s11
	v_add_co_u32_e32 v2, vcc, s10, v2
	v_addc_co_u32_e32 v3, vcc, v1, v3, vcc
	global_load_dwordx2 v[4:5], v[2:3], off
	s_ashr_i32 s22, s17, 31
	v_and_b32_e32 v0, 31, v0
	v_lshlrev_b32_e32 v6, 4, v0
	v_mov_b32_e32 v3, s9
	v_add3_u32 v2, v14, v12, 0
	s_mov_b64 s[10:11], 0
	s_waitcnt vmcnt(0)
	v_mul_lo_u32 v5, v5, s17
	v_mul_lo_u32 v7, v4, s22
	v_mad_u64_u32 v[0:1], s[22:23], v4, s17, 0
	v_add3_u32 v1, v1, v7, v5
	v_lshlrev_b64 v[0:1], 1, v[0:1]
	v_add_co_u32_e32 v0, vcc, v0, v6
	v_addc_co_u32_e32 v1, vcc, 0, v1, vcc
	v_add_co_u32_e32 v0, vcc, s8, v0
	v_addc_co_u32_e32 v1, vcc, v3, v1, vcc
	v_mov_b32_e32 v3, v10
.LBB64_6:                               ; =>This Inner Loop Header: Depth=1
	global_load_dwordx4 v[4:7], v[0:1], off
	v_add_co_u32_e32 v0, vcc, 0x200, v0
	v_add_u32_e32 v3, 32, v3
	v_addc_co_u32_e32 v1, vcc, 0, v1, vcc
	v_cmp_le_i32_e32 vcc, s21, v3
	s_or_b64 s[10:11], vcc, s[10:11]
	s_waitcnt vmcnt(0)
	ds_write_b128 v2, v[4:7]
	v_add_u32_e32 v2, 0x200, v2
	s_andn2_b64 exec, exec, s[10:11]
	s_cbranch_execnz .LBB64_6
.LBB64_7:
	s_or_b64 exec, exec, s[18:19]
	s_and_b64 exec, exec, s[0:1]
	s_cbranch_execz .LBB64_12
; %bb.8:
	s_waitcnt lgkmcnt(0)
	global_load_dwordx4 v[0:3], v12, s[4:5]
	global_load_dwordx4 v[4:7], v12, s[6:7]
	v_mbcnt_lo_u32_b32 v15, -1, 0
	v_add_u32_e32 v13, s16, v13
	v_mbcnt_hi_u32_b32 v15, -1, v15
	v_add3_u32 v22, v13, v12, 0
	v_and_b32_e32 v12, 0x60, v15
	v_lshlrev_b32_e32 v9, 3, v10
	v_xor_b32_e32 v13, 16, v15
	v_add_u32_e32 v12, 32, v12
	v_add3_u32 v21, 0, v14, v9
	v_xor_b32_e32 v14, 8, v15
	v_cmp_lt_i32_e32 vcc, v13, v12
	s_add_i32 s8, s14, s13
	v_xor_b32_e32 v16, 4, v15
	v_cndmask_b32_e32 v13, v15, v13, vcc
	v_cmp_lt_i32_e32 vcc, v14, v12
	s_ashr_i32 s1, s17, 31
	s_lshl_b32 s9, s20, 2
	s_add_i32 s8, s8, s12
	v_xor_b32_e32 v17, 2, v15
	v_cndmask_b32_e32 v14, v15, v14, vcc
	v_cmp_lt_i32_e32 vcc, v16, v12
	s_lshr_b32 s0, s17, 31
	s_lshr_b32 s1, s1, 29
	v_xor_b32_e32 v24, 1, v15
	s_sub_i32 s8, s8, s9
	v_cndmask_b32_e32 v16, v15, v16, vcc
	v_cmp_lt_i32_e32 vcc, v17, v12
	s_add_i32 s0, s17, s0
	s_add_i32 s1, s17, s1
	v_mul_lo_u32 v8, s8, v8
	v_cndmask_b32_e32 v17, v15, v17, vcc
	v_cmp_lt_i32_e32 vcc, v24, v12
	s_and_b32 s0, s0, -2
	s_ashr_i32 s1, s1, 3
	v_cndmask_b32_e32 v12, v15, v24, vcc
	v_lshl_add_u32 v8, v8, 8, v11
	s_mov_b32 s6, 0
	s_mov_b64 s[4:5], 0
	v_mov_b32_e32 v20, s15
	s_mov_b32 s7, 0x800000
	v_add_u32_e32 v23, s0, v21
	v_cmp_gt_i32_e32 vcc, s1, v10
	v_lshlrev_b32_e32 v24, 2, v13
	v_lshlrev_b32_e32 v25, 2, v14
	;; [unrolled: 1-line block ×5, first 2 shown]
	v_or_b32_e32 v8, v8, v9
	s_waitcnt vmcnt(1)
	v_lshrrev_b32_e32 v29, 16, v0
	s_waitcnt vmcnt(0)
	v_lshrrev_b32_e32 v30, 16, v4
	v_lshrrev_b32_e32 v31, 16, v1
	;; [unrolled: 1-line block ×7, first 2 shown]
	s_branch .LBB64_10
.LBB64_9:                               ;   in Loop: Header=BB64_10 Depth=1
	s_or_b64 exec, exec, s[0:1]
	v_ashrrev_i32_e32 v9, 31, v8
	v_cvt_f16_f32_e32 v37, v10
	v_cvt_f16_f32_e32 v38, v11
	;; [unrolled: 1-line block ×8, first 2 shown]
	v_lshlrev_b64 v[10:11], 1, v[8:9]
	v_mov_b32_e32 v9, s3
	v_add_co_u32_e64 v14, s[0:1], s2, v10
	v_addc_co_u32_e64 v15, s[0:1], v9, v11, s[0:1]
	s_add_i32 s6, s6, 1
	v_cmp_ge_i32_e64 s[0:1], s6, v19
	v_pack_b32_f16 v13, v13, v16
	v_pack_b32_f16 v12, v12, v41
	;; [unrolled: 1-line block ×4, first 2 shown]
	v_add_u32_e32 v8, 0x100, v8
	s_or_b64 s[4:5], s[0:1], s[4:5]
	v_add_u32_e32 v22, 0x200, v22
	global_store_dwordx4 v[14:15], v[10:13], off
	s_andn2_b64 exec, exec, s[4:5]
	s_cbranch_execz .LBB64_12
.LBB64_10:                              ; =>This Inner Loop Header: Depth=1
	ds_read_b128 v[10:13], v22
	v_mov_b32_e32 v37, v20
	s_waitcnt lgkmcnt(0)
	v_cvt_f32_f16_sdwa v15, v10 dst_sel:DWORD dst_unused:UNUSED_PAD src0_sel:WORD_1
	v_cvt_f32_f16_e32 v14, v10
	v_cvt_f32_f16_sdwa v39, v11 dst_sel:DWORD dst_unused:UNUSED_PAD src0_sel:WORD_1
	v_cvt_f32_f16_e32 v38, v11
	;; [unrolled: 2-line block ×4, first 2 shown]
	v_pk_mul_f32 v[12:13], v[14:15], v[14:15]
	v_pk_mul_f32 v[42:43], v[38:39], v[38:39]
	v_add_f32_e32 v9, v12, v13
	v_add_f32_e32 v9, v9, v42
	v_pk_mul_f32 v[44:45], v[40:41], v[40:41]
	v_add_f32_e32 v9, v9, v43
	v_add_f32_e32 v9, v9, v44
	;; [unrolled: 3-line block ×3, first 2 shown]
	v_add_f32_e32 v9, v9, v11
	ds_bpermute_b32 v10, v24, v9
	v_add_u32_e32 v11, s6, v18
	v_cmp_gt_i32_e64 s[0:1], s12, v11
	v_cndmask_b32_e64 v11, v30, v29, s[0:1]
	v_cndmask_b32_e64 v12, v4, v0, s[0:1]
	s_waitcnt lgkmcnt(0)
	v_add_f32_e32 v9, v9, v10
	ds_bpermute_b32 v10, v25, v9
	v_cndmask_b32_e64 v13, v32, v31, s[0:1]
	v_cndmask_b32_e64 v42, v5, v1, s[0:1]
	;; [unrolled: 1-line block ×4, first 2 shown]
	s_waitcnt lgkmcnt(0)
	v_add_f32_e32 v9, v9, v10
	ds_bpermute_b32 v10, v26, v9
	v_cndmask_b32_e64 v45, v36, v35, s[0:1]
	v_cndmask_b32_e64 v47, v7, v3, s[0:1]
	v_cvt_f32_f16_e32 v11, v11
	v_cvt_f32_f16_e32 v13, v13
	s_waitcnt lgkmcnt(0)
	v_add_f32_e32 v9, v9, v10
	ds_bpermute_b32 v10, v27, v9
	v_cvt_f32_f16_e32 v43, v43
	v_cvt_f32_f16_e32 v45, v45
	s_waitcnt lgkmcnt(0)
	v_add_f32_e32 v9, v9, v10
	ds_bpermute_b32 v46, v28, v9
	v_cvt_f32_f16_e32 v10, v12
	v_cvt_f32_f16_e32 v12, v42
	;; [unrolled: 1-line block ×4, first 2 shown]
	s_waitcnt lgkmcnt(0)
	v_add_f32_e32 v9, v9, v46
	v_fmac_f32_e32 v37, 0x3b800000, v9
	v_mul_f32_e32 v9, 0x4b800000, v37
	v_cmp_gt_f32_e64 s[0:1], s7, v37
	v_cndmask_b32_e64 v9, v37, v9, s[0:1]
	v_rsq_f32_e32 v9, v9
	v_mul_f32_e32 v37, 0x45800000, v9
	v_cndmask_b32_e64 v46, v9, v37, s[0:1]
	v_pk_mul_f32 v[10:11], v[46:47], v[10:11] op_sel_hi:[0,1]
	v_pk_mul_f32 v[12:13], v[46:47], v[12:13] op_sel_hi:[0,1]
	v_pk_mul_f32 v[10:11], v[10:11], v[14:15]
	v_pk_mul_f32 v[12:13], v[12:13], v[38:39]
	v_pk_mul_f32 v[14:15], v[46:47], v[42:43] op_sel_hi:[0,1]
	v_pk_mul_f32 v[38:39], v[46:47], v[44:45] op_sel_hi:[0,1]
	v_pk_mul_f32 v[14:15], v[14:15], v[40:41]
	v_pk_mul_f32 v[16:17], v[38:39], v[16:17]
	s_and_saveexec_b64 s[0:1], vcc
	s_cbranch_execz .LBB64_9
; %bb.11:                               ;   in Loop: Header=BB64_10 Depth=1
	ds_read_b64 v[38:39], v21
	ds_read_b64 v[40:41], v23
	s_waitcnt lgkmcnt(1)
	v_lshlrev_b32_e32 v42, 16, v38
	s_waitcnt lgkmcnt(0)
	v_lshlrev_b32_e32 v44, 16, v40
	v_pk_mul_f32 v[44:45], v[10:11], v[44:45] op_sel_hi:[1,0]
	v_pk_mul_f32 v[46:47], v[10:11], v[42:43] op_sel_hi:[1,0]
	v_pk_fma_f32 v[10:11], v[10:11], v[42:43], v[44:45] op_sel:[0,0,1] op_sel_hi:[1,0,0]
	v_and_b32_e32 v10, 0xffff0000, v40
	v_and_b32_e32 v38, 0xffff0000, v38
	v_pk_mul_f32 v[42:43], v[12:13], v[10:11] op_sel_hi:[1,0]
	v_pk_fma_f32 v[48:49], v[12:13], v[38:39], v[42:43] op_sel:[0,0,1] op_sel_hi:[1,0,0] neg_lo:[0,0,1] neg_hi:[0,0,1]
	v_pk_fma_f32 v[12:13], v[12:13], v[38:39], v[42:43] op_sel:[0,0,1] op_sel_hi:[1,0,0]
	v_lshlrev_b32_e32 v12, 16, v41
	v_lshlrev_b32_e32 v10, 16, v39
	v_pk_mul_f32 v[42:43], v[14:15], v[12:13] op_sel_hi:[1,0]
	v_and_b32_e32 v39, 0xffff0000, v39
	v_and_b32_e32 v38, 0xffff0000, v41
	v_mov_b32_e32 v12, v17
	v_pk_fma_f32 v[50:51], v[14:15], v[10:11], v[42:43] op_sel:[0,0,1] op_sel_hi:[1,0,0] neg_lo:[0,0,1] neg_hi:[0,0,1]
	v_pk_fma_f32 v[14:15], v[14:15], v[10:11], v[42:43] op_sel:[0,0,1] op_sel_hi:[1,0,0]
	v_mov_b32_e32 v10, v39
	v_pk_mul_f32 v[40:41], v[12:13], v[38:39]
	v_pk_mul_f32 v[42:43], v[16:17], v[38:39]
	v_pk_fma_f32 v[40:41], v[16:17], v[10:11], v[40:41] op_sel_hi:[1,0,1] neg_lo:[0,0,1] neg_hi:[0,0,1]
	v_mov_b32_e32 v10, v43
	v_pk_fma_f32 v[38:39], v[16:17], v[38:39], v[10:11]
	v_sub_f32_e32 v10, v46, v45
	v_mov_b32_e32 v12, v48
	v_mov_b32_e32 v14, v50
	;; [unrolled: 1-line block ×4, first 2 shown]
	s_branch .LBB64_9
.LBB64_12:
	s_endpgm
	.section	.rodata,"a",@progbits
	.p2align	6, 0x0
	.amdhsa_kernel _ZN12tensorrt_llm7kernels32fusedQKNormRopeKernelNTokenHeadsIN3c104HalfENS2_8BFloat16ELi256ELb1ELi4EEEvPviiifPKvS7_S7_PKlii
		.amdhsa_group_segment_fixed_size 0
		.amdhsa_private_segment_fixed_size 0
		.amdhsa_kernarg_size 320
		.amdhsa_user_sgpr_count 6
		.amdhsa_user_sgpr_private_segment_buffer 1
		.amdhsa_user_sgpr_dispatch_ptr 0
		.amdhsa_user_sgpr_queue_ptr 0
		.amdhsa_user_sgpr_kernarg_segment_ptr 1
		.amdhsa_user_sgpr_dispatch_id 0
		.amdhsa_user_sgpr_flat_scratch_init 0
		.amdhsa_user_sgpr_kernarg_preload_length 0
		.amdhsa_user_sgpr_kernarg_preload_offset 0
		.amdhsa_user_sgpr_private_segment_size 0
		.amdhsa_uses_dynamic_stack 0
		.amdhsa_system_sgpr_private_segment_wavefront_offset 0
		.amdhsa_system_sgpr_workgroup_id_x 1
		.amdhsa_system_sgpr_workgroup_id_y 0
		.amdhsa_system_sgpr_workgroup_id_z 0
		.amdhsa_system_sgpr_workgroup_info 0
		.amdhsa_system_vgpr_workitem_id 0
		.amdhsa_next_free_vgpr 52
		.amdhsa_next_free_sgpr 24
		.amdhsa_accum_offset 52
		.amdhsa_reserve_vcc 1
		.amdhsa_reserve_flat_scratch 0
		.amdhsa_float_round_mode_32 0
		.amdhsa_float_round_mode_16_64 0
		.amdhsa_float_denorm_mode_32 3
		.amdhsa_float_denorm_mode_16_64 3
		.amdhsa_dx10_clamp 1
		.amdhsa_ieee_mode 1
		.amdhsa_fp16_overflow 0
		.amdhsa_tg_split 0
		.amdhsa_exception_fp_ieee_invalid_op 0
		.amdhsa_exception_fp_denorm_src 0
		.amdhsa_exception_fp_ieee_div_zero 0
		.amdhsa_exception_fp_ieee_overflow 0
		.amdhsa_exception_fp_ieee_underflow 0
		.amdhsa_exception_fp_ieee_inexact 0
		.amdhsa_exception_int_div_zero 0
	.end_amdhsa_kernel
	.section	.text._ZN12tensorrt_llm7kernels32fusedQKNormRopeKernelNTokenHeadsIN3c104HalfENS2_8BFloat16ELi256ELb1ELi4EEEvPviiifPKvS7_S7_PKlii,"axG",@progbits,_ZN12tensorrt_llm7kernels32fusedQKNormRopeKernelNTokenHeadsIN3c104HalfENS2_8BFloat16ELi256ELb1ELi4EEEvPviiifPKvS7_S7_PKlii,comdat
.Lfunc_end64:
	.size	_ZN12tensorrt_llm7kernels32fusedQKNormRopeKernelNTokenHeadsIN3c104HalfENS2_8BFloat16ELi256ELb1ELi4EEEvPviiifPKvS7_S7_PKlii, .Lfunc_end64-_ZN12tensorrt_llm7kernels32fusedQKNormRopeKernelNTokenHeadsIN3c104HalfENS2_8BFloat16ELi256ELb1ELi4EEEvPviiifPKvS7_S7_PKlii
                                        ; -- End function
	.section	.AMDGPU.csdata,"",@progbits
; Kernel info:
; codeLenInByte = 1776
; NumSgprs: 28
; NumVgprs: 52
; NumAgprs: 0
; TotalNumVgprs: 52
; ScratchSize: 0
; MemoryBound: 0
; FloatMode: 240
; IeeeMode: 1
; LDSByteSize: 0 bytes/workgroup (compile time only)
; SGPRBlocks: 3
; VGPRBlocks: 6
; NumSGPRsForWavesPerEU: 28
; NumVGPRsForWavesPerEU: 52
; AccumOffset: 52
; Occupancy: 8
; WaveLimiterHint : 0
; COMPUTE_PGM_RSRC2:SCRATCH_EN: 0
; COMPUTE_PGM_RSRC2:USER_SGPR: 6
; COMPUTE_PGM_RSRC2:TRAP_HANDLER: 0
; COMPUTE_PGM_RSRC2:TGID_X_EN: 1
; COMPUTE_PGM_RSRC2:TGID_Y_EN: 0
; COMPUTE_PGM_RSRC2:TGID_Z_EN: 0
; COMPUTE_PGM_RSRC2:TIDIG_COMP_CNT: 0
; COMPUTE_PGM_RSRC3_GFX90A:ACCUM_OFFSET: 12
; COMPUTE_PGM_RSRC3_GFX90A:TG_SPLIT: 0
	.section	.text._ZN12tensorrt_llm7kernels32fusedQKNormRopeKernelNTokenHeadsIN3c104HalfENS2_8BFloat16ELi256ELb0ELi4EEEvPviiifPKvS7_S7_PKlii,"axG",@progbits,_ZN12tensorrt_llm7kernels32fusedQKNormRopeKernelNTokenHeadsIN3c104HalfENS2_8BFloat16ELi256ELb0ELi4EEEvPviiifPKvS7_S7_PKlii,comdat
	.protected	_ZN12tensorrt_llm7kernels32fusedQKNormRopeKernelNTokenHeadsIN3c104HalfENS2_8BFloat16ELi256ELb0ELi4EEEvPviiifPKvS7_S7_PKlii ; -- Begin function _ZN12tensorrt_llm7kernels32fusedQKNormRopeKernelNTokenHeadsIN3c104HalfENS2_8BFloat16ELi256ELb0ELi4EEEvPviiifPKvS7_S7_PKlii
	.globl	_ZN12tensorrt_llm7kernels32fusedQKNormRopeKernelNTokenHeadsIN3c104HalfENS2_8BFloat16ELi256ELb0ELi4EEEvPviiifPKvS7_S7_PKlii
	.p2align	8
	.type	_ZN12tensorrt_llm7kernels32fusedQKNormRopeKernelNTokenHeadsIN3c104HalfENS2_8BFloat16ELi256ELb0ELi4EEEvPviiifPKvS7_S7_PKlii,@function
_ZN12tensorrt_llm7kernels32fusedQKNormRopeKernelNTokenHeadsIN3c104HalfENS2_8BFloat16ELi256ELb0ELi4EEEvPviiifPKvS7_S7_PKlii: ; @_ZN12tensorrt_llm7kernels32fusedQKNormRopeKernelNTokenHeadsIN3c104HalfENS2_8BFloat16ELi256ELb0ELi4EEEvPviiifPKvS7_S7_PKlii
; %bb.0:
	s_load_dwordx4 s[12:15], s[4:5], 0x8
	s_load_dwordx2 s[2:3], s[4:5], 0x38
	s_load_dword s1, s[4:5], 0x4c
	v_lshrrev_b32_e32 v1, 5, v0
	s_waitcnt lgkmcnt(0)
	s_add_i32 s0, s13, s12
	s_add_i32 s7, s0, 3
	s_ashr_i32 s8, s7, 31
	s_lshr_b32 s8, s8, 30
	s_add_i32 s7, s7, s8
	s_ashr_i32 s20, s7, 2
	s_abs_i32 s7, s20
	v_cvt_f32_u32_e32 v2, s7
	s_bfe_u32 s1, s1, 0xb0005
	s_mul_i32 s6, s6, s1
	v_rcp_iflag_f32_e32 v3, v2
	v_add_u32_e32 v2, s6, v1
	s_sub_i32 s6, 0, s7
	v_sub_u32_e32 v4, 0, v2
	v_mul_f32_e32 v3, 0x4f7ffffe, v3
	v_cvt_u32_f32_e32 v3, v3
	v_max_i32_e32 v4, v2, v4
	v_xor_b32_e32 v5, s20, v2
	v_ashrrev_i32_e32 v5, 31, v5
	v_mul_lo_u32 v6, s6, v3
	v_mul_hi_u32 v6, v3, v6
	v_add_u32_e32 v3, v3, v6
	v_mul_hi_u32 v3, v4, v3
	v_mul_lo_u32 v6, v3, s7
	v_sub_u32_e32 v4, v4, v6
	v_add_u32_e32 v6, 1, v3
	v_cmp_le_u32_e32 vcc, s7, v4
	v_cndmask_b32_e32 v3, v3, v6, vcc
	v_subrev_u32_e32 v6, s7, v4
	v_cndmask_b32_e32 v4, v4, v6, vcc
	v_add_u32_e32 v6, 1, v3
	v_cmp_le_u32_e32 vcc, s7, v4
	v_cndmask_b32_e32 v3, v3, v6, vcc
	v_xor_b32_e32 v3, v3, v5
	v_sub_u32_e32 v8, v3, v5
	v_cmp_gt_i32_e32 vcc, s2, v8
	s_and_saveexec_b64 s[6:7], vcc
	s_cbranch_execz .LBB65_12
; %bb.1:
	v_mul_lo_u32 v3, v8, s20
	v_sub_u32_e32 v3, v2, v3
	s_load_dwordx2 s[16:17], s[4:5], 0x0
	v_lshlrev_b32_e32 v10, 2, v3
	v_add_u32_e32 v3, 4, v10
	v_sub_u32_e32 v4, s0, v10
	v_cmp_lt_i32_e32 vcc, s0, v3
	v_and_b32_e32 v30, 31, v0
	v_cndmask_b32_e32 v11, 4, v4, vcc
	s_lshl_b32 s2, s3, 1
	s_mul_i32 s21, s2, s1
	v_lshlrev_b32_e32 v33, 11, v1
	v_cmp_lt_i32_e64 s[0:1], 0, v11
	v_lshlrev_b32_e32 v34, 4, v30
	v_lshlrev_b32_e32 v35, 10, v2
	s_and_saveexec_b64 s[6:7], s[0:1]
	s_cbranch_execz .LBB65_4
; %bb.2:
	s_add_i32 s8, s21, 0
	v_add3_u32 v4, s8, v33, v34
	s_add_i32 s8, s14, s13
	s_add_i32 s8, s8, s12
	s_lshl_b32 s9, s20, 2
	s_sub_i32 s8, s8, s9
	v_mul_lo_u32 v2, s8, v8
	v_lshl_add_u32 v2, v2, 8, v35
	s_mov_b32 s10, 0
	v_lshl_or_b32 v2, v30, 3, v2
	s_mov_b64 s[8:9], 0
	s_waitcnt lgkmcnt(0)
	v_mov_b32_e32 v5, s17
.LBB65_3:                               ; =>This Inner Loop Header: Depth=1
	v_ashrrev_i32_e32 v3, 31, v2
	v_lshlrev_b64 v[6:7], 1, v[2:3]
	v_add_co_u32_e32 v6, vcc, s16, v6
	v_addc_co_u32_e32 v7, vcc, v5, v7, vcc
	global_load_dwordx4 v[12:15], v[6:7], off
	s_add_i32 s10, s10, 1
	v_cmp_ge_i32_e32 vcc, s10, v11
	v_add_u32_e32 v2, 0x100, v2
	s_or_b64 s[8:9], vcc, s[8:9]
	s_waitcnt vmcnt(0)
	ds_write_b128 v4, v[12:15]
	v_add_u32_e32 v4, 0x200, v4
	s_andn2_b64 exec, exec, s[8:9]
	s_cbranch_execnz .LBB65_3
.LBB65_4:
	s_or_b64 exec, exec, s[6:7]
	s_add_i32 s2, s2, 15
	s_load_dwordx8 s[4:11], s[4:5], 0x18
	s_ashr_i32 s18, s2, 31
	s_lshr_b32 s18, s18, 28
	s_add_i32 s2, s2, s18
	s_ashr_i32 s2, s2, 4
	v_cmp_gt_i32_e32 vcc, s2, v30
	v_mul_lo_u32 v12, v1, s3
	s_and_saveexec_b64 s[18:19], vcc
	s_cbranch_execz .LBB65_7
; %bb.5:
	v_ashrrev_i32_e32 v9, 31, v8
	v_lshlrev_b64 v[2:3], 3, v[8:9]
	s_waitcnt lgkmcnt(0)
	v_mov_b32_e32 v1, s11
	v_add_co_u32_e32 v2, vcc, s10, v2
	v_addc_co_u32_e32 v3, vcc, v1, v3, vcc
	global_load_dwordx2 v[4:5], v[2:3], off
	s_ashr_i32 s22, s3, 31
	v_lshlrev_b32_e32 v1, 1, v12
	v_and_b32_e32 v0, 31, v0
	v_add3_u32 v2, v1, v34, 0
	v_lshlrev_b32_e32 v6, 4, v0
	v_mov_b32_e32 v3, s9
	s_mov_b64 s[10:11], 0
	s_waitcnt vmcnt(0)
	v_mul_lo_u32 v5, v5, s3
	v_mul_lo_u32 v7, v4, s22
	v_mad_u64_u32 v[0:1], s[22:23], v4, s3, 0
	v_add3_u32 v1, v1, v7, v5
	v_lshlrev_b64 v[0:1], 1, v[0:1]
	v_add_co_u32_e32 v0, vcc, v0, v6
	v_addc_co_u32_e32 v1, vcc, 0, v1, vcc
	v_add_co_u32_e32 v0, vcc, s8, v0
	v_addc_co_u32_e32 v1, vcc, v3, v1, vcc
	v_mov_b32_e32 v3, v30
.LBB65_6:                               ; =>This Inner Loop Header: Depth=1
	global_load_dwordx4 v[4:7], v[0:1], off
	v_add_co_u32_e32 v0, vcc, 0x200, v0
	v_add_u32_e32 v3, 32, v3
	v_addc_co_u32_e32 v1, vcc, 0, v1, vcc
	v_cmp_le_i32_e32 vcc, s2, v3
	s_or_b64 s[10:11], vcc, s[10:11]
	s_waitcnt vmcnt(0)
	ds_write_b128 v2, v[4:7]
	v_add_u32_e32 v2, 0x200, v2
	s_andn2_b64 exec, exec, s[10:11]
	s_cbranch_execnz .LBB65_6
.LBB65_7:
	s_or_b64 exec, exec, s[18:19]
	s_and_b64 exec, exec, s[0:1]
	s_cbranch_execz .LBB65_12
; %bb.8:
	s_waitcnt lgkmcnt(0)
	global_load_dwordx4 v[0:3], v34, s[4:5]
	global_load_dwordx4 v[4:7], v34, s[6:7]
	v_lshl_add_u32 v9, v12, 1, 0
	v_mbcnt_lo_u32_b32 v12, -1, 0
	s_abs_i32 s4, s3
	v_mbcnt_hi_u32_b32 v17, -1, v12
	v_cvt_f32_u32_e32 v14, s4
	v_and_b32_e32 v12, 0x60, v17
	v_xor_b32_e32 v13, 16, v17
	v_add_u32_e32 v12, 32, v12
	v_xor_b32_e32 v15, 8, v17
	v_cmp_lt_i32_e32 vcc, v13, v12
	v_xor_b32_e32 v16, 4, v17
	v_cndmask_b32_e32 v13, v17, v13, vcc
	v_cmp_lt_i32_e32 vcc, v15, v12
	v_rcp_iflag_f32_e32 v22, v14
	v_xor_b32_e32 v18, 2, v17
	v_cndmask_b32_e32 v15, v17, v15, vcc
	v_cmp_lt_i32_e32 vcc, v16, v12
	v_cndmask_b32_e32 v16, v17, v16, vcc
	v_cmp_lt_i32_e32 vcc, v18, v12
	v_xor_b32_e32 v19, 1, v17
	v_cndmask_b32_e32 v18, v17, v18, vcc
	v_cmp_lt_i32_e32 vcc, v19, v12
	v_lshlrev_b32_e32 v12, 2, v13
	v_lshlrev_b32_e32 v13, 2, v15
	;; [unrolled: 1-line block ×3, first 2 shown]
	v_mul_f32_e32 v18, 0x4f7ffffe, v22
	v_cvt_u32_f32_e32 v18, v18
	s_sub_i32 s5, 0, s4
	v_cndmask_b32_e32 v19, v17, v19, vcc
	s_ashr_i32 s1, s3, 31
	v_lshlrev_b32_e32 v14, 2, v16
	v_lshlrev_b32_e32 v16, 2, v19
	v_mul_lo_u32 v19, s5, v18
	s_lshr_b32 s2, s1, 29
	s_lshr_b32 s1, s1, 28
	v_mul_hi_u32 v19, v18, v19
	s_lshr_b32 s0, s3, 31
	s_add_i32 s1, s3, s1
	v_add_u32_e32 v46, v18, v19
	s_add_i32 s0, s3, s0
	v_and_b32_e32 v20, 64, v17
	s_ashr_i32 s1, s1, 4
	v_mul_hi_u32 v18, v34, v46
	s_and_b32 s0, s0, -2
	s_add_i32 s2, s3, s2
	v_add_u32_e32 v20, 64, v20
	v_xor_b32_e32 v21, s1, v17
	v_mul_lo_u32 v18, v18, s4
	v_or_b32_e32 v28, 2, v34
	v_add_u32_e32 v45, s0, v9
	s_ashr_i32 s0, s2, 3
	v_cmp_lt_i32_e64 s[2:3], v21, v20
	v_sub_u32_e32 v18, v34, v18
	v_cndmask_b32_e64 v17, v17, v21, s[2:3]
	v_subrev_u32_e32 v19, s4, v18
	v_cmp_le_u32_e64 s[2:3], s4, v18
	v_mul_hi_u32 v29, v28, v46
	v_cndmask_b32_e64 v18, v18, v19, s[2:3]
	v_mul_lo_u32 v29, v29, s4
	v_or_b32_e32 v31, 4, v34
	v_subrev_u32_e32 v19, s4, v18
	v_cmp_le_u32_e64 s[2:3], s4, v18
	v_sub_u32_e32 v28, v28, v29
	v_cndmask_b32_e64 v18, v18, v19, s[2:3]
	v_subrev_u32_e32 v29, s4, v28
	v_cmp_le_u32_e64 s[2:3], s4, v28
	v_mul_hi_u32 v32, v31, v46
	v_cndmask_b32_e64 v28, v28, v29, s[2:3]
	v_mul_lo_u32 v32, v32, s4
	v_or_b32_e32 v36, 6, v34
	v_subrev_u32_e32 v29, s4, v28
	v_cmp_le_u32_e64 s[2:3], s4, v28
	;; [unrolled: 10-line block ×6, first 2 shown]
	v_sub_u32_e32 v42, v42, v43
	v_cndmask_b32_e64 v40, v40, v41, s[2:3]
	v_subrev_u32_e32 v43, s4, v42
	v_cmp_le_u32_e64 s[2:3], s4, v42
	v_mul_hi_u32 v46, v44, v46
	v_cndmask_b32_e64 v42, v42, v43, s[2:3]
	v_mul_lo_u32 v46, v46, s4
	v_subrev_u32_e32 v43, s4, v42
	v_cmp_le_u32_e64 s[2:3], s4, v42
	v_sub_u32_e32 v44, v44, v46
	v_cndmask_b32_e64 v42, v42, v43, s[2:3]
	v_subrev_u32_e32 v46, s4, v44
	v_cmp_le_u32_e64 s[2:3], s4, v44
	v_cndmask_b32_e64 v44, v44, v46, s[2:3]
	v_subrev_u32_e32 v46, s4, v44
	v_cmp_le_u32_e64 s[2:3], s4, v44
	v_cndmask_b32_e64 v44, v44, v46, s[2:3]
	s_add_i32 s2, s14, s13
	s_add_i32 s2, s2, s12
	s_lshl_b32 s3, s20, 2
	s_sub_i32 s2, s2, s3
	v_and_b32_e32 v27, -2, v18
	v_and_b32_e32 v29, -2, v28
	;; [unrolled: 1-line block ×8, first 2 shown]
	v_mul_lo_u32 v8, s2, v8
	v_add_u32_e32 v26, v9, v27
	v_add_u32_e32 v28, v9, v29
	v_add_u32_e32 v31, v9, v32
	v_add_u32_e32 v36, v9, v37
	v_add_u32_e32 v38, v9, v39
	v_add_u32_e32 v40, v9, v41
	v_add_u32_e32 v42, v9, v43
	v_add_u32_e32 v44, v9, v46
	v_lshl_add_u32 v8, v8, 8, v35
	v_add_u32_e32 v9, s21, v33
	s_mov_b32 s8, 0
	v_cmp_gt_i32_e32 vcc, s0, v30
	v_cmp_gt_i32_e64 s[0:1], s1, v30
	v_lshlrev_b32_e32 v17, 2, v17
	s_waitcnt vmcnt(1)
	v_lshrrev_b32_e32 v18, 16, v0
	v_lshrrev_b32_e32 v19, 16, v1
	;; [unrolled: 1-line block ×4, first 2 shown]
	s_waitcnt vmcnt(0)
	v_lshrrev_b32_e32 v22, 16, v4
	v_lshrrev_b32_e32 v23, 16, v5
	v_lshrrev_b32_e32 v24, 16, v6
	v_lshrrev_b32_e32 v25, 16, v7
	v_add_u32_e32 v27, v45, v27
	v_add_u32_e32 v29, v45, v29
	;; [unrolled: 1-line block ×8, first 2 shown]
	v_lshl_or_b32 v8, v30, 3, v8
	v_add3_u32 v30, v9, v34, 0
	s_mov_b64 s[6:7], 0
	s_mov_b32 s9, 0x800000
	s_branch .LBB65_10
.LBB65_9:                               ;   in Loop: Header=BB65_10 Depth=1
	s_or_b64 exec, exec, s[2:3]
	v_cvt_f16_f32_e32 v52, v9
	v_ashrrev_i32_e32 v9, 31, v8
	v_cvt_f16_f32_e32 v50, v49
	v_cvt_f16_f32_e32 v51, v48
	;; [unrolled: 1-line block ×7, first 2 shown]
	v_lshlrev_b64 v[34:35], 1, v[8:9]
	v_mov_b32_e32 v9, s17
	v_add_co_u32_e64 v34, s[2:3], s16, v34
	v_addc_co_u32_e64 v35, s[2:3], v9, v35, s[2:3]
	s_add_i32 s8, s8, 1
	v_cmp_ge_i32_e64 s[2:3], s8, v11
	v_pack_b32_f16 v49, v49, v52
	v_pack_b32_f16 v48, v33, v48
	;; [unrolled: 1-line block ×4, first 2 shown]
	v_add_u32_e32 v8, 0x100, v8
	s_or_b64 s[6:7], s[2:3], s[6:7]
	v_add_u32_e32 v30, 0x200, v30
	global_store_dwordx4 v[34:35], v[46:49], off
	s_andn2_b64 exec, exec, s[6:7]
	s_cbranch_execz .LBB65_12
.LBB65_10:                              ; =>This Inner Loop Header: Depth=1
	ds_read_b128 v[46:49], v30
	s_waitcnt lgkmcnt(0)
	v_cvt_f32_f16_sdwa v9, v46 dst_sel:DWORD dst_unused:UNUSED_PAD src0_sel:WORD_1
	v_cvt_f32_f16_sdwa v35, v47 dst_sel:DWORD dst_unused:UNUSED_PAD src0_sel:WORD_1
	v_cvt_f32_f16_e32 v34, v47
	v_cvt_f32_f16_sdwa v51, v48 dst_sel:DWORD dst_unused:UNUSED_PAD src0_sel:WORD_1
	v_cvt_f32_f16_e32 v50, v48
	v_mul_f32_e32 v33, v9, v9
	v_cvt_f32_f16_sdwa v53, v49 dst_sel:DWORD dst_unused:UNUSED_PAD src0_sel:WORD_1
	v_cvt_f32_f16_e32 v52, v49
	v_pk_mul_f32 v[48:49], v[34:35], v[34:35]
	v_fma_mix_f32 v33, v46, v46, v33 op_sel_hi:[1,1,0]
	v_add_f32_e32 v33, v33, v48
	v_add_f32_e32 v33, v33, v49
	v_pk_mul_f32 v[48:49], v[50:51], v[50:51]
	v_add_f32_e32 v33, v33, v48
	v_add_f32_e32 v33, v33, v49
	v_pk_mul_f32 v[48:49], v[52:53], v[52:53]
	v_add_f32_e32 v33, v33, v48
	v_add_f32_e32 v33, v33, v49
	ds_bpermute_b32 v47, v12, v33
	v_mov_b32_e32 v49, s15
	v_add_u32_e32 v48, s8, v10
	v_cmp_gt_i32_e64 s[2:3], s12, v48
	v_cndmask_b32_e64 v48, v4, v0, s[2:3]
	s_waitcnt lgkmcnt(0)
	v_add_f32_e32 v33, v33, v47
	ds_bpermute_b32 v47, v13, v33
	v_cndmask_b32_e64 v54, v22, v18, s[2:3]
	v_cndmask_b32_e64 v55, v5, v1, s[2:3]
	v_cvt_f32_f16_e32 v48, v48
	v_cndmask_b32_e64 v56, v23, v19, s[2:3]
	s_waitcnt lgkmcnt(0)
	v_add_f32_e32 v33, v33, v47
	ds_bpermute_b32 v47, v14, v33
	v_cvt_f32_f16_e32 v54, v54
	v_cvt_f32_f16_e32 v55, v55
	v_cndmask_b32_e64 v57, v6, v2, s[2:3]
	v_cvt_f32_f16_e32 v46, v46
	s_waitcnt lgkmcnt(0)
	v_add_f32_e32 v33, v33, v47
	ds_bpermute_b32 v47, v15, v33
	v_cndmask_b32_e64 v58, v24, v20, s[2:3]
	s_waitcnt lgkmcnt(0)
	v_add_f32_e32 v33, v33, v47
	ds_bpermute_b32 v47, v16, v33
	s_waitcnt lgkmcnt(0)
	v_add_f32_e32 v33, v33, v47
	v_fmac_f32_e32 v49, 0x3b800000, v33
	v_mul_f32_e32 v33, 0x4b800000, v49
	v_cmp_gt_f32_e64 s[4:5], s9, v49
	v_cndmask_b32_e64 v33, v49, v33, s[4:5]
	v_rsq_f32_e32 v33, v33
	v_cvt_f32_f16_e32 v47, v56
	v_cvt_f32_f16_e32 v56, v57
	v_mul_f32_e32 v49, 0x45800000, v33
	v_cndmask_b32_e64 v57, v33, v49, s[4:5]
	v_mul_f32_e32 v33, v57, v48
	v_mul_f32_e32 v48, v57, v54
	;; [unrolled: 1-line block ×6, first 2 shown]
	v_cvt_f32_f16_e32 v9, v58
	v_cndmask_b32_e64 v34, v7, v3, s[2:3]
	v_mul_f32_e32 v49, v33, v46
	v_mul_f32_e32 v46, v55, v35
	;; [unrolled: 1-line block ×3, first 2 shown]
	v_cvt_f32_f16_e32 v34, v34
	v_cndmask_b32_e64 v35, v25, v21, s[2:3]
	v_mul_f32_e32 v33, v33, v50
	v_cvt_f32_f16_e32 v50, v35
	v_mul_f32_e32 v9, v57, v9
	v_mul_f32_e32 v35, v9, v51
	;; [unrolled: 1-line block ×6, first 2 shown]
	s_and_saveexec_b64 s[2:3], vcc
	s_cbranch_execz .LBB65_9
; %bb.11:                               ;   in Loop: Header=BB65_10 Depth=1
	ds_bpermute_b32 v50, v17, v49
	ds_bpermute_b32 v51, v17, v48
	; wave barrier
	ds_read_u16 v52, v26
	ds_read_u16 v53, v27
	;; [unrolled: 1-line block ×8, first 2 shown]
	s_waitcnt lgkmcnt(9)
	v_cndmask_b32_e64 v50, v50, -v50, s[0:1]
	s_waitcnt lgkmcnt(6)
	v_lshlrev_b32_e32 v53, 16, v53
	v_lshlrev_b32_e32 v52, 16, v52
	v_mul_f32_e32 v50, v50, v53
	v_fmac_f32_e32 v50, v49, v52
	v_cndmask_b32_e64 v49, v51, -v51, s[0:1]
	ds_bpermute_b32 v51, v17, v47
	s_waitcnt lgkmcnt(5)
	v_lshlrev_b32_e32 v53, 16, v55
	v_mul_f32_e32 v53, v49, v53
	ds_bpermute_b32 v49, v17, v46
	v_lshlrev_b32_e32 v52, 16, v54
	v_fmac_f32_e32 v53, v48, v52
	s_waitcnt lgkmcnt(1)
	v_cndmask_b32_e64 v48, v51, -v51, s[0:1]
	v_lshlrev_b32_e32 v52, 16, v57
	v_mul_f32_e32 v52, v48, v52
	ds_bpermute_b32 v48, v17, v33
	v_lshlrev_b32_e32 v51, 16, v56
	v_fmac_f32_e32 v52, v47, v51
	s_waitcnt lgkmcnt(1)
	v_cndmask_b32_e64 v47, v49, -v49, s[0:1]
	;; [unrolled: 7-line block ×3, first 2 shown]
	ds_read_u16 v48, v38
	ds_read_u16 v49, v39
	;; [unrolled: 1-line block ×8, first 2 shown]
	s_waitcnt lgkmcnt(6)
	v_lshlrev_b32_e32 v49, 16, v49
	v_lshlrev_b32_e32 v48, 16, v48
	v_mul_f32_e32 v60, v46, v49
	v_fmac_f32_e32 v60, v33, v48
	v_cndmask_b32_e64 v33, v47, -v47, s[0:1]
	s_waitcnt lgkmcnt(4)
	v_lshlrev_b32_e32 v48, 16, v55
	ds_bpermute_b32 v46, v17, v34
	v_lshlrev_b32_e32 v47, 16, v54
	v_mul_f32_e32 v54, v33, v48
	v_fmac_f32_e32 v54, v35, v47
	ds_bpermute_b32 v35, v17, v9
	s_waitcnt lgkmcnt(1)
	v_cndmask_b32_e64 v33, v46, -v46, s[0:1]
	v_lshlrev_b32_e32 v47, 16, v57
	v_lshlrev_b32_e32 v46, 16, v56
	v_mul_f32_e32 v55, v33, v47
	s_waitcnt lgkmcnt(0)
	v_cndmask_b32_e64 v33, v35, -v35, s[0:1]
	v_lshlrev_b32_e32 v35, 16, v59
	v_fmac_f32_e32 v55, v34, v46
	v_lshlrev_b32_e32 v34, 16, v58
	v_mul_f32_e32 v56, v33, v35
	v_fmac_f32_e32 v56, v9, v34
	v_mov_b32_e32 v49, v50
	v_mov_b32_e32 v48, v53
	;; [unrolled: 1-line block ×8, first 2 shown]
	; wave barrier
	s_branch .LBB65_9
.LBB65_12:
	s_endpgm
	.section	.rodata,"a",@progbits
	.p2align	6, 0x0
	.amdhsa_kernel _ZN12tensorrt_llm7kernels32fusedQKNormRopeKernelNTokenHeadsIN3c104HalfENS2_8BFloat16ELi256ELb0ELi4EEEvPviiifPKvS7_S7_PKlii
		.amdhsa_group_segment_fixed_size 0
		.amdhsa_private_segment_fixed_size 0
		.amdhsa_kernarg_size 320
		.amdhsa_user_sgpr_count 6
		.amdhsa_user_sgpr_private_segment_buffer 1
		.amdhsa_user_sgpr_dispatch_ptr 0
		.amdhsa_user_sgpr_queue_ptr 0
		.amdhsa_user_sgpr_kernarg_segment_ptr 1
		.amdhsa_user_sgpr_dispatch_id 0
		.amdhsa_user_sgpr_flat_scratch_init 0
		.amdhsa_user_sgpr_kernarg_preload_length 0
		.amdhsa_user_sgpr_kernarg_preload_offset 0
		.amdhsa_user_sgpr_private_segment_size 0
		.amdhsa_uses_dynamic_stack 0
		.amdhsa_system_sgpr_private_segment_wavefront_offset 0
		.amdhsa_system_sgpr_workgroup_id_x 1
		.amdhsa_system_sgpr_workgroup_id_y 0
		.amdhsa_system_sgpr_workgroup_id_z 0
		.amdhsa_system_sgpr_workgroup_info 0
		.amdhsa_system_vgpr_workitem_id 0
		.amdhsa_next_free_vgpr 61
		.amdhsa_next_free_sgpr 24
		.amdhsa_accum_offset 64
		.amdhsa_reserve_vcc 1
		.amdhsa_reserve_flat_scratch 0
		.amdhsa_float_round_mode_32 0
		.amdhsa_float_round_mode_16_64 0
		.amdhsa_float_denorm_mode_32 3
		.amdhsa_float_denorm_mode_16_64 3
		.amdhsa_dx10_clamp 1
		.amdhsa_ieee_mode 1
		.amdhsa_fp16_overflow 0
		.amdhsa_tg_split 0
		.amdhsa_exception_fp_ieee_invalid_op 0
		.amdhsa_exception_fp_denorm_src 0
		.amdhsa_exception_fp_ieee_div_zero 0
		.amdhsa_exception_fp_ieee_overflow 0
		.amdhsa_exception_fp_ieee_underflow 0
		.amdhsa_exception_fp_ieee_inexact 0
		.amdhsa_exception_int_div_zero 0
	.end_amdhsa_kernel
	.section	.text._ZN12tensorrt_llm7kernels32fusedQKNormRopeKernelNTokenHeadsIN3c104HalfENS2_8BFloat16ELi256ELb0ELi4EEEvPviiifPKvS7_S7_PKlii,"axG",@progbits,_ZN12tensorrt_llm7kernels32fusedQKNormRopeKernelNTokenHeadsIN3c104HalfENS2_8BFloat16ELi256ELb0ELi4EEEvPviiifPKvS7_S7_PKlii,comdat
.Lfunc_end65:
	.size	_ZN12tensorrt_llm7kernels32fusedQKNormRopeKernelNTokenHeadsIN3c104HalfENS2_8BFloat16ELi256ELb0ELi4EEEvPviiifPKvS7_S7_PKlii, .Lfunc_end65-_ZN12tensorrt_llm7kernels32fusedQKNormRopeKernelNTokenHeadsIN3c104HalfENS2_8BFloat16ELi256ELb0ELi4EEEvPviiifPKvS7_S7_PKlii
                                        ; -- End function
	.section	.AMDGPU.csdata,"",@progbits
; Kernel info:
; codeLenInByte = 2724
; NumSgprs: 28
; NumVgprs: 61
; NumAgprs: 0
; TotalNumVgprs: 61
; ScratchSize: 0
; MemoryBound: 0
; FloatMode: 240
; IeeeMode: 1
; LDSByteSize: 0 bytes/workgroup (compile time only)
; SGPRBlocks: 3
; VGPRBlocks: 7
; NumSGPRsForWavesPerEU: 28
; NumVGPRsForWavesPerEU: 61
; AccumOffset: 64
; Occupancy: 8
; WaveLimiterHint : 0
; COMPUTE_PGM_RSRC2:SCRATCH_EN: 0
; COMPUTE_PGM_RSRC2:USER_SGPR: 6
; COMPUTE_PGM_RSRC2:TRAP_HANDLER: 0
; COMPUTE_PGM_RSRC2:TGID_X_EN: 1
; COMPUTE_PGM_RSRC2:TGID_Y_EN: 0
; COMPUTE_PGM_RSRC2:TGID_Z_EN: 0
; COMPUTE_PGM_RSRC2:TIDIG_COMP_CNT: 0
; COMPUTE_PGM_RSRC3_GFX90A:ACCUM_OFFSET: 15
; COMPUTE_PGM_RSRC3_GFX90A:TG_SPLIT: 0
	.section	.text._ZN12tensorrt_llm7kernels32fusedQKNormRopeKernelNTokenHeadsIN3c104HalfENS2_8BFloat16ELi64ELb1ELi8EEEvPviiifPKvS7_S7_PKlii,"axG",@progbits,_ZN12tensorrt_llm7kernels32fusedQKNormRopeKernelNTokenHeadsIN3c104HalfENS2_8BFloat16ELi64ELb1ELi8EEEvPviiifPKvS7_S7_PKlii,comdat
	.protected	_ZN12tensorrt_llm7kernels32fusedQKNormRopeKernelNTokenHeadsIN3c104HalfENS2_8BFloat16ELi64ELb1ELi8EEEvPviiifPKvS7_S7_PKlii ; -- Begin function _ZN12tensorrt_llm7kernels32fusedQKNormRopeKernelNTokenHeadsIN3c104HalfENS2_8BFloat16ELi64ELb1ELi8EEEvPviiifPKvS7_S7_PKlii
	.globl	_ZN12tensorrt_llm7kernels32fusedQKNormRopeKernelNTokenHeadsIN3c104HalfENS2_8BFloat16ELi64ELb1ELi8EEEvPviiifPKvS7_S7_PKlii
	.p2align	8
	.type	_ZN12tensorrt_llm7kernels32fusedQKNormRopeKernelNTokenHeadsIN3c104HalfENS2_8BFloat16ELi64ELb1ELi8EEEvPviiifPKvS7_S7_PKlii,@function
_ZN12tensorrt_llm7kernels32fusedQKNormRopeKernelNTokenHeadsIN3c104HalfENS2_8BFloat16ELi64ELb1ELi8EEEvPviiifPKvS7_S7_PKlii: ; @_ZN12tensorrt_llm7kernels32fusedQKNormRopeKernelNTokenHeadsIN3c104HalfENS2_8BFloat16ELi64ELb1ELi8EEEvPviiifPKvS7_S7_PKlii
; %bb.0:
	s_load_dwordx4 s[12:15], s[4:5], 0x8
	s_load_dwordx2 s[2:3], s[4:5], 0x38
	s_load_dword s0, s[4:5], 0x4c
	v_lshrrev_b32_e32 v13, 5, v0
	s_waitcnt lgkmcnt(0)
	s_add_i32 s21, s13, s12
	s_add_i32 s1, s21, 7
	s_ashr_i32 s7, s1, 31
	s_lshr_b32 s7, s7, 29
	s_add_i32 s1, s1, s7
	s_ashr_i32 s20, s1, 3
	s_abs_i32 s1, s20
	v_cvt_f32_u32_e32 v1, s1
	s_bfe_u32 s0, s0, 0xb0005
	s_mul_i32 s6, s6, s0
	v_add_u32_e32 v9, s6, v13
	v_rcp_iflag_f32_e32 v1, v1
	s_sub_i32 s6, 0, s1
	v_sub_u32_e32 v2, 0, v9
	v_max_i32_e32 v2, v9, v2
	v_mul_f32_e32 v1, 0x4f7ffffe, v1
	v_cvt_u32_f32_e32 v1, v1
	v_xor_b32_e32 v3, s20, v9
	v_ashrrev_i32_e32 v3, 31, v3
	v_mul_lo_u32 v4, s6, v1
	v_mul_hi_u32 v4, v1, v4
	v_add_u32_e32 v1, v1, v4
	v_mul_hi_u32 v1, v2, v1
	v_mul_lo_u32 v4, v1, s1
	v_sub_u32_e32 v2, v2, v4
	v_add_u32_e32 v4, 1, v1
	v_cmp_le_u32_e32 vcc, s1, v2
	v_cndmask_b32_e32 v1, v1, v4, vcc
	v_subrev_u32_e32 v4, s1, v2
	v_cndmask_b32_e32 v2, v2, v4, vcc
	v_add_u32_e32 v4, 1, v1
	v_cmp_le_u32_e32 vcc, s1, v2
	v_cndmask_b32_e32 v1, v1, v4, vcc
	v_xor_b32_e32 v1, v1, v3
	v_sub_u32_e32 v2, v1, v3
	v_cmp_gt_i32_e32 vcc, s2, v2
	s_and_saveexec_b64 s[6:7], vcc
	s_cbranch_execz .LBB66_17
; %bb.1:
	v_and_b32_e32 v10, 31, v0
	v_mul_lo_u32 v0, v2, s20
	v_sub_u32_e32 v0, v9, v0
	s_load_dwordx2 s[16:17], s[4:5], 0x0
	v_lshlrev_b32_e32 v0, 3, v0
	v_add_u32_e32 v1, 8, v0
	v_sub_u32_e32 v3, s21, v0
	v_cmp_lt_i32_e32 vcc, s21, v1
	v_cndmask_b32_e32 v8, 8, v3, vcc
	s_lshl_b32 s18, s3, 1
	s_mul_i32 s2, s18, s0
	v_lshlrev_b32_e32 v12, 10, v13
	v_cmp_lt_i32_e64 s[0:1], 0, v8
	v_lshlrev_b32_e32 v4, 1, v10
	v_lshlrev_b32_e32 v11, 2, v10
	s_and_saveexec_b64 s[6:7], s[0:1]
	s_cbranch_execz .LBB66_9
; %bb.2:
	s_mov_b32 s19, 1
	v_cmp_ne_u32_e32 vcc, 1, v8
	s_mov_b64 s[10:11], -1
	v_mov_b32_e32 v1, 0
	s_and_saveexec_b64 s[8:9], vcc
	s_cbranch_execz .LBB66_6
; %bb.3:
	s_add_i32 s21, s21, s14
	s_add_i32 s10, s2, 0
	v_mul_lo_u32 v6, v2, s21
	s_mov_b32 s22, 0
	v_add3_u32 v7, s10, v12, v11
	v_mov_b32_e32 v1, v0
	s_mov_b32 s21, s12
	s_mov_b32 s23, s12
	v_mov_b32_e32 v3, v6
	v_mov_b32_e32 v5, v4
	v_and_b32_e32 v14, 0x7ffffffe, v8
	s_mov_b64 s[10:11], 0
	v_mov_b32_e32 v15, s12
	v_mov_b32_e32 v16, s12
	s_waitcnt lgkmcnt(0)
	v_mov_b32_e32 v17, s17
.LBB66_4:                               ; =>This Inner Loop Header: Depth=1
	v_add_u32_e32 v19, s19, v1
	v_add_u32_e32 v18, s22, v0
	v_cmp_le_i32_e32 vcc, s23, v19
	v_cndmask_b32_e32 v20, 0, v15, vcc
	v_cmp_le_i32_e32 vcc, s21, v18
	v_cndmask_b32_e32 v21, 0, v16, vcc
	v_sub_u32_e32 v18, v18, v21
	v_sub_u32_e32 v19, v19, v20
	v_add3_u32 v18, v6, v21, v18
	v_add3_u32 v19, v3, v20, v19
	v_lshl_or_b32 v18, v18, 6, v4
	v_lshl_or_b32 v20, v19, 6, v5
	v_ashrrev_i32_e32 v19, 31, v18
	v_lshlrev_b64 v[18:19], 1, v[18:19]
	v_ashrrev_i32_e32 v21, 31, v20
	v_add_co_u32_e32 v18, vcc, s16, v18
	v_lshlrev_b64 v[20:21], 1, v[20:21]
	v_addc_co_u32_e32 v19, vcc, v17, v19, vcc
	v_add_co_u32_e32 v20, vcc, s16, v20
	v_addc_co_u32_e32 v21, vcc, v17, v21, vcc
	global_load_dword v22, v[18:19], off
	global_load_dword v23, v[20:21], off
	v_add_u32_e32 v14, -2, v14
	v_lshl_add_u32 v18, s22, 7, v7
	v_lshl_add_u32 v19, s19, 7, v7
	s_add_i32 s22, s22, 2
	s_add_i32 s19, s19, 2
	v_cmp_eq_u32_e32 vcc, 0, v14
	s_or_b64 s[10:11], vcc, s[10:11]
	s_waitcnt vmcnt(1)
	ds_write_b32 v18, v22
	s_waitcnt vmcnt(0)
	ds_write_b32 v19, v23
	s_andn2_b64 exec, exec, s[10:11]
	s_cbranch_execnz .LBB66_4
; %bb.5:
	s_or_b64 exec, exec, s[10:11]
	v_and_b32_e32 v1, 0x7ffffffe, v8
	v_cmp_ne_u32_e32 vcc, v8, v1
	s_orn2_b64 s[10:11], vcc, exec
.LBB66_6:
	s_or_b64 exec, exec, s[8:9]
	s_and_b64 exec, exec, s[10:11]
	s_cbranch_execz .LBB66_9
; %bb.7:
	s_add_i32 s8, s14, s13
	s_add_i32 s8, s8, s12
	s_lshl_b32 s9, s20, 3
	s_sub_i32 s8, s8, s9
	v_mul_lo_u32 v3, s8, v2
	v_lshlrev_b32_e32 v5, 3, v9
	v_add3_u32 v3, v1, v3, v5
	v_lshl_or_b32 v6, v3, 6, v4
	v_lshlrev_b32_e32 v3, 7, v1
	v_add3_u32 v3, s2, v12, v3
	v_add3_u32 v3, v3, v11, 0
	s_mov_b64 s[8:9], 0
	s_waitcnt lgkmcnt(0)
	v_mov_b32_e32 v5, s17
.LBB66_8:                               ; =>This Inner Loop Header: Depth=1
	v_ashrrev_i32_e32 v7, 31, v6
	v_lshlrev_b64 v[14:15], 1, v[6:7]
	v_add_co_u32_e32 v14, vcc, s16, v14
	v_addc_co_u32_e32 v15, vcc, v5, v15, vcc
	global_load_dword v7, v[14:15], off
	v_add_u32_e32 v1, 1, v1
	v_cmp_ge_i32_e32 vcc, v1, v8
	v_add_u32_e32 v6, 64, v6
	s_or_b64 s[8:9], vcc, s[8:9]
	s_waitcnt vmcnt(0)
	ds_write_b32 v3, v7
	v_add_u32_e32 v3, 0x80, v3
	s_andn2_b64 exec, exec, s[8:9]
	s_cbranch_execnz .LBB66_8
.LBB66_9:
	s_or_b64 exec, exec, s[6:7]
	s_add_i32 s18, s18, 15
	s_load_dwordx8 s[4:11], s[4:5], 0x18
	s_ashr_i32 s19, s18, 31
	s_lshr_b32 s19, s19, 28
	s_add_i32 s18, s18, s19
	s_ashr_i32 s21, s18, 4
	v_mul_lo_u32 v1, v13, s3
	v_cmp_gt_i32_e32 vcc, s21, v10
	v_lshlrev_b32_e32 v5, 1, v1
	s_and_saveexec_b64 s[18:19], vcc
	s_cbranch_execz .LBB66_12
; %bb.10:
	v_ashrrev_i32_e32 v3, 31, v2
	v_lshlrev_b64 v[6:7], 3, v[2:3]
	s_waitcnt lgkmcnt(0)
	v_mov_b32_e32 v1, s11
	v_add_co_u32_e32 v6, vcc, s10, v6
	v_addc_co_u32_e32 v7, vcc, v1, v7, vcc
	global_load_dwordx2 v[6:7], v[6:7], off
	s_ashr_i32 s22, s3, 31
	v_lshlrev_b32_e32 v3, 4, v10
	v_add3_u32 v1, v5, v3, 0
	v_mov_b32_e32 v13, s9
	s_mov_b64 s[10:11], 0
	s_waitcnt vmcnt(0)
	v_mul_lo_u32 v14, v7, s3
	v_mul_lo_u32 v15, v6, s22
	v_mad_u64_u32 v[6:7], s[22:23], v6, s3, 0
	v_add3_u32 v7, v7, v15, v14
	v_lshlrev_b64 v[6:7], 1, v[6:7]
	v_add_co_u32_e32 v3, vcc, v6, v3
	v_addc_co_u32_e32 v7, vcc, 0, v7, vcc
	v_add_co_u32_e32 v6, vcc, s8, v3
	v_addc_co_u32_e32 v7, vcc, v13, v7, vcc
	v_mov_b32_e32 v3, v10
.LBB66_11:                              ; =>This Inner Loop Header: Depth=1
	global_load_dwordx4 v[14:17], v[6:7], off
	v_add_co_u32_e32 v6, vcc, 0x200, v6
	v_add_u32_e32 v3, 32, v3
	v_addc_co_u32_e32 v7, vcc, 0, v7, vcc
	v_cmp_le_i32_e32 vcc, s21, v3
	s_or_b64 s[10:11], vcc, s[10:11]
	s_waitcnt vmcnt(0)
	ds_write_b128 v1, v[14:17]
	v_add_u32_e32 v1, 0x200, v1
	s_andn2_b64 exec, exec, s[10:11]
	s_cbranch_execnz .LBB66_11
.LBB66_12:
	s_or_b64 exec, exec, s[18:19]
	s_and_b64 exec, exec, s[0:1]
	s_cbranch_execz .LBB66_17
; %bb.13:
	s_waitcnt lgkmcnt(0)
	global_load_dword v1, v11, s[4:5]
	global_load_dword v6, v11, s[6:7]
	v_mbcnt_lo_u32_b32 v3, -1, 0
	s_lshr_b32 s0, s3, 31
	s_add_i32 s1, s14, s13
	v_add_u32_e32 v12, s2, v12
	v_mbcnt_hi_u32_b32 v3, -1, v3
	s_lshl_b32 s8, s20, 3
	s_add_i32 s0, s3, s0
	s_add_i32 s1, s1, s12
	v_add3_u32 v11, v12, v11, 0
	v_and_b32_e32 v12, 0x60, v3
	v_add3_u32 v7, 0, v5, v4
	s_ashr_i32 s2, s0, 1
	s_and_b32 s0, s0, -2
	v_xor_b32_e32 v13, 16, v3
	s_sub_i32 s1, s1, s8
	v_add_u32_e32 v12, 32, v12
	v_xor_b32_e32 v14, 8, v3
	v_cmp_gt_i32_e32 vcc, s2, v10
	v_add_u32_e32 v10, s0, v7
	v_mul_lo_u32 v2, s1, v2
	v_cmp_lt_i32_e64 s[0:1], v13, v12
	v_xor_b32_e32 v15, 4, v3
	v_cndmask_b32_e64 v13, v3, v13, s[0:1]
	v_cmp_lt_i32_e64 s[0:1], v14, v12
	v_xor_b32_e32 v16, 2, v3
	v_cndmask_b32_e64 v14, v3, v14, s[0:1]
	;; [unrolled: 3-line block ×3, first 2 shown]
	v_cmp_lt_i32_e64 s[0:1], v16, v12
	v_lshlrev_b32_e32 v5, 9, v9
	v_cndmask_b32_e64 v16, v3, v16, s[0:1]
	v_cmp_lt_i32_e64 s[0:1], v17, v12
	v_cndmask_b32_e64 v3, v3, v17, s[0:1]
	v_lshl_add_u32 v2, v2, 6, v5
	s_mov_b32 s6, 0
	s_mov_b64 s[4:5], 0
	v_mov_b32_e32 v9, s15
	s_mov_b32 s7, 0x800000
	v_lshlrev_b32_e32 v12, 2, v13
	v_lshlrev_b32_e32 v13, 2, v14
	;; [unrolled: 1-line block ×5, first 2 shown]
	v_or_b32_e32 v2, v2, v4
	v_mov_b32_e32 v19, s17
	s_waitcnt vmcnt(1)
	v_lshrrev_b32_e32 v17, 16, v1
	s_waitcnt vmcnt(0)
	v_lshrrev_b32_e32 v18, 16, v6
	s_branch .LBB66_15
.LBB66_14:                              ;   in Loop: Header=BB66_15 Depth=1
	s_or_b64 exec, exec, s[0:1]
	v_ashrrev_i32_e32 v3, 31, v2
	v_cvt_f16_f32_e32 v20, v4
	v_cvt_f16_f32_e32 v21, v5
	v_lshlrev_b64 v[4:5], 1, v[2:3]
	v_add_co_u32_e64 v4, s[0:1], s16, v4
	v_addc_co_u32_e64 v5, s[0:1], v19, v5, s[0:1]
	s_add_i32 s6, s6, 1
	v_cmp_ge_i32_e64 s[0:1], s6, v8
	v_pack_b32_f16 v3, v20, v21
	v_add_u32_e32 v2, 64, v2
	s_or_b64 s[4:5], s[0:1], s[4:5]
	v_add_u32_e32 v11, 0x80, v11
	global_store_dword v[4:5], v3, off
	s_andn2_b64 exec, exec, s[4:5]
	s_cbranch_execz .LBB66_17
.LBB66_15:                              ; =>This Inner Loop Header: Depth=1
	ds_read_b32 v3, v11
	v_mov_b32_e32 v22, v9
	s_waitcnt lgkmcnt(0)
	v_cvt_f32_f16_sdwa v5, v3 dst_sel:DWORD dst_unused:UNUSED_PAD src0_sel:WORD_1
	v_cvt_f32_f16_e32 v4, v3
	v_pk_mul_f32 v[20:21], v[4:5], v[4:5]
	v_add_f32_e32 v3, v21, v20
	ds_bpermute_b32 v20, v12, v3
	v_add_u32_e32 v21, s6, v0
	v_cmp_gt_i32_e64 s[0:1], s12, v21
	v_cndmask_b32_e64 v21, v18, v17, s[0:1]
	v_cvt_f32_f16_e32 v21, v21
	s_waitcnt lgkmcnt(0)
	v_add_f32_e32 v3, v3, v20
	ds_bpermute_b32 v20, v13, v3
	s_waitcnt lgkmcnt(0)
	v_add_f32_e32 v3, v3, v20
	ds_bpermute_b32 v20, v14, v3
	;; [unrolled: 3-line block ×4, first 2 shown]
	s_waitcnt lgkmcnt(0)
	v_add_f32_e32 v3, v3, v20
	v_fmac_f32_e32 v22, 0x3c800000, v3
	v_mul_f32_e32 v3, 0x4b800000, v22
	v_cmp_gt_f32_e64 s[2:3], s7, v22
	v_cndmask_b32_e64 v3, v22, v3, s[2:3]
	v_rsq_f32_e32 v3, v3
	v_cndmask_b32_e64 v20, v6, v1, s[0:1]
	v_cvt_f32_f16_e32 v20, v20
	v_mul_f32_e32 v22, 0x45800000, v3
	v_cndmask_b32_e64 v22, v3, v22, s[2:3]
	v_pk_mul_f32 v[20:21], v[22:23], v[20:21] op_sel_hi:[0,1]
	v_pk_mul_f32 v[4:5], v[20:21], v[4:5]
	s_and_saveexec_b64 s[0:1], vcc
	s_cbranch_execz .LBB66_14
; %bb.16:                               ;   in Loop: Header=BB66_15 Depth=1
	ds_read_u16 v3, v7
	ds_read_u16 v20, v10
	s_waitcnt lgkmcnt(1)
	v_lshlrev_b32_e32 v21, 16, v3
	s_waitcnt lgkmcnt(0)
	v_lshlrev_b32_e32 v20, 16, v20
	v_pk_mul_f32 v[22:23], v[4:5], v[20:21]
	v_mov_b32_e32 v3, v22
	v_mul_f32_e32 v24, v4, v21
	v_pk_fma_f32 v[22:23], v[4:5], v[20:21], v[2:3]
	v_fma_f32 v4, -v5, v20, v24
	v_mov_b32_e32 v5, v23
	s_branch .LBB66_14
.LBB66_17:
	s_endpgm
	.section	.rodata,"a",@progbits
	.p2align	6, 0x0
	.amdhsa_kernel _ZN12tensorrt_llm7kernels32fusedQKNormRopeKernelNTokenHeadsIN3c104HalfENS2_8BFloat16ELi64ELb1ELi8EEEvPviiifPKvS7_S7_PKlii
		.amdhsa_group_segment_fixed_size 0
		.amdhsa_private_segment_fixed_size 0
		.amdhsa_kernarg_size 320
		.amdhsa_user_sgpr_count 6
		.amdhsa_user_sgpr_private_segment_buffer 1
		.amdhsa_user_sgpr_dispatch_ptr 0
		.amdhsa_user_sgpr_queue_ptr 0
		.amdhsa_user_sgpr_kernarg_segment_ptr 1
		.amdhsa_user_sgpr_dispatch_id 0
		.amdhsa_user_sgpr_flat_scratch_init 0
		.amdhsa_user_sgpr_kernarg_preload_length 0
		.amdhsa_user_sgpr_kernarg_preload_offset 0
		.amdhsa_user_sgpr_private_segment_size 0
		.amdhsa_uses_dynamic_stack 0
		.amdhsa_system_sgpr_private_segment_wavefront_offset 0
		.amdhsa_system_sgpr_workgroup_id_x 1
		.amdhsa_system_sgpr_workgroup_id_y 0
		.amdhsa_system_sgpr_workgroup_id_z 0
		.amdhsa_system_sgpr_workgroup_info 0
		.amdhsa_system_vgpr_workitem_id 0
		.amdhsa_next_free_vgpr 25
		.amdhsa_next_free_sgpr 24
		.amdhsa_accum_offset 28
		.amdhsa_reserve_vcc 1
		.amdhsa_reserve_flat_scratch 0
		.amdhsa_float_round_mode_32 0
		.amdhsa_float_round_mode_16_64 0
		.amdhsa_float_denorm_mode_32 3
		.amdhsa_float_denorm_mode_16_64 3
		.amdhsa_dx10_clamp 1
		.amdhsa_ieee_mode 1
		.amdhsa_fp16_overflow 0
		.amdhsa_tg_split 0
		.amdhsa_exception_fp_ieee_invalid_op 0
		.amdhsa_exception_fp_denorm_src 0
		.amdhsa_exception_fp_ieee_div_zero 0
		.amdhsa_exception_fp_ieee_overflow 0
		.amdhsa_exception_fp_ieee_underflow 0
		.amdhsa_exception_fp_ieee_inexact 0
		.amdhsa_exception_int_div_zero 0
	.end_amdhsa_kernel
	.section	.text._ZN12tensorrt_llm7kernels32fusedQKNormRopeKernelNTokenHeadsIN3c104HalfENS2_8BFloat16ELi64ELb1ELi8EEEvPviiifPKvS7_S7_PKlii,"axG",@progbits,_ZN12tensorrt_llm7kernels32fusedQKNormRopeKernelNTokenHeadsIN3c104HalfENS2_8BFloat16ELi64ELb1ELi8EEEvPviiifPKvS7_S7_PKlii,comdat
.Lfunc_end66:
	.size	_ZN12tensorrt_llm7kernels32fusedQKNormRopeKernelNTokenHeadsIN3c104HalfENS2_8BFloat16ELi64ELb1ELi8EEEvPviiifPKvS7_S7_PKlii, .Lfunc_end66-_ZN12tensorrt_llm7kernels32fusedQKNormRopeKernelNTokenHeadsIN3c104HalfENS2_8BFloat16ELi64ELb1ELi8EEEvPviiifPKvS7_S7_PKlii
                                        ; -- End function
	.section	.AMDGPU.csdata,"",@progbits
; Kernel info:
; codeLenInByte = 1704
; NumSgprs: 28
; NumVgprs: 25
; NumAgprs: 0
; TotalNumVgprs: 25
; ScratchSize: 0
; MemoryBound: 0
; FloatMode: 240
; IeeeMode: 1
; LDSByteSize: 0 bytes/workgroup (compile time only)
; SGPRBlocks: 3
; VGPRBlocks: 3
; NumSGPRsForWavesPerEU: 28
; NumVGPRsForWavesPerEU: 25
; AccumOffset: 28
; Occupancy: 8
; WaveLimiterHint : 0
; COMPUTE_PGM_RSRC2:SCRATCH_EN: 0
; COMPUTE_PGM_RSRC2:USER_SGPR: 6
; COMPUTE_PGM_RSRC2:TRAP_HANDLER: 0
; COMPUTE_PGM_RSRC2:TGID_X_EN: 1
; COMPUTE_PGM_RSRC2:TGID_Y_EN: 0
; COMPUTE_PGM_RSRC2:TGID_Z_EN: 0
; COMPUTE_PGM_RSRC2:TIDIG_COMP_CNT: 0
; COMPUTE_PGM_RSRC3_GFX90A:ACCUM_OFFSET: 6
; COMPUTE_PGM_RSRC3_GFX90A:TG_SPLIT: 0
	.section	.text._ZN12tensorrt_llm7kernels32fusedQKNormRopeKernelNTokenHeadsIN3c104HalfENS2_8BFloat16ELi64ELb0ELi8EEEvPviiifPKvS7_S7_PKlii,"axG",@progbits,_ZN12tensorrt_llm7kernels32fusedQKNormRopeKernelNTokenHeadsIN3c104HalfENS2_8BFloat16ELi64ELb0ELi8EEEvPviiifPKvS7_S7_PKlii,comdat
	.protected	_ZN12tensorrt_llm7kernels32fusedQKNormRopeKernelNTokenHeadsIN3c104HalfENS2_8BFloat16ELi64ELb0ELi8EEEvPviiifPKvS7_S7_PKlii ; -- Begin function _ZN12tensorrt_llm7kernels32fusedQKNormRopeKernelNTokenHeadsIN3c104HalfENS2_8BFloat16ELi64ELb0ELi8EEEvPviiifPKvS7_S7_PKlii
	.globl	_ZN12tensorrt_llm7kernels32fusedQKNormRopeKernelNTokenHeadsIN3c104HalfENS2_8BFloat16ELi64ELb0ELi8EEEvPviiifPKvS7_S7_PKlii
	.p2align	8
	.type	_ZN12tensorrt_llm7kernels32fusedQKNormRopeKernelNTokenHeadsIN3c104HalfENS2_8BFloat16ELi64ELb0ELi8EEEvPviiifPKvS7_S7_PKlii,@function
_ZN12tensorrt_llm7kernels32fusedQKNormRopeKernelNTokenHeadsIN3c104HalfENS2_8BFloat16ELi64ELb0ELi8EEEvPviiifPKvS7_S7_PKlii: ; @_ZN12tensorrt_llm7kernels32fusedQKNormRopeKernelNTokenHeadsIN3c104HalfENS2_8BFloat16ELi64ELb0ELi8EEEvPviiifPKvS7_S7_PKlii
; %bb.0:
	s_load_dwordx4 s[12:15], s[4:5], 0x8
	s_load_dwordx2 s[2:3], s[4:5], 0x38
	s_load_dword s0, s[4:5], 0x4c
	v_lshrrev_b32_e32 v12, 5, v0
	s_waitcnt lgkmcnt(0)
	s_add_i32 s19, s13, s12
	s_add_i32 s1, s19, 7
	s_ashr_i32 s7, s1, 31
	s_lshr_b32 s7, s7, 29
	s_add_i32 s1, s1, s7
	s_ashr_i32 s21, s1, 3
	s_abs_i32 s1, s21
	v_cvt_f32_u32_e32 v1, s1
	s_bfe_u32 s0, s0, 0xb0005
	s_mul_i32 s6, s6, s0
	v_add_u32_e32 v8, s6, v12
	v_rcp_iflag_f32_e32 v1, v1
	s_sub_i32 s6, 0, s1
	v_sub_u32_e32 v2, 0, v8
	v_max_i32_e32 v2, v8, v2
	v_mul_f32_e32 v1, 0x4f7ffffe, v1
	v_cvt_u32_f32_e32 v1, v1
	v_xor_b32_e32 v3, s21, v8
	v_ashrrev_i32_e32 v3, 31, v3
	v_mul_lo_u32 v4, s6, v1
	v_mul_hi_u32 v4, v1, v4
	v_add_u32_e32 v1, v1, v4
	v_mul_hi_u32 v1, v2, v1
	v_mul_lo_u32 v4, v1, s1
	v_sub_u32_e32 v2, v2, v4
	v_add_u32_e32 v4, 1, v1
	v_cmp_le_u32_e32 vcc, s1, v2
	v_cndmask_b32_e32 v1, v1, v4, vcc
	v_subrev_u32_e32 v4, s1, v2
	v_cndmask_b32_e32 v2, v2, v4, vcc
	v_add_u32_e32 v4, 1, v1
	v_cmp_le_u32_e32 vcc, s1, v2
	v_cndmask_b32_e32 v1, v1, v4, vcc
	v_xor_b32_e32 v1, v1, v3
	v_sub_u32_e32 v2, v1, v3
	v_cmp_gt_i32_e32 vcc, s2, v2
	s_and_saveexec_b64 s[6:7], vcc
	s_cbranch_execz .LBB67_17
; %bb.1:
	v_and_b32_e32 v9, 31, v0
	v_mul_lo_u32 v0, v2, s21
	v_sub_u32_e32 v0, v8, v0
	s_load_dwordx2 s[16:17], s[4:5], 0x0
	v_lshlrev_b32_e32 v0, 3, v0
	v_add_u32_e32 v1, 8, v0
	v_sub_u32_e32 v3, s19, v0
	v_cmp_lt_i32_e32 vcc, s19, v1
	v_cndmask_b32_e32 v7, 8, v3, vcc
	s_lshl_b32 s2, s3, 1
	s_mul_i32 s20, s2, s0
	v_lshlrev_b32_e32 v10, 10, v12
	v_cmp_lt_i32_e64 s[0:1], 0, v7
	v_lshlrev_b32_e32 v11, 2, v9
	s_and_saveexec_b64 s[6:7], s[0:1]
	s_cbranch_execz .LBB67_9
; %bb.2:
	s_mov_b32 s18, 1
	v_lshlrev_b32_e32 v4, 1, v9
	v_cmp_ne_u32_e32 vcc, 1, v7
	s_mov_b64 s[10:11], -1
	v_mov_b32_e32 v1, 0
	s_and_saveexec_b64 s[8:9], vcc
	s_cbranch_execz .LBB67_6
; %bb.3:
	s_add_i32 s19, s19, s14
	s_add_i32 s10, s20, 0
	v_mul_lo_u32 v6, v2, s19
	s_mov_b32 s22, 0
	v_add3_u32 v13, s10, v10, v11
	v_mov_b32_e32 v1, v0
	s_mov_b32 s19, s12
	s_mov_b32 s23, s12
	v_mov_b32_e32 v3, v6
	v_mov_b32_e32 v5, v4
	v_and_b32_e32 v14, 0x7ffffffe, v7
	s_mov_b64 s[10:11], 0
	v_mov_b32_e32 v15, s12
	v_mov_b32_e32 v16, s12
	s_waitcnt lgkmcnt(0)
	v_mov_b32_e32 v17, s17
.LBB67_4:                               ; =>This Inner Loop Header: Depth=1
	v_add_u32_e32 v19, s18, v1
	v_add_u32_e32 v18, s22, v0
	v_cmp_le_i32_e32 vcc, s23, v19
	v_cndmask_b32_e32 v20, 0, v15, vcc
	v_cmp_le_i32_e32 vcc, s19, v18
	v_cndmask_b32_e32 v21, 0, v16, vcc
	v_sub_u32_e32 v18, v18, v21
	v_sub_u32_e32 v19, v19, v20
	v_add3_u32 v18, v6, v21, v18
	v_add3_u32 v19, v3, v20, v19
	v_lshl_or_b32 v18, v18, 6, v4
	v_lshl_or_b32 v20, v19, 6, v5
	v_ashrrev_i32_e32 v19, 31, v18
	v_lshlrev_b64 v[18:19], 1, v[18:19]
	v_ashrrev_i32_e32 v21, 31, v20
	v_add_co_u32_e32 v18, vcc, s16, v18
	v_lshlrev_b64 v[20:21], 1, v[20:21]
	v_addc_co_u32_e32 v19, vcc, v17, v19, vcc
	v_add_co_u32_e32 v20, vcc, s16, v20
	v_addc_co_u32_e32 v21, vcc, v17, v21, vcc
	global_load_dword v22, v[18:19], off
	global_load_dword v23, v[20:21], off
	v_add_u32_e32 v14, -2, v14
	v_lshl_add_u32 v18, s22, 7, v13
	v_lshl_add_u32 v19, s18, 7, v13
	s_add_i32 s22, s22, 2
	s_add_i32 s18, s18, 2
	v_cmp_eq_u32_e32 vcc, 0, v14
	s_or_b64 s[10:11], vcc, s[10:11]
	s_waitcnt vmcnt(1)
	ds_write_b32 v18, v22
	s_waitcnt vmcnt(0)
	ds_write_b32 v19, v23
	s_andn2_b64 exec, exec, s[10:11]
	s_cbranch_execnz .LBB67_4
; %bb.5:
	s_or_b64 exec, exec, s[10:11]
	v_and_b32_e32 v1, 0x7ffffffe, v7
	v_cmp_ne_u32_e32 vcc, v7, v1
	s_orn2_b64 s[10:11], vcc, exec
.LBB67_6:
	s_or_b64 exec, exec, s[8:9]
	s_and_b64 exec, exec, s[10:11]
	s_cbranch_execz .LBB67_9
; %bb.7:
	s_add_i32 s8, s14, s13
	s_add_i32 s8, s8, s12
	s_lshl_b32 s9, s21, 3
	s_sub_i32 s8, s8, s9
	v_mul_lo_u32 v3, s8, v2
	v_lshlrev_b32_e32 v5, 3, v8
	v_add3_u32 v3, v1, v3, v5
	v_lshl_or_b32 v4, v3, 6, v4
	v_lshlrev_b32_e32 v3, 7, v1
	v_add3_u32 v3, s20, v10, v3
	v_add3_u32 v3, v3, v11, 0
	s_mov_b64 s[8:9], 0
	s_waitcnt lgkmcnt(0)
	v_mov_b32_e32 v6, s17
.LBB67_8:                               ; =>This Inner Loop Header: Depth=1
	v_ashrrev_i32_e32 v5, 31, v4
	v_lshlrev_b64 v[14:15], 1, v[4:5]
	v_add_co_u32_e32 v14, vcc, s16, v14
	v_addc_co_u32_e32 v15, vcc, v6, v15, vcc
	global_load_dword v5, v[14:15], off
	v_add_u32_e32 v1, 1, v1
	v_cmp_ge_i32_e32 vcc, v1, v7
	v_add_u32_e32 v4, 64, v4
	s_or_b64 s[8:9], vcc, s[8:9]
	s_waitcnt vmcnt(0)
	ds_write_b32 v3, v5
	v_add_u32_e32 v3, 0x80, v3
	s_andn2_b64 exec, exec, s[8:9]
	s_cbranch_execnz .LBB67_8
.LBB67_9:
	s_or_b64 exec, exec, s[6:7]
	s_add_i32 s2, s2, 15
	s_load_dwordx8 s[4:11], s[4:5], 0x18
	s_ashr_i32 s18, s2, 31
	s_lshr_b32 s18, s18, 28
	s_add_i32 s2, s2, s18
	s_ashr_i32 s2, s2, 4
	v_cmp_gt_i32_e32 vcc, s2, v9
	v_mul_lo_u32 v6, v12, s3
	s_and_saveexec_b64 s[18:19], vcc
	s_cbranch_execz .LBB67_12
; %bb.10:
	v_ashrrev_i32_e32 v3, 31, v2
	v_lshlrev_b64 v[4:5], 3, v[2:3]
	s_waitcnt lgkmcnt(0)
	v_mov_b32_e32 v1, s11
	v_add_co_u32_e32 v4, vcc, s10, v4
	v_addc_co_u32_e32 v5, vcc, v1, v5, vcc
	global_load_dwordx2 v[4:5], v[4:5], off
	s_ashr_i32 s22, s3, 31
	v_lshlrev_b32_e32 v1, 1, v6
	v_lshlrev_b32_e32 v3, 4, v9
	v_add3_u32 v1, v1, v3, 0
	v_mov_b32_e32 v12, s9
	s_mov_b64 s[10:11], 0
	s_waitcnt vmcnt(0)
	v_mul_lo_u32 v13, v5, s3
	v_mul_lo_u32 v14, v4, s22
	v_mad_u64_u32 v[4:5], s[22:23], v4, s3, 0
	v_add3_u32 v5, v5, v14, v13
	v_lshlrev_b64 v[4:5], 1, v[4:5]
	v_add_co_u32_e32 v3, vcc, v4, v3
	v_addc_co_u32_e32 v5, vcc, 0, v5, vcc
	v_add_co_u32_e32 v4, vcc, s8, v3
	v_addc_co_u32_e32 v5, vcc, v12, v5, vcc
	v_mov_b32_e32 v3, v9
.LBB67_11:                              ; =>This Inner Loop Header: Depth=1
	global_load_dwordx4 v[12:15], v[4:5], off
	v_add_co_u32_e32 v4, vcc, 0x200, v4
	v_add_u32_e32 v3, 32, v3
	v_addc_co_u32_e32 v5, vcc, 0, v5, vcc
	v_cmp_le_i32_e32 vcc, s2, v3
	s_or_b64 s[10:11], vcc, s[10:11]
	s_waitcnt vmcnt(0)
	ds_write_b128 v1, v[12:15]
	v_add_u32_e32 v1, 0x200, v1
	s_andn2_b64 exec, exec, s[10:11]
	s_cbranch_execnz .LBB67_11
.LBB67_12:
	s_or_b64 exec, exec, s[18:19]
	s_and_b64 exec, exec, s[0:1]
	s_cbranch_execz .LBB67_17
; %bb.13:
	s_waitcnt lgkmcnt(0)
	global_load_dword v1, v11, s[4:5]
	global_load_dword v4, v11, s[6:7]
	v_mbcnt_lo_u32_b32 v5, -1, 0
	s_abs_i32 s4, s3
	s_lshr_b32 s0, s3, 31
	v_mbcnt_hi_u32_b32 v15, -1, v5
	v_cvt_f32_u32_e32 v12, s4
	s_add_i32 s1, s14, s13
	s_add_i32 s0, s3, s0
	v_and_b32_e32 v5, 0x60, v15
	v_lshl_add_u32 v3, v6, 1, 0
	s_add_i32 s7, s1, s12
	s_ashr_i32 s1, s0, 1
	s_and_b32 s0, s0, -2
	v_xor_b32_e32 v6, 16, v15
	v_add_u32_e32 v5, 32, v5
	v_xor_b32_e32 v13, 8, v15
	v_add_u32_e32 v20, s0, v3
	v_cmp_gt_i32_e32 vcc, s1, v9
	s_lshr_b32 s2, s1, 1
	v_cmp_lt_i32_e64 s[0:1], v6, v5
	v_xor_b32_e32 v14, 4, v15
	v_cndmask_b32_e64 v6, v15, v6, s[0:1]
	v_cmp_lt_i32_e64 s[0:1], v13, v5
	v_rcp_iflag_f32_e32 v22, v12
	v_xor_b32_e32 v17, 2, v15
	v_cndmask_b32_e64 v13, v15, v13, s[0:1]
	v_cmp_lt_i32_e64 s[0:1], v14, v5
	v_cndmask_b32_e64 v14, v15, v14, s[0:1]
	v_cmp_lt_i32_e64 s[0:1], v17, v5
	v_xor_b32_e32 v18, 1, v15
	v_cndmask_b32_e64 v17, v15, v17, s[0:1]
	v_cmp_lt_i32_e64 s[0:1], v18, v5
	v_lshlrev_b32_e32 v5, 2, v6
	v_lshlrev_b32_e32 v6, 2, v13
	;; [unrolled: 1-line block ×3, first 2 shown]
	v_mul_f32_e32 v17, 0x4f7ffffe, v22
	v_cvt_u32_f32_e32 v17, v17
	s_sub_i32 s6, 0, s4
	v_cndmask_b32_e64 v18, v15, v18, s[0:1]
	v_lshlrev_b32_e32 v12, 2, v14
	v_lshlrev_b32_e32 v14, 2, v18
	v_mul_lo_u32 v18, s6, v17
	v_mul_hi_u32 v18, v17, v18
	v_add_u32_e32 v17, v17, v18
	v_or_b32_e32 v16, 2, v11
	v_and_b32_e32 v19, 64, v15
	v_mul_hi_u32 v18, v11, v17
	v_add_u32_e32 v19, 64, v19
	v_xor_b32_e32 v21, s2, v15
	v_mul_hi_u32 v17, v16, v17
	v_mul_lo_u32 v18, v18, s4
	v_cmp_gt_u32_e64 s[0:1], s2, v9
	v_cmp_lt_i32_e64 s[2:3], v21, v19
	v_mul_lo_u32 v17, v17, s4
	v_sub_u32_e32 v18, v11, v18
	v_cndmask_b32_e64 v15, v15, v21, s[2:3]
	v_sub_u32_e32 v16, v16, v17
	v_subrev_u32_e32 v17, s4, v18
	v_cmp_le_u32_e64 s[2:3], s4, v18
	v_subrev_u32_e32 v19, s4, v16
	v_cndmask_b32_e64 v17, v18, v17, s[2:3]
	v_cmp_le_u32_e64 s[2:3], s4, v16
	v_cndmask_b32_e64 v16, v16, v19, s[2:3]
	v_subrev_u32_e32 v18, s4, v17
	v_cmp_le_u32_e64 s[2:3], s4, v17
	v_subrev_u32_e32 v19, s4, v16
	v_cndmask_b32_e64 v17, v17, v18, s[2:3]
	v_cmp_le_u32_e64 s[2:3], s4, v16
	s_lshl_b32 s5, s21, 3
	v_cndmask_b32_e64 v16, v16, v19, s[2:3]
	v_and_b32_e32 v17, -2, v17
	v_and_b32_e32 v19, -2, v16
	s_sub_i32 s2, s7, s5
	v_add_u32_e32 v16, v3, v17
	v_add_u32_e32 v18, v3, v19
	v_mul_lo_u32 v2, s2, v2
	v_lshlrev_b32_e32 v3, 9, v8
	v_lshl_add_u32 v2, v2, 6, v3
	v_add_u32_e32 v3, s20, v10
	s_mov_b32 s8, 0
	v_lshlrev_b32_e32 v15, 2, v15
	v_add_u32_e32 v17, v20, v17
	v_add_u32_e32 v19, v20, v19
	s_waitcnt vmcnt(1)
	v_lshrrev_b32_e32 v20, 16, v1
	s_waitcnt vmcnt(0)
	v_lshrrev_b32_e32 v21, 16, v4
	v_lshl_or_b32 v2, v9, 1, v2
	v_add3_u32 v8, v3, v11, 0
	s_mov_b64 s[6:7], 0
	v_mov_b32_e32 v9, s15
	s_mov_b32 s9, 0x800000
	v_mov_b32_e32 v10, s17
	s_branch .LBB67_15
.LBB67_14:                              ;   in Loop: Header=BB67_15 Depth=1
	s_or_b64 exec, exec, s[2:3]
	v_cvt_f16_f32_e32 v24, v3
	v_ashrrev_i32_e32 v3, 31, v2
	v_cvt_f16_f32_e32 v11, v11
	v_lshlrev_b64 v[22:23], 1, v[2:3]
	v_add_co_u32_e64 v22, s[2:3], s16, v22
	v_addc_co_u32_e64 v23, s[2:3], v10, v23, s[2:3]
	s_add_i32 s8, s8, 1
	v_cmp_ge_i32_e64 s[2:3], s8, v7
	v_pack_b32_f16 v3, v11, v24
	v_add_u32_e32 v2, 64, v2
	s_or_b64 s[6:7], s[2:3], s[6:7]
	v_add_u32_e32 v8, 0x80, v8
	global_store_dword v[22:23], v3, off
	s_andn2_b64 exec, exec, s[6:7]
	s_cbranch_execz .LBB67_17
.LBB67_15:                              ; =>This Inner Loop Header: Depth=1
	ds_read_b32 v3, v8
	s_waitcnt lgkmcnt(0)
	v_cvt_f32_f16_sdwa v22, v3 dst_sel:DWORD dst_unused:UNUSED_PAD src0_sel:WORD_1
	v_cvt_f32_f16_e32 v23, v3
	v_pk_mul_f32 v[24:25], v[22:23], v[22:23]
	v_add_f32_e32 v3, v24, v25
	ds_bpermute_b32 v11, v5, v3
	v_mov_b32_e32 v25, v9
	v_add_u32_e32 v24, s8, v0
	v_cmp_gt_i32_e64 s[2:3], s12, v24
	v_cndmask_b32_e64 v24, v4, v1, s[2:3]
	s_waitcnt lgkmcnt(0)
	v_add_f32_e32 v3, v3, v11
	ds_bpermute_b32 v11, v6, v3
	s_waitcnt lgkmcnt(0)
	v_add_f32_e32 v3, v3, v11
	ds_bpermute_b32 v11, v12, v3
	;; [unrolled: 3-line block ×4, first 2 shown]
	s_waitcnt lgkmcnt(0)
	v_add_f32_e32 v3, v3, v11
	v_fmac_f32_e32 v25, 0x3c800000, v3
	v_mul_f32_e32 v3, 0x4b800000, v25
	v_cmp_gt_f32_e64 s[4:5], s9, v25
	v_cndmask_b32_e64 v3, v25, v3, s[4:5]
	v_rsq_f32_e32 v3, v3
	v_cvt_f32_f16_e32 v11, v24
	v_cndmask_b32_e64 v24, v21, v20, s[2:3]
	v_cvt_f32_f16_e32 v24, v24
	v_mul_f32_e32 v25, 0x45800000, v3
	v_cndmask_b32_e64 v3, v3, v25, s[4:5]
	v_mul_f32_e32 v11, v3, v11
	v_mul_f32_e32 v3, v3, v24
	;; [unrolled: 1-line block ×4, first 2 shown]
	s_and_saveexec_b64 s[2:3], vcc
	s_cbranch_execz .LBB67_14
; %bb.16:                               ;   in Loop: Header=BB67_15 Depth=1
	ds_bpermute_b32 v22, v15, v11
	; wave barrier
	ds_read_u16 v23, v16
	ds_read_u16 v24, v17
	ds_bpermute_b32 v25, v15, v3
	ds_read_u16 v26, v18
	ds_read_u16 v27, v19
	s_waitcnt lgkmcnt(5)
	v_cndmask_b32_e64 v22, v22, -v22, s[0:1]
	s_waitcnt lgkmcnt(4)
	v_lshlrev_b32_e32 v23, 16, v23
	s_waitcnt lgkmcnt(3)
	v_lshlrev_b32_e32 v24, 16, v24
	v_mul_f32_e32 v22, v22, v24
	v_fmac_f32_e32 v22, v11, v23
	s_waitcnt lgkmcnt(2)
	v_cndmask_b32_e64 v11, v25, -v25, s[0:1]
	s_waitcnt lgkmcnt(0)
	v_lshlrev_b32_e32 v24, 16, v27
	v_lshlrev_b32_e32 v23, 16, v26
	v_mul_f32_e32 v24, v11, v24
	v_fmac_f32_e32 v24, v3, v23
	v_mov_b32_e32 v11, v22
	v_mov_b32_e32 v3, v24
	; wave barrier
	s_branch .LBB67_14
.LBB67_17:
	s_endpgm
	.section	.rodata,"a",@progbits
	.p2align	6, 0x0
	.amdhsa_kernel _ZN12tensorrt_llm7kernels32fusedQKNormRopeKernelNTokenHeadsIN3c104HalfENS2_8BFloat16ELi64ELb0ELi8EEEvPviiifPKvS7_S7_PKlii
		.amdhsa_group_segment_fixed_size 0
		.amdhsa_private_segment_fixed_size 0
		.amdhsa_kernarg_size 320
		.amdhsa_user_sgpr_count 6
		.amdhsa_user_sgpr_private_segment_buffer 1
		.amdhsa_user_sgpr_dispatch_ptr 0
		.amdhsa_user_sgpr_queue_ptr 0
		.amdhsa_user_sgpr_kernarg_segment_ptr 1
		.amdhsa_user_sgpr_dispatch_id 0
		.amdhsa_user_sgpr_flat_scratch_init 0
		.amdhsa_user_sgpr_kernarg_preload_length 0
		.amdhsa_user_sgpr_kernarg_preload_offset 0
		.amdhsa_user_sgpr_private_segment_size 0
		.amdhsa_uses_dynamic_stack 0
		.amdhsa_system_sgpr_private_segment_wavefront_offset 0
		.amdhsa_system_sgpr_workgroup_id_x 1
		.amdhsa_system_sgpr_workgroup_id_y 0
		.amdhsa_system_sgpr_workgroup_id_z 0
		.amdhsa_system_sgpr_workgroup_info 0
		.amdhsa_system_vgpr_workitem_id 0
		.amdhsa_next_free_vgpr 28
		.amdhsa_next_free_sgpr 24
		.amdhsa_accum_offset 28
		.amdhsa_reserve_vcc 1
		.amdhsa_reserve_flat_scratch 0
		.amdhsa_float_round_mode_32 0
		.amdhsa_float_round_mode_16_64 0
		.amdhsa_float_denorm_mode_32 3
		.amdhsa_float_denorm_mode_16_64 3
		.amdhsa_dx10_clamp 1
		.amdhsa_ieee_mode 1
		.amdhsa_fp16_overflow 0
		.amdhsa_tg_split 0
		.amdhsa_exception_fp_ieee_invalid_op 0
		.amdhsa_exception_fp_denorm_src 0
		.amdhsa_exception_fp_ieee_div_zero 0
		.amdhsa_exception_fp_ieee_overflow 0
		.amdhsa_exception_fp_ieee_underflow 0
		.amdhsa_exception_fp_ieee_inexact 0
		.amdhsa_exception_int_div_zero 0
	.end_amdhsa_kernel
	.section	.text._ZN12tensorrt_llm7kernels32fusedQKNormRopeKernelNTokenHeadsIN3c104HalfENS2_8BFloat16ELi64ELb0ELi8EEEvPviiifPKvS7_S7_PKlii,"axG",@progbits,_ZN12tensorrt_llm7kernels32fusedQKNormRopeKernelNTokenHeadsIN3c104HalfENS2_8BFloat16ELi64ELb0ELi8EEEvPviiifPKvS7_S7_PKlii,comdat
.Lfunc_end67:
	.size	_ZN12tensorrt_llm7kernels32fusedQKNormRopeKernelNTokenHeadsIN3c104HalfENS2_8BFloat16ELi64ELb0ELi8EEEvPviiifPKvS7_S7_PKlii, .Lfunc_end67-_ZN12tensorrt_llm7kernels32fusedQKNormRopeKernelNTokenHeadsIN3c104HalfENS2_8BFloat16ELi64ELb0ELi8EEEvPviiifPKvS7_S7_PKlii
                                        ; -- End function
	.section	.AMDGPU.csdata,"",@progbits
; Kernel info:
; codeLenInByte = 2004
; NumSgprs: 28
; NumVgprs: 28
; NumAgprs: 0
; TotalNumVgprs: 28
; ScratchSize: 0
; MemoryBound: 0
; FloatMode: 240
; IeeeMode: 1
; LDSByteSize: 0 bytes/workgroup (compile time only)
; SGPRBlocks: 3
; VGPRBlocks: 3
; NumSGPRsForWavesPerEU: 28
; NumVGPRsForWavesPerEU: 28
; AccumOffset: 28
; Occupancy: 8
; WaveLimiterHint : 0
; COMPUTE_PGM_RSRC2:SCRATCH_EN: 0
; COMPUTE_PGM_RSRC2:USER_SGPR: 6
; COMPUTE_PGM_RSRC2:TRAP_HANDLER: 0
; COMPUTE_PGM_RSRC2:TGID_X_EN: 1
; COMPUTE_PGM_RSRC2:TGID_Y_EN: 0
; COMPUTE_PGM_RSRC2:TGID_Z_EN: 0
; COMPUTE_PGM_RSRC2:TIDIG_COMP_CNT: 0
; COMPUTE_PGM_RSRC3_GFX90A:ACCUM_OFFSET: 6
; COMPUTE_PGM_RSRC3_GFX90A:TG_SPLIT: 0
	.section	.text._ZN12tensorrt_llm7kernels32fusedQKNormRopeKernelNTokenHeadsIN3c104HalfENS2_8BFloat16ELi128ELb1ELi8EEEvPviiifPKvS7_S7_PKlii,"axG",@progbits,_ZN12tensorrt_llm7kernels32fusedQKNormRopeKernelNTokenHeadsIN3c104HalfENS2_8BFloat16ELi128ELb1ELi8EEEvPviiifPKvS7_S7_PKlii,comdat
	.protected	_ZN12tensorrt_llm7kernels32fusedQKNormRopeKernelNTokenHeadsIN3c104HalfENS2_8BFloat16ELi128ELb1ELi8EEEvPviiifPKvS7_S7_PKlii ; -- Begin function _ZN12tensorrt_llm7kernels32fusedQKNormRopeKernelNTokenHeadsIN3c104HalfENS2_8BFloat16ELi128ELb1ELi8EEEvPviiifPKvS7_S7_PKlii
	.globl	_ZN12tensorrt_llm7kernels32fusedQKNormRopeKernelNTokenHeadsIN3c104HalfENS2_8BFloat16ELi128ELb1ELi8EEEvPviiifPKvS7_S7_PKlii
	.p2align	8
	.type	_ZN12tensorrt_llm7kernels32fusedQKNormRopeKernelNTokenHeadsIN3c104HalfENS2_8BFloat16ELi128ELb1ELi8EEEvPviiifPKvS7_S7_PKlii,@function
_ZN12tensorrt_llm7kernels32fusedQKNormRopeKernelNTokenHeadsIN3c104HalfENS2_8BFloat16ELi128ELb1ELi8EEEvPviiifPKvS7_S7_PKlii: ; @_ZN12tensorrt_llm7kernels32fusedQKNormRopeKernelNTokenHeadsIN3c104HalfENS2_8BFloat16ELi128ELb1ELi8EEEvPviiifPKvS7_S7_PKlii
; %bb.0:
	s_load_dwordx4 s[12:15], s[4:5], 0x8
	s_load_dwordx2 s[16:17], s[4:5], 0x38
	s_load_dword s1, s[4:5], 0x4c
	v_lshrrev_b32_e32 v2, 5, v0
	s_waitcnt lgkmcnt(0)
	s_add_i32 s0, s13, s12
	s_add_i32 s2, s0, 7
	s_ashr_i32 s3, s2, 31
	s_lshr_b32 s3, s3, 29
	s_add_i32 s2, s2, s3
	s_ashr_i32 s20, s2, 3
	s_abs_i32 s2, s20
	v_cvt_f32_u32_e32 v1, s2
	s_bfe_u32 s1, s1, 0xb0005
	s_mul_i32 s6, s6, s1
	s_sub_i32 s3, 0, s2
	v_rcp_iflag_f32_e32 v3, v1
	v_add_u32_e32 v1, s6, v2
	v_sub_u32_e32 v4, 0, v1
	v_max_i32_e32 v4, v1, v4
	v_mul_f32_e32 v3, 0x4f7ffffe, v3
	v_cvt_u32_f32_e32 v3, v3
	v_xor_b32_e32 v5, s20, v1
	v_ashrrev_i32_e32 v5, 31, v5
	v_mul_lo_u32 v6, s3, v3
	v_mul_hi_u32 v6, v3, v6
	v_add_u32_e32 v3, v3, v6
	v_mul_hi_u32 v3, v4, v3
	v_mul_lo_u32 v6, v3, s2
	v_sub_u32_e32 v4, v4, v6
	v_add_u32_e32 v6, 1, v3
	v_cmp_le_u32_e32 vcc, s2, v4
	v_cndmask_b32_e32 v3, v3, v6, vcc
	v_subrev_u32_e32 v6, s2, v4
	v_cndmask_b32_e32 v4, v4, v6, vcc
	v_add_u32_e32 v6, 1, v3
	v_cmp_le_u32_e32 vcc, s2, v4
	v_cndmask_b32_e32 v3, v3, v6, vcc
	v_xor_b32_e32 v3, v3, v5
	v_sub_u32_e32 v4, v3, v5
	v_cmp_gt_i32_e32 vcc, s16, v4
	s_and_saveexec_b64 s[2:3], vcc
	s_cbranch_execz .LBB68_12
; %bb.1:
	v_and_b32_e32 v6, 31, v0
	v_mul_lo_u32 v0, v4, s20
	v_sub_u32_e32 v0, v1, v0
	s_load_dwordx2 s[2:3], s[4:5], 0x0
	v_lshlrev_b32_e32 v10, 3, v0
	v_add_u32_e32 v0, 8, v10
	v_sub_u32_e32 v3, s0, v10
	v_cmp_lt_i32_e32 vcc, s0, v0
	v_cndmask_b32_e32 v11, 8, v3, vcc
	s_lshl_b32 s18, s17, 1
	s_mul_i32 s16, s18, s1
	v_lshlrev_b32_e32 v9, 11, v2
	v_cmp_lt_i32_e64 s[0:1], 0, v11
	v_lshlrev_b32_e32 v8, 3, v6
	v_lshlrev_b32_e32 v7, 10, v1
	s_and_saveexec_b64 s[6:7], s[0:1]
	s_cbranch_execz .LBB68_4
; %bb.2:
	s_add_i32 s8, s16, 0
	v_add3_u32 v3, s8, v9, v8
	s_add_i32 s8, s14, s13
	s_add_i32 s8, s8, s12
	s_lshl_b32 s9, s20, 3
	s_sub_i32 s8, s8, s9
	v_mul_lo_u32 v0, s8, v4
	v_lshl_add_u32 v0, v0, 7, v7
	s_mov_b32 s10, 0
	v_lshl_or_b32 v0, v6, 2, v0
	s_mov_b64 s[8:9], 0
	s_waitcnt lgkmcnt(0)
	v_mov_b32_e32 v5, s3
.LBB68_3:                               ; =>This Inner Loop Header: Depth=1
	v_ashrrev_i32_e32 v1, 31, v0
	v_lshlrev_b64 v[12:13], 1, v[0:1]
	v_add_co_u32_e32 v12, vcc, s2, v12
	v_addc_co_u32_e32 v13, vcc, v5, v13, vcc
	global_load_dwordx2 v[12:13], v[12:13], off
	s_add_i32 s10, s10, 1
	v_cmp_ge_i32_e32 vcc, s10, v11
	v_add_u32_e32 v0, 0x80, v0
	s_or_b64 s[8:9], vcc, s[8:9]
	s_waitcnt vmcnt(0)
	ds_write_b64 v3, v[12:13]
	v_add_u32_e32 v3, 0x100, v3
	s_andn2_b64 exec, exec, s[8:9]
	s_cbranch_execnz .LBB68_3
.LBB68_4:
	s_or_b64 exec, exec, s[6:7]
	s_add_i32 s18, s18, 15
	s_load_dwordx8 s[4:11], s[4:5], 0x18
	s_ashr_i32 s19, s18, 31
	s_lshr_b32 s19, s19, 28
	s_add_i32 s18, s18, s19
	s_ashr_i32 s21, s18, 4
	v_mul_lo_u32 v0, v2, s17
	v_cmp_gt_i32_e32 vcc, s21, v6
	v_lshlrev_b32_e32 v13, 1, v0
	s_and_saveexec_b64 s[18:19], vcc
	s_cbranch_execz .LBB68_7
; %bb.5:
	v_ashrrev_i32_e32 v5, 31, v4
	v_lshlrev_b64 v[0:1], 3, v[4:5]
	s_waitcnt lgkmcnt(0)
	v_mov_b32_e32 v2, s11
	v_add_co_u32_e32 v0, vcc, s10, v0
	v_addc_co_u32_e32 v1, vcc, v2, v1, vcc
	global_load_dwordx2 v[0:1], v[0:1], off
	s_ashr_i32 s22, s17, 31
	v_lshlrev_b32_e32 v3, 4, v6
	v_mov_b32_e32 v5, s9
	s_mov_b64 s[10:11], 0
	v_add3_u32 v2, v13, v3, 0
	s_waitcnt vmcnt(0)
	v_mul_lo_u32 v12, v1, s17
	v_mul_lo_u32 v14, v0, s22
	v_mad_u64_u32 v[0:1], s[22:23], v0, s17, 0
	v_add3_u32 v1, v1, v14, v12
	v_lshlrev_b64 v[0:1], 1, v[0:1]
	v_add_co_u32_e32 v0, vcc, v0, v3
	v_addc_co_u32_e32 v1, vcc, 0, v1, vcc
	v_add_co_u32_e32 v0, vcc, s8, v0
	v_addc_co_u32_e32 v1, vcc, v5, v1, vcc
	v_mov_b32_e32 v3, v6
.LBB68_6:                               ; =>This Inner Loop Header: Depth=1
	global_load_dwordx4 v[14:17], v[0:1], off
	v_add_co_u32_e32 v0, vcc, 0x200, v0
	v_add_u32_e32 v3, 32, v3
	v_addc_co_u32_e32 v1, vcc, 0, v1, vcc
	v_cmp_le_i32_e32 vcc, s21, v3
	s_or_b64 s[10:11], vcc, s[10:11]
	s_waitcnt vmcnt(0)
	ds_write_b128 v2, v[14:17]
	v_add_u32_e32 v2, 0x200, v2
	s_andn2_b64 exec, exec, s[10:11]
	s_cbranch_execnz .LBB68_6
.LBB68_7:
	s_or_b64 exec, exec, s[18:19]
	s_and_b64 exec, exec, s[0:1]
	s_cbranch_execz .LBB68_12
; %bb.8:
	s_waitcnt lgkmcnt(0)
	global_load_dwordx2 v[0:1], v8, s[4:5]
	global_load_dwordx2 v[2:3], v8, s[6:7]
	v_mbcnt_lo_u32_b32 v14, -1, 0
	v_add_u32_e32 v9, s16, v9
	v_mbcnt_hi_u32_b32 v16, -1, v14
	v_add3_u32 v14, v9, v8, 0
	v_and_b32_e32 v8, 0x60, v16
	v_xor_b32_e32 v9, 16, v16
	v_add_u32_e32 v8, 32, v8
	v_xor_b32_e32 v17, 8, v16
	v_cmp_lt_i32_e32 vcc, v9, v8
	s_add_i32 s8, s14, s13
	v_xor_b32_e32 v18, 4, v16
	v_cndmask_b32_e32 v9, v16, v9, vcc
	v_cmp_lt_i32_e32 vcc, v17, v8
	s_ashr_i32 s1, s17, 31
	s_lshl_b32 s9, s20, 3
	s_add_i32 s8, s8, s12
	v_xor_b32_e32 v19, 2, v16
	v_cndmask_b32_e32 v17, v16, v17, vcc
	v_cmp_lt_i32_e32 vcc, v18, v8
	s_lshr_b32 s0, s17, 31
	s_lshr_b32 s1, s1, 30
	v_xor_b32_e32 v20, 1, v16
	s_sub_i32 s8, s8, s9
	v_cndmask_b32_e32 v18, v16, v18, vcc
	v_cmp_lt_i32_e32 vcc, v19, v8
	v_lshlrev_b32_e32 v5, 2, v6
	s_add_i32 s0, s17, s0
	s_add_i32 s1, s17, s1
	v_mul_lo_u32 v4, s8, v4
	v_cndmask_b32_e32 v19, v16, v19, vcc
	v_cmp_lt_i32_e32 vcc, v20, v8
	v_add3_u32 v13, 0, v13, v5
	s_and_b32 s0, s0, -2
	s_ashr_i32 s1, s1, 2
	v_cndmask_b32_e32 v8, v16, v20, vcc
	v_lshl_add_u32 v4, v4, 7, v7
	s_mov_b32 s6, 0
	s_mov_b64 s[4:5], 0
	v_mov_b32_e32 v12, s15
	s_mov_b32 s7, 0x800000
	v_add_u32_e32 v15, s0, v13
	v_cmp_gt_i32_e32 vcc, s1, v6
	v_lshlrev_b32_e32 v16, 2, v9
	v_lshlrev_b32_e32 v17, 2, v17
	v_lshlrev_b32_e32 v18, 2, v18
	v_lshlrev_b32_e32 v19, 2, v19
	v_lshlrev_b32_e32 v20, 2, v8
	v_or_b32_e32 v4, v4, v5
	s_waitcnt vmcnt(1)
	v_lshrrev_b32_e32 v21, 16, v0
	s_waitcnt vmcnt(0)
	v_lshrrev_b32_e32 v22, 16, v2
	v_lshrrev_b32_e32 v23, 16, v1
	;; [unrolled: 1-line block ×3, first 2 shown]
	s_branch .LBB68_10
.LBB68_9:                               ;   in Loop: Header=BB68_10 Depth=1
	s_or_b64 exec, exec, s[0:1]
	v_ashrrev_i32_e32 v5, 31, v4
	v_cvt_f16_f32_e32 v25, v6
	v_cvt_f16_f32_e32 v26, v7
	;; [unrolled: 1-line block ×4, first 2 shown]
	v_lshlrev_b64 v[6:7], 1, v[4:5]
	v_mov_b32_e32 v5, s3
	v_add_co_u32_e64 v6, s[0:1], s2, v6
	v_addc_co_u32_e64 v7, s[0:1], v5, v7, s[0:1]
	s_add_i32 s6, s6, 1
	v_cmp_ge_i32_e64 s[0:1], s6, v11
	v_pack_b32_f16 v9, v8, v9
	v_pack_b32_f16 v8, v25, v26
	v_add_u32_e32 v4, 0x80, v4
	s_or_b64 s[4:5], s[0:1], s[4:5]
	v_add_u32_e32 v14, 0x100, v14
	global_store_dwordx2 v[6:7], v[8:9], off
	s_andn2_b64 exec, exec, s[4:5]
	s_cbranch_execz .LBB68_12
.LBB68_10:                              ; =>This Inner Loop Header: Depth=1
	ds_read_b64 v[6:7], v14
	s_waitcnt lgkmcnt(0)
	v_cvt_f32_f16_sdwa v9, v7 dst_sel:DWORD dst_unused:UNUSED_PAD src0_sel:WORD_1
	v_cvt_f32_f16_e32 v8, v7
	v_cvt_f32_f16_sdwa v7, v6 dst_sel:DWORD dst_unused:UNUSED_PAD src0_sel:WORD_1
	v_cvt_f32_f16_e32 v6, v6
	v_pk_mul_f32 v[26:27], v[8:9], v[8:9]
	v_pk_mul_f32 v[28:29], v[6:7], v[6:7]
	v_add_f32_e32 v5, v28, v29
	v_add_f32_e32 v5, v5, v26
	v_add_f32_e32 v5, v5, v27
	ds_bpermute_b32 v25, v16, v5
	v_add_u32_e32 v26, s6, v10
	v_mov_b32_e32 v28, v12
	v_cmp_gt_i32_e64 s[0:1], s12, v26
	v_cndmask_b32_e64 v26, v22, v21, s[0:1]
	s_waitcnt lgkmcnt(0)
	v_add_f32_e32 v5, v5, v25
	ds_bpermute_b32 v25, v17, v5
	v_cndmask_b32_e64 v29, v2, v0, s[0:1]
	v_cndmask_b32_e64 v30, v24, v23, s[0:1]
	;; [unrolled: 1-line block ×3, first 2 shown]
	v_cvt_f32_f16_e32 v27, v26
	s_waitcnt lgkmcnt(0)
	v_add_f32_e32 v5, v5, v25
	ds_bpermute_b32 v25, v18, v5
	v_cvt_f32_f16_e32 v26, v29
	v_cvt_f32_f16_e32 v29, v30
	s_waitcnt lgkmcnt(0)
	v_add_f32_e32 v5, v5, v25
	ds_bpermute_b32 v25, v19, v5
	s_waitcnt lgkmcnt(0)
	v_add_f32_e32 v5, v5, v25
	ds_bpermute_b32 v25, v20, v5
	s_waitcnt lgkmcnt(0)
	v_add_f32_e32 v5, v5, v25
	v_fmac_f32_e32 v28, 0x3c000000, v5
	v_mul_f32_e32 v5, 0x4b800000, v28
	v_cmp_gt_f32_e64 s[0:1], s7, v28
	v_cndmask_b32_e64 v5, v28, v5, s[0:1]
	v_rsq_f32_e32 v5, v5
	v_cvt_f32_f16_e32 v28, v31
	v_mul_f32_e32 v25, 0x45800000, v5
	v_cndmask_b32_e64 v30, v5, v25, s[0:1]
	v_pk_mul_f32 v[26:27], v[30:31], v[26:27] op_sel_hi:[0,1]
	v_pk_mul_f32 v[28:29], v[30:31], v[28:29] op_sel_hi:[0,1]
	v_pk_mul_f32 v[6:7], v[26:27], v[6:7]
	v_pk_mul_f32 v[8:9], v[28:29], v[8:9]
	s_and_saveexec_b64 s[0:1], vcc
	s_cbranch_execz .LBB68_9
; %bb.11:                               ;   in Loop: Header=BB68_10 Depth=1
	ds_read_u16 v5, v13
	ds_read_u16 v25, v15
	ds_read_u16 v27, v13 offset:2
	ds_read_u16 v32, v15 offset:2
	s_waitcnt lgkmcnt(3)
	v_lshlrev_b32_e32 v26, 16, v5
	s_waitcnt lgkmcnt(2)
	v_lshlrev_b32_e32 v28, 16, v25
	v_pk_mul_f32 v[28:29], v[6:7], v[28:29] op_sel_hi:[1,0]
	s_waitcnt lgkmcnt(1)
	v_pk_mul_f32 v[30:31], v[6:7], v[26:27] op_sel_hi:[1,0]
	v_pk_fma_f32 v[6:7], v[6:7], v[26:27], v[28:29] op_sel:[0,0,1] op_sel_hi:[1,0,0]
	v_lshlrev_b32_e32 v27, 16, v27
	s_waitcnt lgkmcnt(0)
	v_lshlrev_b32_e32 v26, 16, v32
	v_mov_b32_e32 v28, v9
	v_mov_b32_e32 v6, v27
	v_pk_mul_f32 v[32:33], v[28:29], v[26:27]
	v_pk_mul_f32 v[34:35], v[8:9], v[26:27]
	v_pk_fma_f32 v[32:33], v[8:9], v[6:7], v[32:33] op_sel_hi:[1,0,1] neg_lo:[0,0,1] neg_hi:[0,0,1]
	v_mov_b32_e32 v6, v35
	v_pk_fma_f32 v[26:27], v[8:9], v[26:27], v[6:7]
	v_sub_f32_e32 v6, v30, v29
	v_mov_b32_e32 v8, v32
	v_mov_b32_e32 v9, v26
	s_branch .LBB68_9
.LBB68_12:
	s_endpgm
	.section	.rodata,"a",@progbits
	.p2align	6, 0x0
	.amdhsa_kernel _ZN12tensorrt_llm7kernels32fusedQKNormRopeKernelNTokenHeadsIN3c104HalfENS2_8BFloat16ELi128ELb1ELi8EEEvPviiifPKvS7_S7_PKlii
		.amdhsa_group_segment_fixed_size 0
		.amdhsa_private_segment_fixed_size 0
		.amdhsa_kernarg_size 320
		.amdhsa_user_sgpr_count 6
		.amdhsa_user_sgpr_private_segment_buffer 1
		.amdhsa_user_sgpr_dispatch_ptr 0
		.amdhsa_user_sgpr_queue_ptr 0
		.amdhsa_user_sgpr_kernarg_segment_ptr 1
		.amdhsa_user_sgpr_dispatch_id 0
		.amdhsa_user_sgpr_flat_scratch_init 0
		.amdhsa_user_sgpr_kernarg_preload_length 0
		.amdhsa_user_sgpr_kernarg_preload_offset 0
		.amdhsa_user_sgpr_private_segment_size 0
		.amdhsa_uses_dynamic_stack 0
		.amdhsa_system_sgpr_private_segment_wavefront_offset 0
		.amdhsa_system_sgpr_workgroup_id_x 1
		.amdhsa_system_sgpr_workgroup_id_y 0
		.amdhsa_system_sgpr_workgroup_id_z 0
		.amdhsa_system_sgpr_workgroup_info 0
		.amdhsa_system_vgpr_workitem_id 0
		.amdhsa_next_free_vgpr 36
		.amdhsa_next_free_sgpr 24
		.amdhsa_accum_offset 36
		.amdhsa_reserve_vcc 1
		.amdhsa_reserve_flat_scratch 0
		.amdhsa_float_round_mode_32 0
		.amdhsa_float_round_mode_16_64 0
		.amdhsa_float_denorm_mode_32 3
		.amdhsa_float_denorm_mode_16_64 3
		.amdhsa_dx10_clamp 1
		.amdhsa_ieee_mode 1
		.amdhsa_fp16_overflow 0
		.amdhsa_tg_split 0
		.amdhsa_exception_fp_ieee_invalid_op 0
		.amdhsa_exception_fp_denorm_src 0
		.amdhsa_exception_fp_ieee_div_zero 0
		.amdhsa_exception_fp_ieee_overflow 0
		.amdhsa_exception_fp_ieee_underflow 0
		.amdhsa_exception_fp_ieee_inexact 0
		.amdhsa_exception_int_div_zero 0
	.end_amdhsa_kernel
	.section	.text._ZN12tensorrt_llm7kernels32fusedQKNormRopeKernelNTokenHeadsIN3c104HalfENS2_8BFloat16ELi128ELb1ELi8EEEvPviiifPKvS7_S7_PKlii,"axG",@progbits,_ZN12tensorrt_llm7kernels32fusedQKNormRopeKernelNTokenHeadsIN3c104HalfENS2_8BFloat16ELi128ELb1ELi8EEEvPviiifPKvS7_S7_PKlii,comdat
.Lfunc_end68:
	.size	_ZN12tensorrt_llm7kernels32fusedQKNormRopeKernelNTokenHeadsIN3c104HalfENS2_8BFloat16ELi128ELb1ELi8EEEvPviiifPKvS7_S7_PKlii, .Lfunc_end68-_ZN12tensorrt_llm7kernels32fusedQKNormRopeKernelNTokenHeadsIN3c104HalfENS2_8BFloat16ELi128ELb1ELi8EEEvPviiifPKvS7_S7_PKlii
                                        ; -- End function
	.section	.AMDGPU.csdata,"",@progbits
; Kernel info:
; codeLenInByte = 1524
; NumSgprs: 28
; NumVgprs: 36
; NumAgprs: 0
; TotalNumVgprs: 36
; ScratchSize: 0
; MemoryBound: 0
; FloatMode: 240
; IeeeMode: 1
; LDSByteSize: 0 bytes/workgroup (compile time only)
; SGPRBlocks: 3
; VGPRBlocks: 4
; NumSGPRsForWavesPerEU: 28
; NumVGPRsForWavesPerEU: 36
; AccumOffset: 36
; Occupancy: 8
; WaveLimiterHint : 0
; COMPUTE_PGM_RSRC2:SCRATCH_EN: 0
; COMPUTE_PGM_RSRC2:USER_SGPR: 6
; COMPUTE_PGM_RSRC2:TRAP_HANDLER: 0
; COMPUTE_PGM_RSRC2:TGID_X_EN: 1
; COMPUTE_PGM_RSRC2:TGID_Y_EN: 0
; COMPUTE_PGM_RSRC2:TGID_Z_EN: 0
; COMPUTE_PGM_RSRC2:TIDIG_COMP_CNT: 0
; COMPUTE_PGM_RSRC3_GFX90A:ACCUM_OFFSET: 8
; COMPUTE_PGM_RSRC3_GFX90A:TG_SPLIT: 0
	.section	.text._ZN12tensorrt_llm7kernels32fusedQKNormRopeKernelNTokenHeadsIN3c104HalfENS2_8BFloat16ELi128ELb0ELi8EEEvPviiifPKvS7_S7_PKlii,"axG",@progbits,_ZN12tensorrt_llm7kernels32fusedQKNormRopeKernelNTokenHeadsIN3c104HalfENS2_8BFloat16ELi128ELb0ELi8EEEvPviiifPKvS7_S7_PKlii,comdat
	.protected	_ZN12tensorrt_llm7kernels32fusedQKNormRopeKernelNTokenHeadsIN3c104HalfENS2_8BFloat16ELi128ELb0ELi8EEEvPviiifPKvS7_S7_PKlii ; -- Begin function _ZN12tensorrt_llm7kernels32fusedQKNormRopeKernelNTokenHeadsIN3c104HalfENS2_8BFloat16ELi128ELb0ELi8EEEvPviiifPKvS7_S7_PKlii
	.globl	_ZN12tensorrt_llm7kernels32fusedQKNormRopeKernelNTokenHeadsIN3c104HalfENS2_8BFloat16ELi128ELb0ELi8EEEvPviiifPKvS7_S7_PKlii
	.p2align	8
	.type	_ZN12tensorrt_llm7kernels32fusedQKNormRopeKernelNTokenHeadsIN3c104HalfENS2_8BFloat16ELi128ELb0ELi8EEEvPviiifPKvS7_S7_PKlii,@function
_ZN12tensorrt_llm7kernels32fusedQKNormRopeKernelNTokenHeadsIN3c104HalfENS2_8BFloat16ELi128ELb0ELi8EEEvPviiifPKvS7_S7_PKlii: ; @_ZN12tensorrt_llm7kernels32fusedQKNormRopeKernelNTokenHeadsIN3c104HalfENS2_8BFloat16ELi128ELb0ELi8EEEvPviiifPKvS7_S7_PKlii
; %bb.0:
	s_load_dwordx4 s[12:15], s[4:5], 0x8
	s_load_dwordx2 s[2:3], s[4:5], 0x38
	s_load_dword s1, s[4:5], 0x4c
	v_lshrrev_b32_e32 v2, 5, v0
	s_waitcnt lgkmcnt(0)
	s_add_i32 s0, s13, s12
	s_add_i32 s7, s0, 7
	s_ashr_i32 s8, s7, 31
	s_lshr_b32 s8, s8, 29
	s_add_i32 s7, s7, s8
	s_ashr_i32 s20, s7, 3
	s_abs_i32 s7, s20
	v_cvt_f32_u32_e32 v1, s7
	s_bfe_u32 s1, s1, 0xb0005
	s_mul_i32 s6, s6, s1
	v_rcp_iflag_f32_e32 v3, v1
	v_add_u32_e32 v1, s6, v2
	s_sub_i32 s6, 0, s7
	v_sub_u32_e32 v4, 0, v1
	v_mul_f32_e32 v3, 0x4f7ffffe, v3
	v_cvt_u32_f32_e32 v3, v3
	v_max_i32_e32 v4, v1, v4
	v_xor_b32_e32 v5, s20, v1
	v_ashrrev_i32_e32 v5, 31, v5
	v_mul_lo_u32 v6, s6, v3
	v_mul_hi_u32 v6, v3, v6
	v_add_u32_e32 v3, v3, v6
	v_mul_hi_u32 v3, v4, v3
	v_mul_lo_u32 v6, v3, s7
	v_sub_u32_e32 v4, v4, v6
	v_add_u32_e32 v6, 1, v3
	v_cmp_le_u32_e32 vcc, s7, v4
	v_cndmask_b32_e32 v3, v3, v6, vcc
	v_subrev_u32_e32 v6, s7, v4
	v_cndmask_b32_e32 v4, v4, v6, vcc
	v_add_u32_e32 v6, 1, v3
	v_cmp_le_u32_e32 vcc, s7, v4
	v_cndmask_b32_e32 v3, v3, v6, vcc
	v_xor_b32_e32 v3, v3, v5
	v_sub_u32_e32 v4, v3, v5
	v_cmp_gt_i32_e32 vcc, s2, v4
	s_and_saveexec_b64 s[6:7], vcc
	s_cbranch_execz .LBB69_12
; %bb.1:
	v_and_b32_e32 v8, 31, v0
	v_mul_lo_u32 v0, v4, s20
	v_sub_u32_e32 v0, v1, v0
	s_load_dwordx2 s[16:17], s[4:5], 0x0
	v_lshlrev_b32_e32 v6, 3, v0
	v_add_u32_e32 v0, 8, v6
	v_sub_u32_e32 v3, s0, v6
	v_cmp_lt_i32_e32 vcc, s0, v0
	v_cndmask_b32_e32 v7, 8, v3, vcc
	s_lshl_b32 s2, s3, 1
	s_mul_i32 s21, s2, s1
	v_lshlrev_b32_e32 v9, 11, v2
	v_cmp_lt_i32_e64 s[0:1], 0, v7
	v_lshlrev_b32_e32 v10, 3, v8
	v_lshlrev_b32_e32 v11, 10, v1
	s_and_saveexec_b64 s[6:7], s[0:1]
	s_cbranch_execz .LBB69_4
; %bb.2:
	s_add_i32 s8, s21, 0
	v_add3_u32 v3, s8, v9, v10
	s_add_i32 s8, s14, s13
	s_add_i32 s8, s8, s12
	s_lshl_b32 s9, s20, 3
	s_sub_i32 s8, s8, s9
	v_mul_lo_u32 v0, s8, v4
	v_lshl_add_u32 v0, v0, 7, v11
	s_mov_b32 s10, 0
	v_lshl_or_b32 v0, v8, 2, v0
	s_mov_b64 s[8:9], 0
	s_waitcnt lgkmcnt(0)
	v_mov_b32_e32 v5, s17
.LBB69_3:                               ; =>This Inner Loop Header: Depth=1
	v_ashrrev_i32_e32 v1, 31, v0
	v_lshlrev_b64 v[12:13], 1, v[0:1]
	v_add_co_u32_e32 v12, vcc, s16, v12
	v_addc_co_u32_e32 v13, vcc, v5, v13, vcc
	global_load_dwordx2 v[12:13], v[12:13], off
	s_add_i32 s10, s10, 1
	v_cmp_ge_i32_e32 vcc, s10, v7
	v_add_u32_e32 v0, 0x80, v0
	s_or_b64 s[8:9], vcc, s[8:9]
	s_waitcnt vmcnt(0)
	ds_write_b64 v3, v[12:13]
	v_add_u32_e32 v3, 0x100, v3
	s_andn2_b64 exec, exec, s[8:9]
	s_cbranch_execnz .LBB69_3
.LBB69_4:
	s_or_b64 exec, exec, s[6:7]
	s_add_i32 s2, s2, 15
	s_load_dwordx8 s[4:11], s[4:5], 0x18
	s_ashr_i32 s18, s2, 31
	s_lshr_b32 s18, s18, 28
	s_add_i32 s2, s2, s18
	s_ashr_i32 s2, s2, 4
	v_cmp_gt_i32_e32 vcc, s2, v8
	v_mul_lo_u32 v12, v2, s3
	s_and_saveexec_b64 s[18:19], vcc
	s_cbranch_execz .LBB69_7
; %bb.5:
	v_ashrrev_i32_e32 v5, 31, v4
	v_lshlrev_b64 v[0:1], 3, v[4:5]
	s_waitcnt lgkmcnt(0)
	v_mov_b32_e32 v2, s11
	v_add_co_u32_e32 v0, vcc, s10, v0
	v_addc_co_u32_e32 v1, vcc, v2, v1, vcc
	global_load_dwordx2 v[0:1], v[0:1], off
	s_ashr_i32 s22, s3, 31
	v_lshlrev_b32_e32 v3, 4, v8
	v_lshlrev_b32_e32 v2, 1, v12
	v_mov_b32_e32 v5, s9
	s_mov_b64 s[10:11], 0
	v_add3_u32 v2, v2, v3, 0
	s_waitcnt vmcnt(0)
	v_mul_lo_u32 v13, v1, s3
	v_mul_lo_u32 v14, v0, s22
	v_mad_u64_u32 v[0:1], s[22:23], v0, s3, 0
	v_add3_u32 v1, v1, v14, v13
	v_lshlrev_b64 v[0:1], 1, v[0:1]
	v_add_co_u32_e32 v0, vcc, v0, v3
	v_addc_co_u32_e32 v1, vcc, 0, v1, vcc
	v_add_co_u32_e32 v0, vcc, s8, v0
	v_addc_co_u32_e32 v1, vcc, v5, v1, vcc
	v_mov_b32_e32 v3, v8
.LBB69_6:                               ; =>This Inner Loop Header: Depth=1
	global_load_dwordx4 v[14:17], v[0:1], off
	v_add_co_u32_e32 v0, vcc, 0x200, v0
	v_add_u32_e32 v3, 32, v3
	v_addc_co_u32_e32 v1, vcc, 0, v1, vcc
	v_cmp_le_i32_e32 vcc, s2, v3
	s_or_b64 s[10:11], vcc, s[10:11]
	s_waitcnt vmcnt(0)
	ds_write_b128 v2, v[14:17]
	v_add_u32_e32 v2, 0x200, v2
	s_andn2_b64 exec, exec, s[10:11]
	s_cbranch_execnz .LBB69_6
.LBB69_7:
	s_or_b64 exec, exec, s[18:19]
	s_and_b64 exec, exec, s[0:1]
	s_cbranch_execz .LBB69_12
; %bb.8:
	s_waitcnt lgkmcnt(0)
	global_load_dwordx2 v[0:1], v10, s[4:5]
	global_load_dwordx2 v[2:3], v10, s[6:7]
	v_lshl_add_u32 v5, v12, 1, 0
	v_mbcnt_lo_u32_b32 v12, -1, 0
	s_abs_i32 s4, s3
	v_mbcnt_hi_u32_b32 v17, -1, v12
	v_cvt_f32_u32_e32 v14, s4
	v_and_b32_e32 v12, 0x60, v17
	v_xor_b32_e32 v13, 16, v17
	v_add_u32_e32 v12, 32, v12
	v_xor_b32_e32 v15, 8, v17
	v_cmp_lt_i32_e32 vcc, v13, v12
	v_xor_b32_e32 v16, 4, v17
	v_cndmask_b32_e32 v13, v17, v13, vcc
	v_cmp_lt_i32_e32 vcc, v15, v12
	v_rcp_iflag_f32_e32 v23, v14
	v_xor_b32_e32 v19, 2, v17
	v_cndmask_b32_e32 v15, v17, v15, vcc
	v_cmp_lt_i32_e32 vcc, v16, v12
	v_cndmask_b32_e32 v16, v17, v16, vcc
	v_cmp_lt_i32_e32 vcc, v19, v12
	v_xor_b32_e32 v20, 1, v17
	v_cndmask_b32_e32 v19, v17, v19, vcc
	v_cmp_lt_i32_e32 vcc, v20, v12
	v_lshlrev_b32_e32 v12, 2, v13
	v_lshlrev_b32_e32 v13, 2, v15
	;; [unrolled: 1-line block ×3, first 2 shown]
	v_mul_f32_e32 v19, 0x4f7ffffe, v23
	v_cvt_u32_f32_e32 v19, v19
	s_sub_i32 s5, 0, s4
	v_cndmask_b32_e32 v20, v17, v20, vcc
	s_ashr_i32 s1, s3, 31
	v_lshlrev_b32_e32 v14, 2, v16
	v_lshlrev_b32_e32 v16, 2, v20
	v_mul_lo_u32 v20, s5, v19
	s_lshr_b32 s2, s1, 30
	s_lshr_b32 s1, s1, 29
	v_mul_hi_u32 v20, v19, v20
	s_lshr_b32 s0, s3, 31
	s_add_i32 s1, s3, s1
	v_add_u32_e32 v30, v19, v20
	v_or_b32_e32 v18, 2, v10
	s_add_i32 s0, s3, s0
	v_and_b32_e32 v21, 64, v17
	s_ashr_i32 s1, s1, 3
	v_mul_hi_u32 v19, v10, v30
	s_and_b32 s0, s0, -2
	s_add_i32 s2, s3, s2
	v_add_u32_e32 v21, 64, v21
	v_xor_b32_e32 v22, s1, v17
	v_mul_hi_u32 v20, v18, v30
	v_mul_lo_u32 v19, v19, s4
	v_add_u32_e32 v29, s0, v5
	s_ashr_i32 s0, s2, 2
	v_cmp_lt_i32_e64 s[2:3], v22, v21
	v_mul_lo_u32 v20, v20, s4
	v_sub_u32_e32 v19, v10, v19
	v_or_b32_e32 v26, 4, v10
	v_cndmask_b32_e64 v17, v17, v22, s[2:3]
	v_sub_u32_e32 v18, v18, v20
	v_subrev_u32_e32 v20, s4, v19
	v_cmp_le_u32_e64 s[2:3], s4, v19
	v_subrev_u32_e32 v21, s4, v18
	v_cndmask_b32_e64 v19, v19, v20, s[2:3]
	v_cmp_le_u32_e64 s[2:3], s4, v18
	v_mul_hi_u32 v27, v26, v30
	v_cndmask_b32_e64 v24, v18, v21, s[2:3]
	v_subrev_u32_e32 v18, s4, v19
	v_cmp_le_u32_e64 s[2:3], s4, v19
	v_mul_lo_u32 v27, v27, s4
	v_or_b32_e32 v28, 6, v10
	v_cndmask_b32_e64 v18, v19, v18, s[2:3]
	v_subrev_u32_e32 v25, s4, v24
	v_cmp_le_u32_e64 s[2:3], s4, v24
	v_sub_u32_e32 v26, v26, v27
	v_cndmask_b32_e64 v24, v24, v25, s[2:3]
	v_subrev_u32_e32 v27, s4, v26
	v_cmp_le_u32_e64 s[2:3], s4, v26
	v_mul_hi_u32 v30, v28, v30
	v_cndmask_b32_e64 v26, v26, v27, s[2:3]
	v_mul_lo_u32 v30, v30, s4
	v_subrev_u32_e32 v27, s4, v26
	v_cmp_le_u32_e64 s[2:3], s4, v26
	v_sub_u32_e32 v28, v28, v30
	v_cndmask_b32_e64 v26, v26, v27, s[2:3]
	v_subrev_u32_e32 v30, s4, v28
	v_cmp_le_u32_e64 s[2:3], s4, v28
	v_cndmask_b32_e64 v28, v28, v30, s[2:3]
	v_subrev_u32_e32 v30, s4, v28
	v_cmp_le_u32_e64 s[2:3], s4, v28
	v_cndmask_b32_e64 v28, v28, v30, s[2:3]
	s_add_i32 s2, s14, s13
	s_add_i32 s2, s2, s12
	s_lshl_b32 s3, s20, 3
	s_sub_i32 s2, s2, s3
	v_and_b32_e32 v19, -2, v18
	v_and_b32_e32 v25, -2, v24
	;; [unrolled: 1-line block ×4, first 2 shown]
	v_mul_lo_u32 v4, s2, v4
	v_add_u32_e32 v18, v5, v19
	v_add_u32_e32 v24, v5, v25
	;; [unrolled: 1-line block ×4, first 2 shown]
	v_lshl_add_u32 v4, v4, 7, v11
	v_add_u32_e32 v5, s21, v9
	s_mov_b32 s6, 0
	v_cmp_gt_i32_e32 vcc, s0, v8
	v_cmp_gt_i32_e64 s[0:1], s1, v8
	v_lshlrev_b32_e32 v17, 2, v17
	v_add_u32_e32 v19, v29, v19
	s_waitcnt vmcnt(1)
	v_lshrrev_b32_e32 v20, 16, v0
	v_lshrrev_b32_e32 v21, 16, v1
	s_waitcnt vmcnt(0)
	v_lshrrev_b32_e32 v22, 16, v2
	v_lshrrev_b32_e32 v23, 16, v3
	v_add_u32_e32 v25, v29, v25
	v_add_u32_e32 v27, v29, v27
	;; [unrolled: 1-line block ×3, first 2 shown]
	v_lshl_or_b32 v4, v8, 2, v4
	v_add3_u32 v8, v5, v10, 0
	s_mov_b64 s[4:5], 0
	s_mov_b32 s7, 0x800000
	v_mov_b32_e32 v9, s15
	s_branch .LBB69_10
.LBB69_9:                               ;   in Loop: Header=BB69_10 Depth=1
	s_or_b64 exec, exec, s[2:3]
	v_cvt_f16_f32_e32 v33, v5
	v_ashrrev_i32_e32 v5, 31, v4
	v_cvt_f16_f32_e32 v30, v30
	v_cvt_f16_f32_e32 v32, v11
	;; [unrolled: 1-line block ×3, first 2 shown]
	v_lshlrev_b64 v[10:11], 1, v[4:5]
	v_mov_b32_e32 v5, s17
	v_add_co_u32_e64 v10, s[2:3], s16, v10
	v_addc_co_u32_e64 v11, s[2:3], v5, v11, s[2:3]
	s_add_i32 s6, s6, 1
	v_cmp_ge_i32_e64 s[2:3], s6, v7
	v_pack_b32_f16 v31, v31, v33
	v_pack_b32_f16 v30, v30, v32
	v_add_u32_e32 v4, 0x80, v4
	s_or_b64 s[4:5], s[2:3], s[4:5]
	v_add_u32_e32 v8, 0x100, v8
	global_store_dwordx2 v[10:11], v[30:31], off
	s_andn2_b64 exec, exec, s[4:5]
	s_cbranch_execz .LBB69_12
.LBB69_10:                              ; =>This Inner Loop Header: Depth=1
	ds_read_b64 v[10:11], v8
	v_add_u32_e32 v32, s6, v6
	v_mov_b32_e32 v33, v9
	v_cmp_gt_i32_e64 s[2:3], s12, v32
	v_cndmask_b32_e64 v32, v2, v0, s[2:3]
	s_waitcnt lgkmcnt(0)
	v_cvt_f32_f16_sdwa v5, v10 dst_sel:DWORD dst_unused:UNUSED_PAD src0_sel:WORD_1
	v_cndmask_b32_e64 v34, v22, v20, s[2:3]
	v_cndmask_b32_e64 v35, v3, v1, s[2:3]
	;; [unrolled: 1-line block ×3, first 2 shown]
	v_mul_f32_e32 v30, v5, v5
	v_fma_mix_f32 v30, v10, v10, v30 op_sel_hi:[1,1,0]
	v_fma_mix_f32 v30, v11, v11, v30 op_sel_hi:[1,1,0]
	v_fma_mix_f32 v30, v11, v11, v30 op_sel:[1,1,0] op_sel_hi:[1,1,0]
	ds_bpermute_b32 v31, v12, v30
	v_cvt_f32_f16_e32 v32, v32
	v_cvt_f32_f16_e32 v34, v34
	;; [unrolled: 1-line block ×4, first 2 shown]
	s_waitcnt lgkmcnt(0)
	v_add_f32_e32 v30, v30, v31
	ds_bpermute_b32 v31, v13, v30
	v_cvt_f32_f16_e32 v10, v10
	s_waitcnt lgkmcnt(0)
	v_add_f32_e32 v30, v30, v31
	ds_bpermute_b32 v31, v14, v30
	s_waitcnt lgkmcnt(0)
	v_add_f32_e32 v30, v30, v31
	ds_bpermute_b32 v31, v15, v30
	;; [unrolled: 3-line block ×3, first 2 shown]
	s_waitcnt lgkmcnt(0)
	v_add_f32_e32 v30, v30, v31
	v_fmac_f32_e32 v33, 0x3c000000, v30
	v_mul_f32_e32 v30, 0x4b800000, v33
	v_cmp_gt_f32_e64 s[2:3], s7, v33
	v_cndmask_b32_e64 v30, v33, v30, s[2:3]
	v_rsq_f32_e32 v30, v30
	v_cvt_f32_f16_e32 v31, v11
	v_cvt_f32_f16_sdwa v33, v11 dst_sel:DWORD dst_unused:UNUSED_PAD src0_sel:WORD_1
	v_mul_f32_e32 v11, 0x45800000, v30
	v_cndmask_b32_e64 v11, v30, v11, s[2:3]
	v_mul_f32_e32 v30, v11, v32
	v_mul_f32_e32 v32, v11, v34
	;; [unrolled: 1-line block ×8, first 2 shown]
	s_and_saveexec_b64 s[2:3], vcc
	s_cbranch_execz .LBB69_9
; %bb.11:                               ;   in Loop: Header=BB69_10 Depth=1
	ds_bpermute_b32 v31, v17, v30
	ds_bpermute_b32 v32, v17, v11
	; wave barrier
	ds_read_u16 v33, v18
	ds_read_u16 v34, v19
	;; [unrolled: 1-line block ×8, first 2 shown]
	s_waitcnt lgkmcnt(9)
	v_cndmask_b32_e64 v31, v31, -v31, s[0:1]
	s_waitcnt lgkmcnt(6)
	v_lshlrev_b32_e32 v34, 16, v34
	v_lshlrev_b32_e32 v33, 16, v33
	v_mul_f32_e32 v31, v31, v34
	v_fmac_f32_e32 v31, v30, v33
	v_cndmask_b32_e64 v30, v32, -v32, s[0:1]
	ds_bpermute_b32 v32, v17, v10
	s_waitcnt lgkmcnt(5)
	v_lshlrev_b32_e32 v34, 16, v36
	v_mul_f32_e32 v34, v30, v34
	ds_bpermute_b32 v30, v17, v5
	v_lshlrev_b32_e32 v33, 16, v35
	v_fmac_f32_e32 v34, v11, v33
	s_waitcnt lgkmcnt(1)
	v_cndmask_b32_e64 v11, v32, -v32, s[0:1]
	v_lshlrev_b32_e32 v33, 16, v38
	v_lshlrev_b32_e32 v32, 16, v37
	v_mul_f32_e32 v33, v11, v33
	v_fmac_f32_e32 v33, v10, v32
	s_waitcnt lgkmcnt(0)
	v_cndmask_b32_e64 v10, v30, -v30, s[0:1]
	v_lshlrev_b32_e32 v30, 16, v40
	v_lshlrev_b32_e32 v11, 16, v39
	v_mul_f32_e32 v32, v10, v30
	v_fmac_f32_e32 v32, v5, v11
	v_mov_b32_e32 v30, v31
	v_mov_b32_e32 v11, v34
	;; [unrolled: 1-line block ×4, first 2 shown]
	; wave barrier
	s_branch .LBB69_9
.LBB69_12:
	s_endpgm
	.section	.rodata,"a",@progbits
	.p2align	6, 0x0
	.amdhsa_kernel _ZN12tensorrt_llm7kernels32fusedQKNormRopeKernelNTokenHeadsIN3c104HalfENS2_8BFloat16ELi128ELb0ELi8EEEvPviiifPKvS7_S7_PKlii
		.amdhsa_group_segment_fixed_size 0
		.amdhsa_private_segment_fixed_size 0
		.amdhsa_kernarg_size 320
		.amdhsa_user_sgpr_count 6
		.amdhsa_user_sgpr_private_segment_buffer 1
		.amdhsa_user_sgpr_dispatch_ptr 0
		.amdhsa_user_sgpr_queue_ptr 0
		.amdhsa_user_sgpr_kernarg_segment_ptr 1
		.amdhsa_user_sgpr_dispatch_id 0
		.amdhsa_user_sgpr_flat_scratch_init 0
		.amdhsa_user_sgpr_kernarg_preload_length 0
		.amdhsa_user_sgpr_kernarg_preload_offset 0
		.amdhsa_user_sgpr_private_segment_size 0
		.amdhsa_uses_dynamic_stack 0
		.amdhsa_system_sgpr_private_segment_wavefront_offset 0
		.amdhsa_system_sgpr_workgroup_id_x 1
		.amdhsa_system_sgpr_workgroup_id_y 0
		.amdhsa_system_sgpr_workgroup_id_z 0
		.amdhsa_system_sgpr_workgroup_info 0
		.amdhsa_system_vgpr_workitem_id 0
		.amdhsa_next_free_vgpr 41
		.amdhsa_next_free_sgpr 24
		.amdhsa_accum_offset 44
		.amdhsa_reserve_vcc 1
		.amdhsa_reserve_flat_scratch 0
		.amdhsa_float_round_mode_32 0
		.amdhsa_float_round_mode_16_64 0
		.amdhsa_float_denorm_mode_32 3
		.amdhsa_float_denorm_mode_16_64 3
		.amdhsa_dx10_clamp 1
		.amdhsa_ieee_mode 1
		.amdhsa_fp16_overflow 0
		.amdhsa_tg_split 0
		.amdhsa_exception_fp_ieee_invalid_op 0
		.amdhsa_exception_fp_denorm_src 0
		.amdhsa_exception_fp_ieee_div_zero 0
		.amdhsa_exception_fp_ieee_overflow 0
		.amdhsa_exception_fp_ieee_underflow 0
		.amdhsa_exception_fp_ieee_inexact 0
		.amdhsa_exception_int_div_zero 0
	.end_amdhsa_kernel
	.section	.text._ZN12tensorrt_llm7kernels32fusedQKNormRopeKernelNTokenHeadsIN3c104HalfENS2_8BFloat16ELi128ELb0ELi8EEEvPviiifPKvS7_S7_PKlii,"axG",@progbits,_ZN12tensorrt_llm7kernels32fusedQKNormRopeKernelNTokenHeadsIN3c104HalfENS2_8BFloat16ELi128ELb0ELi8EEEvPviiifPKvS7_S7_PKlii,comdat
.Lfunc_end69:
	.size	_ZN12tensorrt_llm7kernels32fusedQKNormRopeKernelNTokenHeadsIN3c104HalfENS2_8BFloat16ELi128ELb0ELi8EEEvPviiifPKvS7_S7_PKlii, .Lfunc_end69-_ZN12tensorrt_llm7kernels32fusedQKNormRopeKernelNTokenHeadsIN3c104HalfENS2_8BFloat16ELi128ELb0ELi8EEEvPviiifPKvS7_S7_PKlii
                                        ; -- End function
	.section	.AMDGPU.csdata,"",@progbits
; Kernel info:
; codeLenInByte = 2008
; NumSgprs: 28
; NumVgprs: 41
; NumAgprs: 0
; TotalNumVgprs: 41
; ScratchSize: 0
; MemoryBound: 0
; FloatMode: 240
; IeeeMode: 1
; LDSByteSize: 0 bytes/workgroup (compile time only)
; SGPRBlocks: 3
; VGPRBlocks: 5
; NumSGPRsForWavesPerEU: 28
; NumVGPRsForWavesPerEU: 41
; AccumOffset: 44
; Occupancy: 8
; WaveLimiterHint : 0
; COMPUTE_PGM_RSRC2:SCRATCH_EN: 0
; COMPUTE_PGM_RSRC2:USER_SGPR: 6
; COMPUTE_PGM_RSRC2:TRAP_HANDLER: 0
; COMPUTE_PGM_RSRC2:TGID_X_EN: 1
; COMPUTE_PGM_RSRC2:TGID_Y_EN: 0
; COMPUTE_PGM_RSRC2:TGID_Z_EN: 0
; COMPUTE_PGM_RSRC2:TIDIG_COMP_CNT: 0
; COMPUTE_PGM_RSRC3_GFX90A:ACCUM_OFFSET: 10
; COMPUTE_PGM_RSRC3_GFX90A:TG_SPLIT: 0
	.section	.text._ZN12tensorrt_llm7kernels32fusedQKNormRopeKernelNTokenHeadsIN3c104HalfENS2_8BFloat16ELi256ELb1ELi8EEEvPviiifPKvS7_S7_PKlii,"axG",@progbits,_ZN12tensorrt_llm7kernels32fusedQKNormRopeKernelNTokenHeadsIN3c104HalfENS2_8BFloat16ELi256ELb1ELi8EEEvPviiifPKvS7_S7_PKlii,comdat
	.protected	_ZN12tensorrt_llm7kernels32fusedQKNormRopeKernelNTokenHeadsIN3c104HalfENS2_8BFloat16ELi256ELb1ELi8EEEvPviiifPKvS7_S7_PKlii ; -- Begin function _ZN12tensorrt_llm7kernels32fusedQKNormRopeKernelNTokenHeadsIN3c104HalfENS2_8BFloat16ELi256ELb1ELi8EEEvPviiifPKvS7_S7_PKlii
	.globl	_ZN12tensorrt_llm7kernels32fusedQKNormRopeKernelNTokenHeadsIN3c104HalfENS2_8BFloat16ELi256ELb1ELi8EEEvPviiifPKvS7_S7_PKlii
	.p2align	8
	.type	_ZN12tensorrt_llm7kernels32fusedQKNormRopeKernelNTokenHeadsIN3c104HalfENS2_8BFloat16ELi256ELb1ELi8EEEvPviiifPKvS7_S7_PKlii,@function
_ZN12tensorrt_llm7kernels32fusedQKNormRopeKernelNTokenHeadsIN3c104HalfENS2_8BFloat16ELi256ELb1ELi8EEEvPviiifPKvS7_S7_PKlii: ; @_ZN12tensorrt_llm7kernels32fusedQKNormRopeKernelNTokenHeadsIN3c104HalfENS2_8BFloat16ELi256ELb1ELi8EEEvPviiifPKvS7_S7_PKlii
; %bb.0:
	s_load_dwordx4 s[12:15], s[4:5], 0x8
	s_load_dwordx2 s[16:17], s[4:5], 0x38
	s_load_dword s1, s[4:5], 0x4c
	v_lshrrev_b32_e32 v1, 5, v0
	s_waitcnt lgkmcnt(0)
	s_add_i32 s0, s13, s12
	s_add_i32 s2, s0, 7
	s_ashr_i32 s3, s2, 31
	s_lshr_b32 s3, s3, 29
	s_add_i32 s2, s2, s3
	s_ashr_i32 s20, s2, 3
	s_abs_i32 s2, s20
	v_cvt_f32_u32_e32 v2, s2
	s_bfe_u32 s1, s1, 0xb0005
	s_mul_i32 s6, s6, s1
	s_sub_i32 s3, 0, s2
	v_rcp_iflag_f32_e32 v3, v2
	v_add_u32_e32 v2, s6, v1
	v_sub_u32_e32 v4, 0, v2
	v_max_i32_e32 v4, v2, v4
	v_mul_f32_e32 v3, 0x4f7ffffe, v3
	v_cvt_u32_f32_e32 v3, v3
	v_xor_b32_e32 v5, s20, v2
	v_ashrrev_i32_e32 v5, 31, v5
	v_mul_lo_u32 v6, s3, v3
	v_mul_hi_u32 v6, v3, v6
	v_add_u32_e32 v3, v3, v6
	v_mul_hi_u32 v3, v4, v3
	v_mul_lo_u32 v6, v3, s2
	v_sub_u32_e32 v4, v4, v6
	v_add_u32_e32 v6, 1, v3
	v_cmp_le_u32_e32 vcc, s2, v4
	v_cndmask_b32_e32 v3, v3, v6, vcc
	v_subrev_u32_e32 v6, s2, v4
	v_cndmask_b32_e32 v4, v4, v6, vcc
	v_add_u32_e32 v6, 1, v3
	v_cmp_le_u32_e32 vcc, s2, v4
	v_cndmask_b32_e32 v3, v3, v6, vcc
	v_xor_b32_e32 v3, v3, v5
	v_sub_u32_e32 v8, v3, v5
	v_cmp_gt_i32_e32 vcc, s16, v8
	s_and_saveexec_b64 s[2:3], vcc
	s_cbranch_execz .LBB70_12
; %bb.1:
	v_mul_lo_u32 v3, v8, s20
	v_sub_u32_e32 v3, v2, v3
	s_load_dwordx2 s[2:3], s[4:5], 0x0
	v_lshlrev_b32_e32 v18, 3, v3
	v_add_u32_e32 v3, 8, v18
	v_sub_u32_e32 v4, s0, v18
	v_cmp_lt_i32_e32 vcc, s0, v3
	v_and_b32_e32 v10, 31, v0
	v_cndmask_b32_e32 v19, 8, v4, vcc
	s_lshl_b32 s18, s17, 1
	s_mul_i32 s16, s18, s1
	v_lshlrev_b32_e32 v13, 12, v1
	v_cmp_lt_i32_e64 s[0:1], 0, v19
	v_lshlrev_b32_e32 v12, 4, v10
	v_lshlrev_b32_e32 v11, 11, v2
	s_and_saveexec_b64 s[6:7], s[0:1]
	s_cbranch_execz .LBB70_4
; %bb.2:
	s_add_i32 s8, s16, 0
	v_add3_u32 v4, s8, v13, v12
	s_add_i32 s8, s14, s13
	s_add_i32 s8, s8, s12
	s_lshl_b32 s9, s20, 3
	s_sub_i32 s8, s8, s9
	v_mul_lo_u32 v2, s8, v8
	v_lshl_add_u32 v2, v2, 8, v11
	s_mov_b32 s10, 0
	v_lshl_or_b32 v2, v10, 3, v2
	s_mov_b64 s[8:9], 0
	s_waitcnt lgkmcnt(0)
	v_mov_b32_e32 v5, s3
.LBB70_3:                               ; =>This Inner Loop Header: Depth=1
	v_ashrrev_i32_e32 v3, 31, v2
	v_lshlrev_b64 v[6:7], 1, v[2:3]
	v_add_co_u32_e32 v6, vcc, s2, v6
	v_addc_co_u32_e32 v7, vcc, v5, v7, vcc
	global_load_dwordx4 v[14:17], v[6:7], off
	s_add_i32 s10, s10, 1
	v_cmp_ge_i32_e32 vcc, s10, v19
	v_add_u32_e32 v2, 0x100, v2
	s_or_b64 s[8:9], vcc, s[8:9]
	s_waitcnt vmcnt(0)
	ds_write_b128 v4, v[14:17]
	v_add_u32_e32 v4, 0x200, v4
	s_andn2_b64 exec, exec, s[8:9]
	s_cbranch_execnz .LBB70_3
.LBB70_4:
	s_or_b64 exec, exec, s[6:7]
	s_add_i32 s18, s18, 15
	s_load_dwordx8 s[4:11], s[4:5], 0x18
	s_ashr_i32 s19, s18, 31
	s_lshr_b32 s19, s19, 28
	s_add_i32 s18, s18, s19
	s_ashr_i32 s21, s18, 4
	v_mul_lo_u32 v1, v1, s17
	v_cmp_gt_i32_e32 vcc, s21, v10
	v_lshlrev_b32_e32 v14, 1, v1
	s_and_saveexec_b64 s[18:19], vcc
	s_cbranch_execz .LBB70_7
; %bb.5:
	v_ashrrev_i32_e32 v9, 31, v8
	v_lshlrev_b64 v[2:3], 3, v[8:9]
	s_waitcnt lgkmcnt(0)
	v_mov_b32_e32 v1, s11
	v_add_co_u32_e32 v2, vcc, s10, v2
	v_addc_co_u32_e32 v3, vcc, v1, v3, vcc
	global_load_dwordx2 v[4:5], v[2:3], off
	s_ashr_i32 s22, s17, 31
	v_and_b32_e32 v0, 31, v0
	v_lshlrev_b32_e32 v6, 4, v0
	v_mov_b32_e32 v3, s9
	v_add3_u32 v2, v14, v12, 0
	s_mov_b64 s[10:11], 0
	s_waitcnt vmcnt(0)
	v_mul_lo_u32 v5, v5, s17
	v_mul_lo_u32 v7, v4, s22
	v_mad_u64_u32 v[0:1], s[22:23], v4, s17, 0
	v_add3_u32 v1, v1, v7, v5
	v_lshlrev_b64 v[0:1], 1, v[0:1]
	v_add_co_u32_e32 v0, vcc, v0, v6
	v_addc_co_u32_e32 v1, vcc, 0, v1, vcc
	v_add_co_u32_e32 v0, vcc, s8, v0
	v_addc_co_u32_e32 v1, vcc, v3, v1, vcc
	v_mov_b32_e32 v3, v10
.LBB70_6:                               ; =>This Inner Loop Header: Depth=1
	global_load_dwordx4 v[4:7], v[0:1], off
	v_add_co_u32_e32 v0, vcc, 0x200, v0
	v_add_u32_e32 v3, 32, v3
	v_addc_co_u32_e32 v1, vcc, 0, v1, vcc
	v_cmp_le_i32_e32 vcc, s21, v3
	s_or_b64 s[10:11], vcc, s[10:11]
	s_waitcnt vmcnt(0)
	ds_write_b128 v2, v[4:7]
	v_add_u32_e32 v2, 0x200, v2
	s_andn2_b64 exec, exec, s[10:11]
	s_cbranch_execnz .LBB70_6
.LBB70_7:
	s_or_b64 exec, exec, s[18:19]
	s_and_b64 exec, exec, s[0:1]
	s_cbranch_execz .LBB70_12
; %bb.8:
	s_waitcnt lgkmcnt(0)
	global_load_dwordx4 v[0:3], v12, s[4:5]
	global_load_dwordx4 v[4:7], v12, s[6:7]
	v_mbcnt_lo_u32_b32 v15, -1, 0
	v_add_u32_e32 v13, s16, v13
	v_mbcnt_hi_u32_b32 v15, -1, v15
	v_add3_u32 v22, v13, v12, 0
	v_and_b32_e32 v12, 0x60, v15
	v_lshlrev_b32_e32 v9, 3, v10
	v_xor_b32_e32 v13, 16, v15
	v_add_u32_e32 v12, 32, v12
	v_add3_u32 v21, 0, v14, v9
	v_xor_b32_e32 v14, 8, v15
	v_cmp_lt_i32_e32 vcc, v13, v12
	s_add_i32 s8, s14, s13
	v_xor_b32_e32 v16, 4, v15
	v_cndmask_b32_e32 v13, v15, v13, vcc
	v_cmp_lt_i32_e32 vcc, v14, v12
	s_ashr_i32 s1, s17, 31
	s_lshl_b32 s9, s20, 3
	s_add_i32 s8, s8, s12
	v_xor_b32_e32 v17, 2, v15
	v_cndmask_b32_e32 v14, v15, v14, vcc
	v_cmp_lt_i32_e32 vcc, v16, v12
	s_lshr_b32 s0, s17, 31
	s_lshr_b32 s1, s1, 29
	v_xor_b32_e32 v24, 1, v15
	s_sub_i32 s8, s8, s9
	v_cndmask_b32_e32 v16, v15, v16, vcc
	v_cmp_lt_i32_e32 vcc, v17, v12
	s_add_i32 s0, s17, s0
	s_add_i32 s1, s17, s1
	v_mul_lo_u32 v8, s8, v8
	v_cndmask_b32_e32 v17, v15, v17, vcc
	v_cmp_lt_i32_e32 vcc, v24, v12
	s_and_b32 s0, s0, -2
	s_ashr_i32 s1, s1, 3
	v_cndmask_b32_e32 v12, v15, v24, vcc
	v_lshl_add_u32 v8, v8, 8, v11
	s_mov_b32 s6, 0
	s_mov_b64 s[4:5], 0
	v_mov_b32_e32 v20, s15
	s_mov_b32 s7, 0x800000
	v_add_u32_e32 v23, s0, v21
	v_cmp_gt_i32_e32 vcc, s1, v10
	v_lshlrev_b32_e32 v24, 2, v13
	v_lshlrev_b32_e32 v25, 2, v14
	;; [unrolled: 1-line block ×5, first 2 shown]
	v_or_b32_e32 v8, v8, v9
	s_waitcnt vmcnt(1)
	v_lshrrev_b32_e32 v29, 16, v0
	s_waitcnt vmcnt(0)
	v_lshrrev_b32_e32 v30, 16, v4
	v_lshrrev_b32_e32 v31, 16, v1
	v_lshrrev_b32_e32 v32, 16, v5
	v_lshrrev_b32_e32 v33, 16, v2
	v_lshrrev_b32_e32 v34, 16, v6
	v_lshrrev_b32_e32 v35, 16, v3
	v_lshrrev_b32_e32 v36, 16, v7
	s_branch .LBB70_10
.LBB70_9:                               ;   in Loop: Header=BB70_10 Depth=1
	s_or_b64 exec, exec, s[0:1]
	v_ashrrev_i32_e32 v9, 31, v8
	v_cvt_f16_f32_e32 v37, v10
	v_cvt_f16_f32_e32 v38, v11
	;; [unrolled: 1-line block ×8, first 2 shown]
	v_lshlrev_b64 v[10:11], 1, v[8:9]
	v_mov_b32_e32 v9, s3
	v_add_co_u32_e64 v14, s[0:1], s2, v10
	v_addc_co_u32_e64 v15, s[0:1], v9, v11, s[0:1]
	s_add_i32 s6, s6, 1
	v_cmp_ge_i32_e64 s[0:1], s6, v19
	v_pack_b32_f16 v13, v13, v16
	v_pack_b32_f16 v12, v12, v41
	v_pack_b32_f16 v11, v39, v40
	v_pack_b32_f16 v10, v37, v38
	v_add_u32_e32 v8, 0x100, v8
	s_or_b64 s[4:5], s[0:1], s[4:5]
	v_add_u32_e32 v22, 0x200, v22
	global_store_dwordx4 v[14:15], v[10:13], off
	s_andn2_b64 exec, exec, s[4:5]
	s_cbranch_execz .LBB70_12
.LBB70_10:                              ; =>This Inner Loop Header: Depth=1
	ds_read_b128 v[10:13], v22
	v_mov_b32_e32 v37, v20
	s_waitcnt lgkmcnt(0)
	v_cvt_f32_f16_sdwa v15, v10 dst_sel:DWORD dst_unused:UNUSED_PAD src0_sel:WORD_1
	v_cvt_f32_f16_e32 v14, v10
	v_cvt_f32_f16_sdwa v39, v11 dst_sel:DWORD dst_unused:UNUSED_PAD src0_sel:WORD_1
	v_cvt_f32_f16_e32 v38, v11
	;; [unrolled: 2-line block ×4, first 2 shown]
	v_pk_mul_f32 v[12:13], v[14:15], v[14:15]
	v_pk_mul_f32 v[42:43], v[38:39], v[38:39]
	v_add_f32_e32 v9, v12, v13
	v_add_f32_e32 v9, v9, v42
	v_pk_mul_f32 v[44:45], v[40:41], v[40:41]
	v_add_f32_e32 v9, v9, v43
	v_add_f32_e32 v9, v9, v44
	;; [unrolled: 3-line block ×3, first 2 shown]
	v_add_f32_e32 v9, v9, v11
	ds_bpermute_b32 v10, v24, v9
	v_add_u32_e32 v11, s6, v18
	v_cmp_gt_i32_e64 s[0:1], s12, v11
	v_cndmask_b32_e64 v11, v30, v29, s[0:1]
	v_cndmask_b32_e64 v12, v4, v0, s[0:1]
	s_waitcnt lgkmcnt(0)
	v_add_f32_e32 v9, v9, v10
	ds_bpermute_b32 v10, v25, v9
	v_cndmask_b32_e64 v13, v32, v31, s[0:1]
	v_cndmask_b32_e64 v42, v5, v1, s[0:1]
	;; [unrolled: 1-line block ×4, first 2 shown]
	s_waitcnt lgkmcnt(0)
	v_add_f32_e32 v9, v9, v10
	ds_bpermute_b32 v10, v26, v9
	v_cndmask_b32_e64 v45, v36, v35, s[0:1]
	v_cndmask_b32_e64 v47, v7, v3, s[0:1]
	v_cvt_f32_f16_e32 v11, v11
	v_cvt_f32_f16_e32 v13, v13
	s_waitcnt lgkmcnt(0)
	v_add_f32_e32 v9, v9, v10
	ds_bpermute_b32 v10, v27, v9
	v_cvt_f32_f16_e32 v43, v43
	v_cvt_f32_f16_e32 v45, v45
	s_waitcnt lgkmcnt(0)
	v_add_f32_e32 v9, v9, v10
	ds_bpermute_b32 v46, v28, v9
	v_cvt_f32_f16_e32 v10, v12
	v_cvt_f32_f16_e32 v12, v42
	;; [unrolled: 1-line block ×4, first 2 shown]
	s_waitcnt lgkmcnt(0)
	v_add_f32_e32 v9, v9, v46
	v_fmac_f32_e32 v37, 0x3b800000, v9
	v_mul_f32_e32 v9, 0x4b800000, v37
	v_cmp_gt_f32_e64 s[0:1], s7, v37
	v_cndmask_b32_e64 v9, v37, v9, s[0:1]
	v_rsq_f32_e32 v9, v9
	v_mul_f32_e32 v37, 0x45800000, v9
	v_cndmask_b32_e64 v46, v9, v37, s[0:1]
	v_pk_mul_f32 v[10:11], v[46:47], v[10:11] op_sel_hi:[0,1]
	v_pk_mul_f32 v[12:13], v[46:47], v[12:13] op_sel_hi:[0,1]
	v_pk_mul_f32 v[10:11], v[10:11], v[14:15]
	v_pk_mul_f32 v[12:13], v[12:13], v[38:39]
	v_pk_mul_f32 v[14:15], v[46:47], v[42:43] op_sel_hi:[0,1]
	v_pk_mul_f32 v[38:39], v[46:47], v[44:45] op_sel_hi:[0,1]
	v_pk_mul_f32 v[14:15], v[14:15], v[40:41]
	v_pk_mul_f32 v[16:17], v[38:39], v[16:17]
	s_and_saveexec_b64 s[0:1], vcc
	s_cbranch_execz .LBB70_9
; %bb.11:                               ;   in Loop: Header=BB70_10 Depth=1
	ds_read_b64 v[38:39], v21
	ds_read_b64 v[40:41], v23
	s_waitcnt lgkmcnt(1)
	v_lshlrev_b32_e32 v42, 16, v38
	s_waitcnt lgkmcnt(0)
	v_lshlrev_b32_e32 v44, 16, v40
	v_pk_mul_f32 v[44:45], v[10:11], v[44:45] op_sel_hi:[1,0]
	v_pk_mul_f32 v[46:47], v[10:11], v[42:43] op_sel_hi:[1,0]
	v_pk_fma_f32 v[10:11], v[10:11], v[42:43], v[44:45] op_sel:[0,0,1] op_sel_hi:[1,0,0]
	v_and_b32_e32 v10, 0xffff0000, v40
	v_and_b32_e32 v38, 0xffff0000, v38
	v_pk_mul_f32 v[42:43], v[12:13], v[10:11] op_sel_hi:[1,0]
	v_pk_fma_f32 v[48:49], v[12:13], v[38:39], v[42:43] op_sel:[0,0,1] op_sel_hi:[1,0,0] neg_lo:[0,0,1] neg_hi:[0,0,1]
	v_pk_fma_f32 v[12:13], v[12:13], v[38:39], v[42:43] op_sel:[0,0,1] op_sel_hi:[1,0,0]
	v_lshlrev_b32_e32 v12, 16, v41
	v_lshlrev_b32_e32 v10, 16, v39
	v_pk_mul_f32 v[42:43], v[14:15], v[12:13] op_sel_hi:[1,0]
	v_and_b32_e32 v39, 0xffff0000, v39
	v_and_b32_e32 v38, 0xffff0000, v41
	v_mov_b32_e32 v12, v17
	v_pk_fma_f32 v[50:51], v[14:15], v[10:11], v[42:43] op_sel:[0,0,1] op_sel_hi:[1,0,0] neg_lo:[0,0,1] neg_hi:[0,0,1]
	v_pk_fma_f32 v[14:15], v[14:15], v[10:11], v[42:43] op_sel:[0,0,1] op_sel_hi:[1,0,0]
	v_mov_b32_e32 v10, v39
	v_pk_mul_f32 v[40:41], v[12:13], v[38:39]
	v_pk_mul_f32 v[42:43], v[16:17], v[38:39]
	v_pk_fma_f32 v[40:41], v[16:17], v[10:11], v[40:41] op_sel_hi:[1,0,1] neg_lo:[0,0,1] neg_hi:[0,0,1]
	v_mov_b32_e32 v10, v43
	v_pk_fma_f32 v[38:39], v[16:17], v[38:39], v[10:11]
	v_sub_f32_e32 v10, v46, v45
	v_mov_b32_e32 v12, v48
	v_mov_b32_e32 v14, v50
	;; [unrolled: 1-line block ×4, first 2 shown]
	s_branch .LBB70_9
.LBB70_12:
	s_endpgm
	.section	.rodata,"a",@progbits
	.p2align	6, 0x0
	.amdhsa_kernel _ZN12tensorrt_llm7kernels32fusedQKNormRopeKernelNTokenHeadsIN3c104HalfENS2_8BFloat16ELi256ELb1ELi8EEEvPviiifPKvS7_S7_PKlii
		.amdhsa_group_segment_fixed_size 0
		.amdhsa_private_segment_fixed_size 0
		.amdhsa_kernarg_size 320
		.amdhsa_user_sgpr_count 6
		.amdhsa_user_sgpr_private_segment_buffer 1
		.amdhsa_user_sgpr_dispatch_ptr 0
		.amdhsa_user_sgpr_queue_ptr 0
		.amdhsa_user_sgpr_kernarg_segment_ptr 1
		.amdhsa_user_sgpr_dispatch_id 0
		.amdhsa_user_sgpr_flat_scratch_init 0
		.amdhsa_user_sgpr_kernarg_preload_length 0
		.amdhsa_user_sgpr_kernarg_preload_offset 0
		.amdhsa_user_sgpr_private_segment_size 0
		.amdhsa_uses_dynamic_stack 0
		.amdhsa_system_sgpr_private_segment_wavefront_offset 0
		.amdhsa_system_sgpr_workgroup_id_x 1
		.amdhsa_system_sgpr_workgroup_id_y 0
		.amdhsa_system_sgpr_workgroup_id_z 0
		.amdhsa_system_sgpr_workgroup_info 0
		.amdhsa_system_vgpr_workitem_id 0
		.amdhsa_next_free_vgpr 52
		.amdhsa_next_free_sgpr 24
		.amdhsa_accum_offset 52
		.amdhsa_reserve_vcc 1
		.amdhsa_reserve_flat_scratch 0
		.amdhsa_float_round_mode_32 0
		.amdhsa_float_round_mode_16_64 0
		.amdhsa_float_denorm_mode_32 3
		.amdhsa_float_denorm_mode_16_64 3
		.amdhsa_dx10_clamp 1
		.amdhsa_ieee_mode 1
		.amdhsa_fp16_overflow 0
		.amdhsa_tg_split 0
		.amdhsa_exception_fp_ieee_invalid_op 0
		.amdhsa_exception_fp_denorm_src 0
		.amdhsa_exception_fp_ieee_div_zero 0
		.amdhsa_exception_fp_ieee_overflow 0
		.amdhsa_exception_fp_ieee_underflow 0
		.amdhsa_exception_fp_ieee_inexact 0
		.amdhsa_exception_int_div_zero 0
	.end_amdhsa_kernel
	.section	.text._ZN12tensorrt_llm7kernels32fusedQKNormRopeKernelNTokenHeadsIN3c104HalfENS2_8BFloat16ELi256ELb1ELi8EEEvPviiifPKvS7_S7_PKlii,"axG",@progbits,_ZN12tensorrt_llm7kernels32fusedQKNormRopeKernelNTokenHeadsIN3c104HalfENS2_8BFloat16ELi256ELb1ELi8EEEvPviiifPKvS7_S7_PKlii,comdat
.Lfunc_end70:
	.size	_ZN12tensorrt_llm7kernels32fusedQKNormRopeKernelNTokenHeadsIN3c104HalfENS2_8BFloat16ELi256ELb1ELi8EEEvPviiifPKvS7_S7_PKlii, .Lfunc_end70-_ZN12tensorrt_llm7kernels32fusedQKNormRopeKernelNTokenHeadsIN3c104HalfENS2_8BFloat16ELi256ELb1ELi8EEEvPviiifPKvS7_S7_PKlii
                                        ; -- End function
	.section	.AMDGPU.csdata,"",@progbits
; Kernel info:
; codeLenInByte = 1776
; NumSgprs: 28
; NumVgprs: 52
; NumAgprs: 0
; TotalNumVgprs: 52
; ScratchSize: 0
; MemoryBound: 0
; FloatMode: 240
; IeeeMode: 1
; LDSByteSize: 0 bytes/workgroup (compile time only)
; SGPRBlocks: 3
; VGPRBlocks: 6
; NumSGPRsForWavesPerEU: 28
; NumVGPRsForWavesPerEU: 52
; AccumOffset: 52
; Occupancy: 8
; WaveLimiterHint : 0
; COMPUTE_PGM_RSRC2:SCRATCH_EN: 0
; COMPUTE_PGM_RSRC2:USER_SGPR: 6
; COMPUTE_PGM_RSRC2:TRAP_HANDLER: 0
; COMPUTE_PGM_RSRC2:TGID_X_EN: 1
; COMPUTE_PGM_RSRC2:TGID_Y_EN: 0
; COMPUTE_PGM_RSRC2:TGID_Z_EN: 0
; COMPUTE_PGM_RSRC2:TIDIG_COMP_CNT: 0
; COMPUTE_PGM_RSRC3_GFX90A:ACCUM_OFFSET: 12
; COMPUTE_PGM_RSRC3_GFX90A:TG_SPLIT: 0
	.section	.text._ZN12tensorrt_llm7kernels32fusedQKNormRopeKernelNTokenHeadsIN3c104HalfENS2_8BFloat16ELi256ELb0ELi8EEEvPviiifPKvS7_S7_PKlii,"axG",@progbits,_ZN12tensorrt_llm7kernels32fusedQKNormRopeKernelNTokenHeadsIN3c104HalfENS2_8BFloat16ELi256ELb0ELi8EEEvPviiifPKvS7_S7_PKlii,comdat
	.protected	_ZN12tensorrt_llm7kernels32fusedQKNormRopeKernelNTokenHeadsIN3c104HalfENS2_8BFloat16ELi256ELb0ELi8EEEvPviiifPKvS7_S7_PKlii ; -- Begin function _ZN12tensorrt_llm7kernels32fusedQKNormRopeKernelNTokenHeadsIN3c104HalfENS2_8BFloat16ELi256ELb0ELi8EEEvPviiifPKvS7_S7_PKlii
	.globl	_ZN12tensorrt_llm7kernels32fusedQKNormRopeKernelNTokenHeadsIN3c104HalfENS2_8BFloat16ELi256ELb0ELi8EEEvPviiifPKvS7_S7_PKlii
	.p2align	8
	.type	_ZN12tensorrt_llm7kernels32fusedQKNormRopeKernelNTokenHeadsIN3c104HalfENS2_8BFloat16ELi256ELb0ELi8EEEvPviiifPKvS7_S7_PKlii,@function
_ZN12tensorrt_llm7kernels32fusedQKNormRopeKernelNTokenHeadsIN3c104HalfENS2_8BFloat16ELi256ELb0ELi8EEEvPviiifPKvS7_S7_PKlii: ; @_ZN12tensorrt_llm7kernels32fusedQKNormRopeKernelNTokenHeadsIN3c104HalfENS2_8BFloat16ELi256ELb0ELi8EEEvPviiifPKvS7_S7_PKlii
; %bb.0:
	s_load_dwordx4 s[12:15], s[4:5], 0x8
	s_load_dwordx2 s[2:3], s[4:5], 0x38
	s_load_dword s1, s[4:5], 0x4c
	v_lshrrev_b32_e32 v1, 5, v0
	s_waitcnt lgkmcnt(0)
	s_add_i32 s0, s13, s12
	s_add_i32 s7, s0, 7
	s_ashr_i32 s8, s7, 31
	s_lshr_b32 s8, s8, 29
	s_add_i32 s7, s7, s8
	s_ashr_i32 s20, s7, 3
	s_abs_i32 s7, s20
	v_cvt_f32_u32_e32 v2, s7
	s_bfe_u32 s1, s1, 0xb0005
	s_mul_i32 s6, s6, s1
	v_rcp_iflag_f32_e32 v3, v2
	v_add_u32_e32 v2, s6, v1
	s_sub_i32 s6, 0, s7
	v_sub_u32_e32 v4, 0, v2
	v_mul_f32_e32 v3, 0x4f7ffffe, v3
	v_cvt_u32_f32_e32 v3, v3
	v_max_i32_e32 v4, v2, v4
	v_xor_b32_e32 v5, s20, v2
	v_ashrrev_i32_e32 v5, 31, v5
	v_mul_lo_u32 v6, s6, v3
	v_mul_hi_u32 v6, v3, v6
	v_add_u32_e32 v3, v3, v6
	v_mul_hi_u32 v3, v4, v3
	v_mul_lo_u32 v6, v3, s7
	v_sub_u32_e32 v4, v4, v6
	v_add_u32_e32 v6, 1, v3
	v_cmp_le_u32_e32 vcc, s7, v4
	v_cndmask_b32_e32 v3, v3, v6, vcc
	v_subrev_u32_e32 v6, s7, v4
	v_cndmask_b32_e32 v4, v4, v6, vcc
	v_add_u32_e32 v6, 1, v3
	v_cmp_le_u32_e32 vcc, s7, v4
	v_cndmask_b32_e32 v3, v3, v6, vcc
	v_xor_b32_e32 v3, v3, v5
	v_sub_u32_e32 v8, v3, v5
	v_cmp_gt_i32_e32 vcc, s2, v8
	s_and_saveexec_b64 s[6:7], vcc
	s_cbranch_execz .LBB71_12
; %bb.1:
	v_mul_lo_u32 v3, v8, s20
	v_sub_u32_e32 v3, v2, v3
	s_load_dwordx2 s[16:17], s[4:5], 0x0
	v_lshlrev_b32_e32 v10, 3, v3
	v_add_u32_e32 v3, 8, v10
	v_sub_u32_e32 v4, s0, v10
	v_cmp_lt_i32_e32 vcc, s0, v3
	v_and_b32_e32 v30, 31, v0
	v_cndmask_b32_e32 v11, 8, v4, vcc
	s_lshl_b32 s2, s3, 1
	s_mul_i32 s21, s2, s1
	v_lshlrev_b32_e32 v33, 12, v1
	v_cmp_lt_i32_e64 s[0:1], 0, v11
	v_lshlrev_b32_e32 v34, 4, v30
	v_lshlrev_b32_e32 v35, 11, v2
	s_and_saveexec_b64 s[6:7], s[0:1]
	s_cbranch_execz .LBB71_4
; %bb.2:
	s_add_i32 s8, s21, 0
	v_add3_u32 v4, s8, v33, v34
	s_add_i32 s8, s14, s13
	s_add_i32 s8, s8, s12
	s_lshl_b32 s9, s20, 3
	s_sub_i32 s8, s8, s9
	v_mul_lo_u32 v2, s8, v8
	v_lshl_add_u32 v2, v2, 8, v35
	s_mov_b32 s10, 0
	v_lshl_or_b32 v2, v30, 3, v2
	s_mov_b64 s[8:9], 0
	s_waitcnt lgkmcnt(0)
	v_mov_b32_e32 v5, s17
.LBB71_3:                               ; =>This Inner Loop Header: Depth=1
	v_ashrrev_i32_e32 v3, 31, v2
	v_lshlrev_b64 v[6:7], 1, v[2:3]
	v_add_co_u32_e32 v6, vcc, s16, v6
	v_addc_co_u32_e32 v7, vcc, v5, v7, vcc
	global_load_dwordx4 v[12:15], v[6:7], off
	s_add_i32 s10, s10, 1
	v_cmp_ge_i32_e32 vcc, s10, v11
	v_add_u32_e32 v2, 0x100, v2
	s_or_b64 s[8:9], vcc, s[8:9]
	s_waitcnt vmcnt(0)
	ds_write_b128 v4, v[12:15]
	v_add_u32_e32 v4, 0x200, v4
	s_andn2_b64 exec, exec, s[8:9]
	s_cbranch_execnz .LBB71_3
.LBB71_4:
	s_or_b64 exec, exec, s[6:7]
	s_add_i32 s2, s2, 15
	s_load_dwordx8 s[4:11], s[4:5], 0x18
	s_ashr_i32 s18, s2, 31
	s_lshr_b32 s18, s18, 28
	s_add_i32 s2, s2, s18
	s_ashr_i32 s2, s2, 4
	v_cmp_gt_i32_e32 vcc, s2, v30
	v_mul_lo_u32 v12, v1, s3
	s_and_saveexec_b64 s[18:19], vcc
	s_cbranch_execz .LBB71_7
; %bb.5:
	v_ashrrev_i32_e32 v9, 31, v8
	v_lshlrev_b64 v[2:3], 3, v[8:9]
	s_waitcnt lgkmcnt(0)
	v_mov_b32_e32 v1, s11
	v_add_co_u32_e32 v2, vcc, s10, v2
	v_addc_co_u32_e32 v3, vcc, v1, v3, vcc
	global_load_dwordx2 v[4:5], v[2:3], off
	s_ashr_i32 s22, s3, 31
	v_lshlrev_b32_e32 v1, 1, v12
	v_and_b32_e32 v0, 31, v0
	v_add3_u32 v2, v1, v34, 0
	v_lshlrev_b32_e32 v6, 4, v0
	v_mov_b32_e32 v3, s9
	s_mov_b64 s[10:11], 0
	s_waitcnt vmcnt(0)
	v_mul_lo_u32 v5, v5, s3
	v_mul_lo_u32 v7, v4, s22
	v_mad_u64_u32 v[0:1], s[22:23], v4, s3, 0
	v_add3_u32 v1, v1, v7, v5
	v_lshlrev_b64 v[0:1], 1, v[0:1]
	v_add_co_u32_e32 v0, vcc, v0, v6
	v_addc_co_u32_e32 v1, vcc, 0, v1, vcc
	v_add_co_u32_e32 v0, vcc, s8, v0
	v_addc_co_u32_e32 v1, vcc, v3, v1, vcc
	v_mov_b32_e32 v3, v30
.LBB71_6:                               ; =>This Inner Loop Header: Depth=1
	global_load_dwordx4 v[4:7], v[0:1], off
	v_add_co_u32_e32 v0, vcc, 0x200, v0
	v_add_u32_e32 v3, 32, v3
	v_addc_co_u32_e32 v1, vcc, 0, v1, vcc
	v_cmp_le_i32_e32 vcc, s2, v3
	s_or_b64 s[10:11], vcc, s[10:11]
	s_waitcnt vmcnt(0)
	ds_write_b128 v2, v[4:7]
	v_add_u32_e32 v2, 0x200, v2
	s_andn2_b64 exec, exec, s[10:11]
	s_cbranch_execnz .LBB71_6
.LBB71_7:
	s_or_b64 exec, exec, s[18:19]
	s_and_b64 exec, exec, s[0:1]
	s_cbranch_execz .LBB71_12
; %bb.8:
	s_waitcnt lgkmcnt(0)
	global_load_dwordx4 v[0:3], v34, s[4:5]
	global_load_dwordx4 v[4:7], v34, s[6:7]
	v_lshl_add_u32 v9, v12, 1, 0
	v_mbcnt_lo_u32_b32 v12, -1, 0
	s_abs_i32 s4, s3
	v_mbcnt_hi_u32_b32 v17, -1, v12
	v_cvt_f32_u32_e32 v14, s4
	v_and_b32_e32 v12, 0x60, v17
	v_xor_b32_e32 v13, 16, v17
	v_add_u32_e32 v12, 32, v12
	v_xor_b32_e32 v15, 8, v17
	v_cmp_lt_i32_e32 vcc, v13, v12
	v_xor_b32_e32 v16, 4, v17
	v_cndmask_b32_e32 v13, v17, v13, vcc
	v_cmp_lt_i32_e32 vcc, v15, v12
	v_rcp_iflag_f32_e32 v22, v14
	v_xor_b32_e32 v18, 2, v17
	v_cndmask_b32_e32 v15, v17, v15, vcc
	v_cmp_lt_i32_e32 vcc, v16, v12
	v_cndmask_b32_e32 v16, v17, v16, vcc
	v_cmp_lt_i32_e32 vcc, v18, v12
	v_xor_b32_e32 v19, 1, v17
	v_cndmask_b32_e32 v18, v17, v18, vcc
	v_cmp_lt_i32_e32 vcc, v19, v12
	v_lshlrev_b32_e32 v12, 2, v13
	v_lshlrev_b32_e32 v13, 2, v15
	;; [unrolled: 1-line block ×3, first 2 shown]
	v_mul_f32_e32 v18, 0x4f7ffffe, v22
	v_cvt_u32_f32_e32 v18, v18
	s_sub_i32 s5, 0, s4
	v_cndmask_b32_e32 v19, v17, v19, vcc
	s_ashr_i32 s1, s3, 31
	v_lshlrev_b32_e32 v14, 2, v16
	v_lshlrev_b32_e32 v16, 2, v19
	v_mul_lo_u32 v19, s5, v18
	s_lshr_b32 s2, s1, 29
	s_lshr_b32 s1, s1, 28
	v_mul_hi_u32 v19, v18, v19
	s_lshr_b32 s0, s3, 31
	s_add_i32 s1, s3, s1
	v_add_u32_e32 v46, v18, v19
	s_add_i32 s0, s3, s0
	v_and_b32_e32 v20, 64, v17
	s_ashr_i32 s1, s1, 4
	v_mul_hi_u32 v18, v34, v46
	s_and_b32 s0, s0, -2
	s_add_i32 s2, s3, s2
	v_add_u32_e32 v20, 64, v20
	v_xor_b32_e32 v21, s1, v17
	v_mul_lo_u32 v18, v18, s4
	v_or_b32_e32 v28, 2, v34
	v_add_u32_e32 v45, s0, v9
	s_ashr_i32 s0, s2, 3
	v_cmp_lt_i32_e64 s[2:3], v21, v20
	v_sub_u32_e32 v18, v34, v18
	v_cndmask_b32_e64 v17, v17, v21, s[2:3]
	v_subrev_u32_e32 v19, s4, v18
	v_cmp_le_u32_e64 s[2:3], s4, v18
	v_mul_hi_u32 v29, v28, v46
	v_cndmask_b32_e64 v18, v18, v19, s[2:3]
	v_mul_lo_u32 v29, v29, s4
	v_or_b32_e32 v31, 4, v34
	v_subrev_u32_e32 v19, s4, v18
	v_cmp_le_u32_e64 s[2:3], s4, v18
	v_sub_u32_e32 v28, v28, v29
	v_cndmask_b32_e64 v18, v18, v19, s[2:3]
	v_subrev_u32_e32 v29, s4, v28
	v_cmp_le_u32_e64 s[2:3], s4, v28
	v_mul_hi_u32 v32, v31, v46
	v_cndmask_b32_e64 v28, v28, v29, s[2:3]
	v_mul_lo_u32 v32, v32, s4
	v_or_b32_e32 v36, 6, v34
	v_subrev_u32_e32 v29, s4, v28
	v_cmp_le_u32_e64 s[2:3], s4, v28
	;; [unrolled: 10-line block ×6, first 2 shown]
	v_sub_u32_e32 v42, v42, v43
	v_cndmask_b32_e64 v40, v40, v41, s[2:3]
	v_subrev_u32_e32 v43, s4, v42
	v_cmp_le_u32_e64 s[2:3], s4, v42
	v_mul_hi_u32 v46, v44, v46
	v_cndmask_b32_e64 v42, v42, v43, s[2:3]
	v_mul_lo_u32 v46, v46, s4
	v_subrev_u32_e32 v43, s4, v42
	v_cmp_le_u32_e64 s[2:3], s4, v42
	v_sub_u32_e32 v44, v44, v46
	v_cndmask_b32_e64 v42, v42, v43, s[2:3]
	v_subrev_u32_e32 v46, s4, v44
	v_cmp_le_u32_e64 s[2:3], s4, v44
	v_cndmask_b32_e64 v44, v44, v46, s[2:3]
	v_subrev_u32_e32 v46, s4, v44
	v_cmp_le_u32_e64 s[2:3], s4, v44
	v_cndmask_b32_e64 v44, v44, v46, s[2:3]
	s_add_i32 s2, s14, s13
	s_add_i32 s2, s2, s12
	s_lshl_b32 s3, s20, 3
	s_sub_i32 s2, s2, s3
	v_and_b32_e32 v27, -2, v18
	v_and_b32_e32 v29, -2, v28
	;; [unrolled: 1-line block ×8, first 2 shown]
	v_mul_lo_u32 v8, s2, v8
	v_add_u32_e32 v26, v9, v27
	v_add_u32_e32 v28, v9, v29
	;; [unrolled: 1-line block ×8, first 2 shown]
	v_lshl_add_u32 v8, v8, 8, v35
	v_add_u32_e32 v9, s21, v33
	s_mov_b32 s8, 0
	v_cmp_gt_i32_e32 vcc, s0, v30
	v_cmp_gt_i32_e64 s[0:1], s1, v30
	v_lshlrev_b32_e32 v17, 2, v17
	s_waitcnt vmcnt(1)
	v_lshrrev_b32_e32 v18, 16, v0
	v_lshrrev_b32_e32 v19, 16, v1
	;; [unrolled: 1-line block ×4, first 2 shown]
	s_waitcnt vmcnt(0)
	v_lshrrev_b32_e32 v22, 16, v4
	v_lshrrev_b32_e32 v23, 16, v5
	;; [unrolled: 1-line block ×4, first 2 shown]
	v_add_u32_e32 v27, v45, v27
	v_add_u32_e32 v29, v45, v29
	;; [unrolled: 1-line block ×8, first 2 shown]
	v_lshl_or_b32 v8, v30, 3, v8
	v_add3_u32 v30, v9, v34, 0
	s_mov_b64 s[6:7], 0
	s_mov_b32 s9, 0x800000
	s_branch .LBB71_10
.LBB71_9:                               ;   in Loop: Header=BB71_10 Depth=1
	s_or_b64 exec, exec, s[2:3]
	v_cvt_f16_f32_e32 v52, v9
	v_ashrrev_i32_e32 v9, 31, v8
	v_cvt_f16_f32_e32 v50, v49
	v_cvt_f16_f32_e32 v51, v48
	;; [unrolled: 1-line block ×7, first 2 shown]
	v_lshlrev_b64 v[34:35], 1, v[8:9]
	v_mov_b32_e32 v9, s17
	v_add_co_u32_e64 v34, s[2:3], s16, v34
	v_addc_co_u32_e64 v35, s[2:3], v9, v35, s[2:3]
	s_add_i32 s8, s8, 1
	v_cmp_ge_i32_e64 s[2:3], s8, v11
	v_pack_b32_f16 v49, v49, v52
	v_pack_b32_f16 v48, v33, v48
	;; [unrolled: 1-line block ×4, first 2 shown]
	v_add_u32_e32 v8, 0x100, v8
	s_or_b64 s[6:7], s[2:3], s[6:7]
	v_add_u32_e32 v30, 0x200, v30
	global_store_dwordx4 v[34:35], v[46:49], off
	s_andn2_b64 exec, exec, s[6:7]
	s_cbranch_execz .LBB71_12
.LBB71_10:                              ; =>This Inner Loop Header: Depth=1
	ds_read_b128 v[46:49], v30
	s_waitcnt lgkmcnt(0)
	v_cvt_f32_f16_sdwa v9, v46 dst_sel:DWORD dst_unused:UNUSED_PAD src0_sel:WORD_1
	v_cvt_f32_f16_sdwa v35, v47 dst_sel:DWORD dst_unused:UNUSED_PAD src0_sel:WORD_1
	v_cvt_f32_f16_e32 v34, v47
	v_cvt_f32_f16_sdwa v51, v48 dst_sel:DWORD dst_unused:UNUSED_PAD src0_sel:WORD_1
	v_cvt_f32_f16_e32 v50, v48
	v_mul_f32_e32 v33, v9, v9
	v_cvt_f32_f16_sdwa v53, v49 dst_sel:DWORD dst_unused:UNUSED_PAD src0_sel:WORD_1
	v_cvt_f32_f16_e32 v52, v49
	v_pk_mul_f32 v[48:49], v[34:35], v[34:35]
	v_fma_mix_f32 v33, v46, v46, v33 op_sel_hi:[1,1,0]
	v_add_f32_e32 v33, v33, v48
	v_add_f32_e32 v33, v33, v49
	v_pk_mul_f32 v[48:49], v[50:51], v[50:51]
	v_add_f32_e32 v33, v33, v48
	v_add_f32_e32 v33, v33, v49
	v_pk_mul_f32 v[48:49], v[52:53], v[52:53]
	v_add_f32_e32 v33, v33, v48
	v_add_f32_e32 v33, v33, v49
	ds_bpermute_b32 v47, v12, v33
	v_mov_b32_e32 v49, s15
	v_add_u32_e32 v48, s8, v10
	v_cmp_gt_i32_e64 s[2:3], s12, v48
	v_cndmask_b32_e64 v48, v4, v0, s[2:3]
	s_waitcnt lgkmcnt(0)
	v_add_f32_e32 v33, v33, v47
	ds_bpermute_b32 v47, v13, v33
	v_cndmask_b32_e64 v54, v22, v18, s[2:3]
	v_cndmask_b32_e64 v55, v5, v1, s[2:3]
	v_cvt_f32_f16_e32 v48, v48
	v_cndmask_b32_e64 v56, v23, v19, s[2:3]
	s_waitcnt lgkmcnt(0)
	v_add_f32_e32 v33, v33, v47
	ds_bpermute_b32 v47, v14, v33
	v_cvt_f32_f16_e32 v54, v54
	v_cvt_f32_f16_e32 v55, v55
	v_cndmask_b32_e64 v57, v6, v2, s[2:3]
	v_cvt_f32_f16_e32 v46, v46
	s_waitcnt lgkmcnt(0)
	v_add_f32_e32 v33, v33, v47
	ds_bpermute_b32 v47, v15, v33
	v_cndmask_b32_e64 v58, v24, v20, s[2:3]
	s_waitcnt lgkmcnt(0)
	v_add_f32_e32 v33, v33, v47
	ds_bpermute_b32 v47, v16, v33
	s_waitcnt lgkmcnt(0)
	v_add_f32_e32 v33, v33, v47
	v_fmac_f32_e32 v49, 0x3b800000, v33
	v_mul_f32_e32 v33, 0x4b800000, v49
	v_cmp_gt_f32_e64 s[4:5], s9, v49
	v_cndmask_b32_e64 v33, v49, v33, s[4:5]
	v_rsq_f32_e32 v33, v33
	v_cvt_f32_f16_e32 v47, v56
	v_cvt_f32_f16_e32 v56, v57
	v_mul_f32_e32 v49, 0x45800000, v33
	v_cndmask_b32_e64 v57, v33, v49, s[4:5]
	v_mul_f32_e32 v33, v57, v48
	v_mul_f32_e32 v48, v57, v54
	;; [unrolled: 1-line block ×6, first 2 shown]
	v_cvt_f32_f16_e32 v9, v58
	v_cndmask_b32_e64 v34, v7, v3, s[2:3]
	v_mul_f32_e32 v49, v33, v46
	v_mul_f32_e32 v46, v55, v35
	;; [unrolled: 1-line block ×3, first 2 shown]
	v_cvt_f32_f16_e32 v34, v34
	v_cndmask_b32_e64 v35, v25, v21, s[2:3]
	v_mul_f32_e32 v33, v33, v50
	v_cvt_f32_f16_e32 v50, v35
	v_mul_f32_e32 v9, v57, v9
	v_mul_f32_e32 v35, v9, v51
	;; [unrolled: 1-line block ×6, first 2 shown]
	s_and_saveexec_b64 s[2:3], vcc
	s_cbranch_execz .LBB71_9
; %bb.11:                               ;   in Loop: Header=BB71_10 Depth=1
	ds_bpermute_b32 v50, v17, v49
	ds_bpermute_b32 v51, v17, v48
	; wave barrier
	ds_read_u16 v52, v26
	ds_read_u16 v53, v27
	;; [unrolled: 1-line block ×8, first 2 shown]
	s_waitcnt lgkmcnt(9)
	v_cndmask_b32_e64 v50, v50, -v50, s[0:1]
	s_waitcnt lgkmcnt(6)
	v_lshlrev_b32_e32 v53, 16, v53
	v_lshlrev_b32_e32 v52, 16, v52
	v_mul_f32_e32 v50, v50, v53
	v_fmac_f32_e32 v50, v49, v52
	v_cndmask_b32_e64 v49, v51, -v51, s[0:1]
	ds_bpermute_b32 v51, v17, v47
	s_waitcnt lgkmcnt(5)
	v_lshlrev_b32_e32 v53, 16, v55
	v_mul_f32_e32 v53, v49, v53
	ds_bpermute_b32 v49, v17, v46
	v_lshlrev_b32_e32 v52, 16, v54
	v_fmac_f32_e32 v53, v48, v52
	s_waitcnt lgkmcnt(1)
	v_cndmask_b32_e64 v48, v51, -v51, s[0:1]
	v_lshlrev_b32_e32 v52, 16, v57
	v_mul_f32_e32 v52, v48, v52
	ds_bpermute_b32 v48, v17, v33
	v_lshlrev_b32_e32 v51, 16, v56
	v_fmac_f32_e32 v52, v47, v51
	s_waitcnt lgkmcnt(1)
	v_cndmask_b32_e64 v47, v49, -v49, s[0:1]
	;; [unrolled: 7-line block ×3, first 2 shown]
	ds_read_u16 v48, v38
	ds_read_u16 v49, v39
	ds_read_u16 v54, v40
	ds_read_u16 v55, v41
	ds_read_u16 v56, v42
	ds_read_u16 v57, v43
	ds_read_u16 v58, v44
	ds_read_u16 v59, v45
	s_waitcnt lgkmcnt(6)
	v_lshlrev_b32_e32 v49, 16, v49
	v_lshlrev_b32_e32 v48, 16, v48
	v_mul_f32_e32 v60, v46, v49
	v_fmac_f32_e32 v60, v33, v48
	v_cndmask_b32_e64 v33, v47, -v47, s[0:1]
	s_waitcnt lgkmcnt(4)
	v_lshlrev_b32_e32 v48, 16, v55
	ds_bpermute_b32 v46, v17, v34
	v_lshlrev_b32_e32 v47, 16, v54
	v_mul_f32_e32 v54, v33, v48
	v_fmac_f32_e32 v54, v35, v47
	ds_bpermute_b32 v35, v17, v9
	s_waitcnt lgkmcnt(1)
	v_cndmask_b32_e64 v33, v46, -v46, s[0:1]
	v_lshlrev_b32_e32 v47, 16, v57
	v_lshlrev_b32_e32 v46, 16, v56
	v_mul_f32_e32 v55, v33, v47
	s_waitcnt lgkmcnt(0)
	v_cndmask_b32_e64 v33, v35, -v35, s[0:1]
	v_lshlrev_b32_e32 v35, 16, v59
	v_fmac_f32_e32 v55, v34, v46
	v_lshlrev_b32_e32 v34, 16, v58
	v_mul_f32_e32 v56, v33, v35
	v_fmac_f32_e32 v56, v9, v34
	v_mov_b32_e32 v49, v50
	v_mov_b32_e32 v48, v53
	v_mov_b32_e32 v47, v52
	v_mov_b32_e32 v46, v51
	v_mov_b32_e32 v33, v60
	v_mov_b32_e32 v35, v54
	v_mov_b32_e32 v34, v55
	v_mov_b32_e32 v9, v56
	; wave barrier
	s_branch .LBB71_9
.LBB71_12:
	s_endpgm
	.section	.rodata,"a",@progbits
	.p2align	6, 0x0
	.amdhsa_kernel _ZN12tensorrt_llm7kernels32fusedQKNormRopeKernelNTokenHeadsIN3c104HalfENS2_8BFloat16ELi256ELb0ELi8EEEvPviiifPKvS7_S7_PKlii
		.amdhsa_group_segment_fixed_size 0
		.amdhsa_private_segment_fixed_size 0
		.amdhsa_kernarg_size 320
		.amdhsa_user_sgpr_count 6
		.amdhsa_user_sgpr_private_segment_buffer 1
		.amdhsa_user_sgpr_dispatch_ptr 0
		.amdhsa_user_sgpr_queue_ptr 0
		.amdhsa_user_sgpr_kernarg_segment_ptr 1
		.amdhsa_user_sgpr_dispatch_id 0
		.amdhsa_user_sgpr_flat_scratch_init 0
		.amdhsa_user_sgpr_kernarg_preload_length 0
		.amdhsa_user_sgpr_kernarg_preload_offset 0
		.amdhsa_user_sgpr_private_segment_size 0
		.amdhsa_uses_dynamic_stack 0
		.amdhsa_system_sgpr_private_segment_wavefront_offset 0
		.amdhsa_system_sgpr_workgroup_id_x 1
		.amdhsa_system_sgpr_workgroup_id_y 0
		.amdhsa_system_sgpr_workgroup_id_z 0
		.amdhsa_system_sgpr_workgroup_info 0
		.amdhsa_system_vgpr_workitem_id 0
		.amdhsa_next_free_vgpr 61
		.amdhsa_next_free_sgpr 24
		.amdhsa_accum_offset 64
		.amdhsa_reserve_vcc 1
		.amdhsa_reserve_flat_scratch 0
		.amdhsa_float_round_mode_32 0
		.amdhsa_float_round_mode_16_64 0
		.amdhsa_float_denorm_mode_32 3
		.amdhsa_float_denorm_mode_16_64 3
		.amdhsa_dx10_clamp 1
		.amdhsa_ieee_mode 1
		.amdhsa_fp16_overflow 0
		.amdhsa_tg_split 0
		.amdhsa_exception_fp_ieee_invalid_op 0
		.amdhsa_exception_fp_denorm_src 0
		.amdhsa_exception_fp_ieee_div_zero 0
		.amdhsa_exception_fp_ieee_overflow 0
		.amdhsa_exception_fp_ieee_underflow 0
		.amdhsa_exception_fp_ieee_inexact 0
		.amdhsa_exception_int_div_zero 0
	.end_amdhsa_kernel
	.section	.text._ZN12tensorrt_llm7kernels32fusedQKNormRopeKernelNTokenHeadsIN3c104HalfENS2_8BFloat16ELi256ELb0ELi8EEEvPviiifPKvS7_S7_PKlii,"axG",@progbits,_ZN12tensorrt_llm7kernels32fusedQKNormRopeKernelNTokenHeadsIN3c104HalfENS2_8BFloat16ELi256ELb0ELi8EEEvPviiifPKvS7_S7_PKlii,comdat
.Lfunc_end71:
	.size	_ZN12tensorrt_llm7kernels32fusedQKNormRopeKernelNTokenHeadsIN3c104HalfENS2_8BFloat16ELi256ELb0ELi8EEEvPviiifPKvS7_S7_PKlii, .Lfunc_end71-_ZN12tensorrt_llm7kernels32fusedQKNormRopeKernelNTokenHeadsIN3c104HalfENS2_8BFloat16ELi256ELb0ELi8EEEvPviiifPKvS7_S7_PKlii
                                        ; -- End function
	.section	.AMDGPU.csdata,"",@progbits
; Kernel info:
; codeLenInByte = 2724
; NumSgprs: 28
; NumVgprs: 61
; NumAgprs: 0
; TotalNumVgprs: 61
; ScratchSize: 0
; MemoryBound: 0
; FloatMode: 240
; IeeeMode: 1
; LDSByteSize: 0 bytes/workgroup (compile time only)
; SGPRBlocks: 3
; VGPRBlocks: 7
; NumSGPRsForWavesPerEU: 28
; NumVGPRsForWavesPerEU: 61
; AccumOffset: 64
; Occupancy: 8
; WaveLimiterHint : 0
; COMPUTE_PGM_RSRC2:SCRATCH_EN: 0
; COMPUTE_PGM_RSRC2:USER_SGPR: 6
; COMPUTE_PGM_RSRC2:TRAP_HANDLER: 0
; COMPUTE_PGM_RSRC2:TGID_X_EN: 1
; COMPUTE_PGM_RSRC2:TGID_Y_EN: 0
; COMPUTE_PGM_RSRC2:TGID_Z_EN: 0
; COMPUTE_PGM_RSRC2:TIDIG_COMP_CNT: 0
; COMPUTE_PGM_RSRC3_GFX90A:ACCUM_OFFSET: 15
; COMPUTE_PGM_RSRC3_GFX90A:TG_SPLIT: 0
	.section	.text._ZN12tensorrt_llm7kernels21fusedQKNormRopeKernelIN3c108BFloat16EfLi64ELb1EEEvPviiifPKvS6_S6_PKlii,"axG",@progbits,_ZN12tensorrt_llm7kernels21fusedQKNormRopeKernelIN3c108BFloat16EfLi64ELb1EEEvPviiifPKvS6_S6_PKlii,comdat
	.protected	_ZN12tensorrt_llm7kernels21fusedQKNormRopeKernelIN3c108BFloat16EfLi64ELb1EEEvPviiifPKvS6_S6_PKlii ; -- Begin function _ZN12tensorrt_llm7kernels21fusedQKNormRopeKernelIN3c108BFloat16EfLi64ELb1EEEvPviiifPKvS6_S6_PKlii
	.globl	_ZN12tensorrt_llm7kernels21fusedQKNormRopeKernelIN3c108BFloat16EfLi64ELb1EEEvPviiifPKvS6_S6_PKlii
	.p2align	8
	.type	_ZN12tensorrt_llm7kernels21fusedQKNormRopeKernelIN3c108BFloat16EfLi64ELb1EEEvPviiifPKvS6_S6_PKlii,@function
_ZN12tensorrt_llm7kernels21fusedQKNormRopeKernelIN3c108BFloat16EfLi64ELb1EEEvPviiifPKvS6_S6_PKlii: ; @_ZN12tensorrt_llm7kernels21fusedQKNormRopeKernelIN3c108BFloat16EfLi64ELb1EEEvPviiifPKvS6_S6_PKlii
; %bb.0:
	s_load_dwordx4 s[8:11], s[4:5], 0x8
	s_load_dwordx2 s[12:13], s[4:5], 0x38
	s_load_dword s1, s[4:5], 0x4c
	v_lshrrev_b32_e32 v2, 5, v0
	s_waitcnt lgkmcnt(0)
	s_add_i32 s0, s9, s8
	s_abs_i32 s2, s0
	v_cvt_f32_u32_e32 v1, s2
	s_bfe_u32 s1, s1, 0xb0005
	s_mul_i32 s6, s6, s1
	s_sub_i32 s1, 0, s2
	v_rcp_iflag_f32_e32 v3, v1
	v_add_u32_e32 v1, s6, v2
	v_sub_u32_e32 v4, 0, v1
	v_max_i32_e32 v4, v1, v4
	v_mul_f32_e32 v3, 0x4f7ffffe, v3
	v_cvt_u32_f32_e32 v3, v3
	v_xor_b32_e32 v2, s0, v1
	v_ashrrev_i32_e32 v2, 31, v2
	v_mul_lo_u32 v5, s1, v3
	v_mul_hi_u32 v5, v3, v5
	v_add_u32_e32 v3, v3, v5
	v_mul_hi_u32 v3, v4, v3
	v_mul_lo_u32 v5, v3, s2
	v_sub_u32_e32 v4, v4, v5
	v_add_u32_e32 v5, 1, v3
	v_cmp_le_u32_e32 vcc, s2, v4
	v_cndmask_b32_e32 v3, v3, v5, vcc
	v_subrev_u32_e32 v5, s2, v4
	v_cndmask_b32_e32 v4, v4, v5, vcc
	v_add_u32_e32 v5, 1, v3
	v_cmp_le_u32_e32 vcc, s2, v4
	v_cndmask_b32_e32 v3, v3, v5, vcc
	v_xor_b32_e32 v3, v3, v2
	v_sub_u32_e32 v2, v3, v2
	v_cmp_gt_i32_e32 vcc, s12, v2
	s_and_saveexec_b64 s[2:3], vcc
	s_cbranch_execz .LBB72_12
; %bb.1:
	v_and_b32_e32 v3, 31, v0
	v_mul_lo_u32 v0, v2, s0
	v_sub_u32_e32 v0, v1, v0
	v_mov_b32_e32 v1, s8
	v_cmp_gt_i32_e32 vcc, s8, v0
	v_cndmask_b32_e64 v1, v1, 0, vcc
	s_add_i32 s0, s0, s10
	s_load_dwordx2 s[2:3], s[4:5], 0x0
	v_sub_u32_e32 v0, v0, v1
	v_mul_lo_u32 v4, v2, s0
	v_add3_u32 v0, v4, v1, v0
	v_lshlrev_b32_e32 v1, 1, v3
	v_lshl_or_b32 v0, v0, 6, v1
	v_ashrrev_i32_e32 v1, 31, v0
	v_lshlrev_b64 v[0:1], 1, v[0:1]
	s_waitcnt lgkmcnt(0)
	v_mov_b32_e32 v4, s3
	v_add_co_u32_e64 v0, s[0:1], s2, v0
	v_addc_co_u32_e64 v1, s[0:1], v4, v1, s[0:1]
	global_load_dword v7, v[0:1], off
	s_load_dwordx8 s[0:7], s[4:5], 0x18
	v_lshlrev_b32_e32 v6, 2, v3
	s_waitcnt lgkmcnt(0)
	v_mov_b32_e32 v4, s3
	v_mov_b32_e32 v5, s1
	;; [unrolled: 1-line block ×4, first 2 shown]
	v_cndmask_b32_e32 v5, v4, v5, vcc
	v_cndmask_b32_e32 v4, v8, v9, vcc
	v_add_co_u32_e32 v4, vcc, v4, v6
	v_addc_co_u32_e32 v5, vcc, 0, v5, vcc
	global_load_dword v10, v[4:5], off
	v_mbcnt_lo_u32_b32 v4, -1, 0
	v_mbcnt_hi_u32_b32 v11, -1, v4
	v_and_b32_e32 v4, 0x60, v11
	v_xor_b32_e32 v5, 16, v11
	v_add_u32_e32 v12, 32, v4
	v_cmp_lt_i32_e32 vcc, v5, v12
	v_cndmask_b32_e32 v4, v11, v5, vcc
	v_lshlrev_b32_e32 v13, 2, v4
	s_mov_b32 s0, 0x800000
	s_lshr_b32 s2, s13, 31
	s_add_i32 s2, s13, s2
	s_mov_b32 s1, 0
	s_waitcnt vmcnt(1)
	v_and_b32_e32 v5, 0xffff0000, v7
	v_lshlrev_b32_e32 v4, 16, v7
	v_pk_mul_f32 v[8:9], v[4:5], v[4:5]
	v_add_f32_e32 v7, v9, v8
	ds_bpermute_b32 v8, v13, v7
	v_xor_b32_e32 v9, 8, v11
	v_cmp_lt_i32_e32 vcc, v9, v12
	v_cndmask_b32_e32 v9, v11, v9, vcc
	v_lshlrev_b32_e32 v9, 2, v9
	s_waitcnt lgkmcnt(0)
	v_add_f32_e32 v7, v7, v8
	ds_bpermute_b32 v8, v9, v7
	v_xor_b32_e32 v9, 4, v11
	v_cmp_lt_i32_e32 vcc, v9, v12
	v_cndmask_b32_e32 v9, v11, v9, vcc
	v_lshlrev_b32_e32 v9, 2, v9
	s_waitcnt lgkmcnt(0)
	;; [unrolled: 7-line block ×4, first 2 shown]
	v_add_f32_e32 v7, v7, v8
	ds_bpermute_b32 v8, v9, v7
	v_mov_b32_e32 v9, s11
	s_waitcnt lgkmcnt(0)
	v_add_f32_e32 v7, v7, v8
	v_fmac_f32_e32 v9, 0x3c800000, v7
	v_mul_f32_e32 v7, 0x4b800000, v9
	v_cmp_gt_f32_e32 vcc, s0, v9
	v_cndmask_b32_e32 v7, v9, v7, vcc
	v_rsq_f32_e32 v7, v7
	s_waitcnt vmcnt(0)
	v_and_b32_e32 v9, 0xffff0000, v10
	v_lshlrev_b32_e32 v8, 16, v10
	s_ashr_i32 s0, s2, 1
	v_mul_f32_e32 v10, 0x45800000, v7
	v_cndmask_b32_e32 v10, v7, v10, vcc
	v_pk_mul_f32 v[8:9], v[10:11], v[8:9] op_sel_hi:[0,1]
	v_pk_mul_f32 v[4:5], v[8:9], v[4:5]
	v_cmp_gt_i32_e32 vcc, s0, v3
	s_and_saveexec_b64 s[2:3], vcc
	s_cbranch_execz .LBB72_3
; %bb.2:
	v_ashrrev_i32_e32 v3, 31, v2
	v_lshlrev_b64 v[2:3], 3, v[2:3]
	v_mov_b32_e32 v7, s7
	v_add_co_u32_e32 v2, vcc, s6, v2
	v_addc_co_u32_e32 v3, vcc, v7, v3, vcc
	global_load_dwordx2 v[2:3], v[2:3], off
	s_ashr_i32 s6, s13, 31
	v_mov_b32_e32 v7, s5
	s_lshl_b64 s[0:1], s[0:1], 2
	v_mov_b32_e32 v8, s1
	s_waitcnt vmcnt(0)
	v_mul_lo_u32 v9, v3, s13
	v_mul_lo_u32 v10, v2, s6
	v_mad_u64_u32 v[2:3], s[6:7], v2, s13, 0
	v_add3_u32 v3, v3, v10, v9
	v_lshlrev_b64 v[2:3], 2, v[2:3]
	v_add_co_u32_e32 v2, vcc, s4, v2
	v_addc_co_u32_e32 v3, vcc, v7, v3, vcc
	v_add_co_u32_e32 v2, vcc, v2, v6
	v_addc_co_u32_e32 v3, vcc, 0, v3, vcc
	;; [unrolled: 2-line block ×3, first 2 shown]
	global_load_dword v8, v[6:7], off
	global_load_dword v9, v[2:3], off
	s_waitcnt vmcnt(1)
	v_mul_f32_e32 v6, v5, v8
	s_waitcnt vmcnt(0)
	v_pk_mul_f32 v[2:3], v[4:5], v[8:9]
	v_mov_b32_e32 v3, v2
	v_pk_fma_f32 v[2:3], v[4:5], v[8:9], v[2:3]
	v_fma_f32 v6, v4, v9, -v6
	v_mov_b32_e32 v7, v3
	v_pk_mov_b32 v[4:5], v[6:7], v[6:7] op_sel:[0,1]
.LBB72_3:
	s_or_b64 exec, exec, s[2:3]
	s_mov_b32 s0, 0x7f800000
	v_and_b32_e32 v2, 0x7f800000, v4
	v_cmp_ne_u32_e32 vcc, s0, v2
                                        ; implicit-def: $vgpr2
	s_and_saveexec_b64 s[0:1], vcc
	s_xor_b64 s[0:1], exec, s[0:1]
; %bb.4:
	v_bfe_u32 v2, v4, 16, 1
	s_movk_i32 s2, 0x7fff
	v_add3_u32 v2, v4, v2, s2
; %bb.5:
	s_andn2_saveexec_b64 s[0:1], s[0:1]
; %bb.6:
	v_mov_b32_e32 v2, 0
	v_or_b32_e32 v3, 0x10000, v4
	v_cmp_eq_u32_sdwa vcc, v4, v2 src0_sel:WORD_0 src1_sel:DWORD
	v_cndmask_b32_e32 v2, v3, v4, vcc
; %bb.7:
	s_or_b64 exec, exec, s[0:1]
	s_mov_b32 s0, 0x7f800000
	v_and_b32_e32 v3, 0x7f800000, v5
	v_cmp_ne_u32_e32 vcc, s0, v3
                                        ; implicit-def: $vgpr3
	s_and_saveexec_b64 s[0:1], vcc
	s_xor_b64 s[0:1], exec, s[0:1]
; %bb.8:
	v_bfe_u32 v3, v5, 16, 1
	s_movk_i32 s2, 0x7fff
	v_add3_u32 v3, v5, v3, s2
                                        ; implicit-def: $vgpr4_vgpr5
; %bb.9:
	s_andn2_saveexec_b64 s[0:1], s[0:1]
; %bb.10:
	v_mov_b32_e32 v3, 0
	v_or_b32_e32 v4, 0x10000, v5
	v_cmp_eq_u32_sdwa vcc, v5, v3 src0_sel:WORD_0 src1_sel:DWORD
	v_cndmask_b32_e32 v3, v4, v5, vcc
; %bb.11:
	s_or_b64 exec, exec, s[0:1]
	v_lshrrev_b32_e32 v2, 16, v2
	s_mov_b32 s0, 0xffff0000
	v_and_or_b32 v2, v3, s0, v2
	global_store_dword v[0:1], v2, off
.LBB72_12:
	s_endpgm
	.section	.rodata,"a",@progbits
	.p2align	6, 0x0
	.amdhsa_kernel _ZN12tensorrt_llm7kernels21fusedQKNormRopeKernelIN3c108BFloat16EfLi64ELb1EEEvPviiifPKvS6_S6_PKlii
		.amdhsa_group_segment_fixed_size 0
		.amdhsa_private_segment_fixed_size 0
		.amdhsa_kernarg_size 320
		.amdhsa_user_sgpr_count 6
		.amdhsa_user_sgpr_private_segment_buffer 1
		.amdhsa_user_sgpr_dispatch_ptr 0
		.amdhsa_user_sgpr_queue_ptr 0
		.amdhsa_user_sgpr_kernarg_segment_ptr 1
		.amdhsa_user_sgpr_dispatch_id 0
		.amdhsa_user_sgpr_flat_scratch_init 0
		.amdhsa_user_sgpr_kernarg_preload_length 0
		.amdhsa_user_sgpr_kernarg_preload_offset 0
		.amdhsa_user_sgpr_private_segment_size 0
		.amdhsa_uses_dynamic_stack 0
		.amdhsa_system_sgpr_private_segment_wavefront_offset 0
		.amdhsa_system_sgpr_workgroup_id_x 1
		.amdhsa_system_sgpr_workgroup_id_y 0
		.amdhsa_system_sgpr_workgroup_id_z 0
		.amdhsa_system_sgpr_workgroup_info 0
		.amdhsa_system_vgpr_workitem_id 0
		.amdhsa_next_free_vgpr 14
		.amdhsa_next_free_sgpr 14
		.amdhsa_accum_offset 16
		.amdhsa_reserve_vcc 1
		.amdhsa_reserve_flat_scratch 0
		.amdhsa_float_round_mode_32 0
		.amdhsa_float_round_mode_16_64 0
		.amdhsa_float_denorm_mode_32 3
		.amdhsa_float_denorm_mode_16_64 3
		.amdhsa_dx10_clamp 1
		.amdhsa_ieee_mode 1
		.amdhsa_fp16_overflow 0
		.amdhsa_tg_split 0
		.amdhsa_exception_fp_ieee_invalid_op 0
		.amdhsa_exception_fp_denorm_src 0
		.amdhsa_exception_fp_ieee_div_zero 0
		.amdhsa_exception_fp_ieee_overflow 0
		.amdhsa_exception_fp_ieee_underflow 0
		.amdhsa_exception_fp_ieee_inexact 0
		.amdhsa_exception_int_div_zero 0
	.end_amdhsa_kernel
	.section	.text._ZN12tensorrt_llm7kernels21fusedQKNormRopeKernelIN3c108BFloat16EfLi64ELb1EEEvPviiifPKvS6_S6_PKlii,"axG",@progbits,_ZN12tensorrt_llm7kernels21fusedQKNormRopeKernelIN3c108BFloat16EfLi64ELb1EEEvPviiifPKvS6_S6_PKlii,comdat
.Lfunc_end72:
	.size	_ZN12tensorrt_llm7kernels21fusedQKNormRopeKernelIN3c108BFloat16EfLi64ELb1EEEvPviiifPKvS6_S6_PKlii, .Lfunc_end72-_ZN12tensorrt_llm7kernels21fusedQKNormRopeKernelIN3c108BFloat16EfLi64ELb1EEEvPviiifPKvS6_S6_PKlii
                                        ; -- End function
	.section	.AMDGPU.csdata,"",@progbits
; Kernel info:
; codeLenInByte = 1072
; NumSgprs: 18
; NumVgprs: 14
; NumAgprs: 0
; TotalNumVgprs: 14
; ScratchSize: 0
; MemoryBound: 0
; FloatMode: 240
; IeeeMode: 1
; LDSByteSize: 0 bytes/workgroup (compile time only)
; SGPRBlocks: 2
; VGPRBlocks: 1
; NumSGPRsForWavesPerEU: 18
; NumVGPRsForWavesPerEU: 14
; AccumOffset: 16
; Occupancy: 8
; WaveLimiterHint : 1
; COMPUTE_PGM_RSRC2:SCRATCH_EN: 0
; COMPUTE_PGM_RSRC2:USER_SGPR: 6
; COMPUTE_PGM_RSRC2:TRAP_HANDLER: 0
; COMPUTE_PGM_RSRC2:TGID_X_EN: 1
; COMPUTE_PGM_RSRC2:TGID_Y_EN: 0
; COMPUTE_PGM_RSRC2:TGID_Z_EN: 0
; COMPUTE_PGM_RSRC2:TIDIG_COMP_CNT: 0
; COMPUTE_PGM_RSRC3_GFX90A:ACCUM_OFFSET: 3
; COMPUTE_PGM_RSRC3_GFX90A:TG_SPLIT: 0
	.section	.text._ZN12tensorrt_llm7kernels21fusedQKNormRopeKernelIN3c108BFloat16EfLi64ELb0EEEvPviiifPKvS6_S6_PKlii,"axG",@progbits,_ZN12tensorrt_llm7kernels21fusedQKNormRopeKernelIN3c108BFloat16EfLi64ELb0EEEvPviiifPKvS6_S6_PKlii,comdat
	.protected	_ZN12tensorrt_llm7kernels21fusedQKNormRopeKernelIN3c108BFloat16EfLi64ELb0EEEvPviiifPKvS6_S6_PKlii ; -- Begin function _ZN12tensorrt_llm7kernels21fusedQKNormRopeKernelIN3c108BFloat16EfLi64ELb0EEEvPviiifPKvS6_S6_PKlii
	.globl	_ZN12tensorrt_llm7kernels21fusedQKNormRopeKernelIN3c108BFloat16EfLi64ELb0EEEvPviiifPKvS6_S6_PKlii
	.p2align	8
	.type	_ZN12tensorrt_llm7kernels21fusedQKNormRopeKernelIN3c108BFloat16EfLi64ELb0EEEvPviiifPKvS6_S6_PKlii,@function
_ZN12tensorrt_llm7kernels21fusedQKNormRopeKernelIN3c108BFloat16EfLi64ELb0EEEvPviiifPKvS6_S6_PKlii: ; @_ZN12tensorrt_llm7kernels21fusedQKNormRopeKernelIN3c108BFloat16EfLi64ELb0EEEvPviiifPKvS6_S6_PKlii
; %bb.0:
	s_load_dwordx4 s[8:11], s[4:5], 0x8
	s_load_dwordx2 s[12:13], s[4:5], 0x38
	s_load_dword s1, s[4:5], 0x4c
	v_lshrrev_b32_e32 v2, 5, v0
	s_waitcnt lgkmcnt(0)
	s_add_i32 s0, s9, s8
	s_abs_i32 s2, s0
	v_cvt_f32_u32_e32 v1, s2
	s_bfe_u32 s1, s1, 0xb0005
	s_mul_i32 s6, s6, s1
	s_sub_i32 s1, 0, s2
	v_rcp_iflag_f32_e32 v3, v1
	v_add_u32_e32 v1, s6, v2
	v_sub_u32_e32 v4, 0, v1
	v_max_i32_e32 v4, v1, v4
	v_mul_f32_e32 v3, 0x4f7ffffe, v3
	v_cvt_u32_f32_e32 v3, v3
	v_xor_b32_e32 v2, s0, v1
	v_ashrrev_i32_e32 v2, 31, v2
	v_mul_lo_u32 v5, s1, v3
	v_mul_hi_u32 v5, v3, v5
	v_add_u32_e32 v3, v3, v5
	v_mul_hi_u32 v3, v4, v3
	v_mul_lo_u32 v5, v3, s2
	v_sub_u32_e32 v4, v4, v5
	v_add_u32_e32 v5, 1, v3
	v_cmp_le_u32_e32 vcc, s2, v4
	v_cndmask_b32_e32 v3, v3, v5, vcc
	v_subrev_u32_e32 v5, s2, v4
	v_cndmask_b32_e32 v4, v4, v5, vcc
	v_add_u32_e32 v5, 1, v3
	v_cmp_le_u32_e32 vcc, s2, v4
	v_cndmask_b32_e32 v3, v3, v5, vcc
	v_xor_b32_e32 v3, v3, v2
	v_sub_u32_e32 v4, v3, v2
	v_cmp_gt_i32_e32 vcc, s12, v4
	s_and_saveexec_b64 s[2:3], vcc
	s_cbranch_execz .LBB73_12
; %bb.1:
	v_and_b32_e32 v6, 31, v0
	v_mul_lo_u32 v0, v4, s0
	v_sub_u32_e32 v0, v1, v0
	v_mov_b32_e32 v1, s8
	v_cmp_gt_i32_e32 vcc, s8, v0
	v_cndmask_b32_e64 v1, v1, 0, vcc
	s_add_i32 s0, s0, s10
	s_load_dwordx2 s[2:3], s[4:5], 0x0
	v_sub_u32_e32 v0, v0, v1
	v_mul_lo_u32 v2, v4, s0
	v_add3_u32 v0, v2, v1, v0
	v_lshlrev_b32_e32 v1, 1, v6
	v_lshl_or_b32 v0, v0, 6, v1
	v_ashrrev_i32_e32 v1, 31, v0
	v_lshlrev_b64 v[0:1], 1, v[0:1]
	s_waitcnt lgkmcnt(0)
	v_mov_b32_e32 v2, s3
	v_add_co_u32_e64 v0, s[0:1], s2, v0
	v_addc_co_u32_e64 v1, s[0:1], v2, v1, s[0:1]
	global_load_dword v5, v[0:1], off
	s_load_dwordx8 s[0:7], s[4:5], 0x18
	v_lshlrev_b32_e32 v8, 2, v6
	s_waitcnt lgkmcnt(0)
	v_mov_b32_e32 v2, s3
	v_mov_b32_e32 v3, s1
	;; [unrolled: 1-line block ×4, first 2 shown]
	v_cndmask_b32_e32 v3, v2, v3, vcc
	v_cndmask_b32_e32 v2, v7, v9, vcc
	v_add_co_u32_e32 v2, vcc, v2, v8
	v_addc_co_u32_e32 v3, vcc, 0, v3, vcc
	global_load_dword v9, v[2:3], off
	v_mbcnt_lo_u32_b32 v2, -1, 0
	v_mbcnt_hi_u32_b32 v7, -1, v2
	v_and_b32_e32 v2, 0x60, v7
	v_xor_b32_e32 v3, 16, v7
	v_add_u32_e32 v12, 32, v2
	v_cmp_lt_i32_e32 vcc, v3, v12
	v_cndmask_b32_e32 v2, v7, v3, vcc
	v_lshlrev_b32_e32 v13, 2, v2
	s_mov_b32 s0, 0x800000
	s_lshr_b32 s2, s13, 31
	s_add_i32 s2, s13, s2
	s_mov_b32 s1, 0
	s_waitcnt vmcnt(1)
	v_and_b32_e32 v10, 0xffff0000, v5
	v_lshlrev_b32_e32 v11, 16, v5
	v_pk_mul_f32 v[2:3], v[10:11], v[10:11]
	v_add_f32_e32 v2, v2, v3
	ds_bpermute_b32 v3, v13, v2
	v_xor_b32_e32 v5, 8, v7
	v_cmp_lt_i32_e32 vcc, v5, v12
	v_cndmask_b32_e32 v5, v7, v5, vcc
	v_lshlrev_b32_e32 v5, 2, v5
	s_waitcnt lgkmcnt(0)
	v_add_f32_e32 v2, v2, v3
	ds_bpermute_b32 v3, v5, v2
	v_xor_b32_e32 v5, 4, v7
	v_cmp_lt_i32_e32 vcc, v5, v12
	v_cndmask_b32_e32 v5, v7, v5, vcc
	v_lshlrev_b32_e32 v5, 2, v5
	s_waitcnt lgkmcnt(0)
	;; [unrolled: 7-line block ×4, first 2 shown]
	v_add_f32_e32 v2, v2, v3
	ds_bpermute_b32 v3, v5, v2
	v_mov_b32_e32 v5, s11
	s_waitcnt lgkmcnt(0)
	v_add_f32_e32 v2, v2, v3
	v_fmac_f32_e32 v5, 0x3c800000, v2
	v_mul_f32_e32 v2, 0x4b800000, v5
	v_cmp_gt_f32_e32 vcc, s0, v5
	v_cndmask_b32_e32 v2, v5, v2, vcc
	v_rsq_f32_e32 v2, v2
	s_waitcnt vmcnt(0)
	v_lshlrev_b32_e32 v3, 16, v9
	v_and_b32_e32 v5, 0xffff0000, v9
	s_ashr_i32 s0, s2, 1
	v_mul_f32_e32 v9, 0x45800000, v2
	v_cndmask_b32_e32 v2, v2, v9, vcc
	v_mul_f32_e32 v3, v2, v3
	v_mul_f32_e32 v5, v2, v5
	;; [unrolled: 1-line block ×4, first 2 shown]
	v_cmp_gt_i32_e32 vcc, s0, v6
	s_and_saveexec_b64 s[2:3], vcc
	s_cbranch_execz .LBB73_3
; %bb.2:
	v_ashrrev_i32_e32 v5, 31, v4
	v_lshlrev_b64 v[4:5], 3, v[4:5]
	v_mov_b32_e32 v9, s7
	v_add_co_u32_e32 v4, vcc, s6, v4
	v_addc_co_u32_e32 v5, vcc, v9, v5, vcc
	global_load_dwordx2 v[4:5], v[4:5], off
	s_abs_i32 s8, s13
	v_cvt_f32_u32_e32 v9, s8
	s_lshl_b64 s[6:7], s[0:1], 2
	s_sub_i32 s1, 0, s8
	v_or_b32_e32 v11, 2, v8
	v_rcp_iflag_f32_e32 v10, v9
	s_ashr_i32 s9, s13, 31
	v_mov_b32_e32 v9, 0
	v_mov_b32_e32 v12, s5
	v_mul_f32_e32 v10, 0x4f7ffffe, v10
	v_cvt_u32_f32_e32 v10, v10
	v_mov_b32_e32 v13, s7
	; wave barrier
	v_mul_lo_u32 v14, s1, v10
	v_mul_hi_u32 v14, v10, v14
	v_add_u32_e32 v10, v10, v14
	v_mul_hi_u32 v14, v8, v10
	v_mul_hi_u32 v10, v11, v10
	v_mul_lo_u32 v14, v14, s8
	v_mul_lo_u32 v10, v10, s8
	v_sub_u32_e32 v8, v8, v14
	v_sub_u32_e32 v10, v11, v10
	v_subrev_u32_e32 v11, s8, v8
	v_cmp_le_u32_e32 vcc, s8, v8
	v_subrev_u32_e32 v14, s8, v10
	v_cndmask_b32_e32 v8, v8, v11, vcc
	v_cmp_le_u32_e32 vcc, s8, v10
	v_cndmask_b32_e32 v10, v10, v14, vcc
	v_subrev_u32_e32 v11, s8, v8
	v_cmp_le_u32_e32 vcc, s8, v8
	v_subrev_u32_e32 v14, s8, v10
	v_cndmask_b32_e32 v8, v8, v11, vcc
	v_cmp_le_u32_e32 vcc, s8, v10
	v_cndmask_b32_e32 v14, v10, v14, vcc
	v_lshrrev_b32_e32 v8, 1, v8
	v_lshlrev_b64 v[10:11], 2, v[8:9]
	v_lshrrev_b32_e32 v8, 1, v14
	v_lshlrev_b64 v[8:9], 2, v[8:9]
	s_lshr_b32 s0, s0, 1
	s_waitcnt vmcnt(0)
	v_mul_lo_u32 v14, v5, s13
	v_mul_lo_u32 v15, v4, s9
	v_mad_u64_u32 v[4:5], s[8:9], v4, s13, 0
	v_add3_u32 v5, v5, v15, v14
	v_lshlrev_b64 v[4:5], 2, v[4:5]
	v_add_co_u32_e32 v14, vcc, s4, v4
	v_addc_co_u32_e32 v15, vcc, v12, v5, vcc
	v_add_co_u32_e32 v12, vcc, s6, v14
	v_addc_co_u32_e32 v13, vcc, v15, v13, vcc
	;; [unrolled: 2-line block ×5, first 2 shown]
	global_load_dword v16, v[4:5], off
	global_load_dword v17, v[10:11], off
	;; [unrolled: 1-line block ×3, first 2 shown]
	v_add_co_u32_e32 v4, vcc, v14, v8
	v_addc_co_u32_e32 v5, vcc, v15, v9, vcc
	global_load_dword v8, v[4:5], off
	v_and_b32_e32 v4, 64, v7
	v_xor_b32_e32 v5, s0, v7
	v_add_u32_e32 v4, 64, v4
	v_cmp_lt_i32_e32 vcc, v5, v4
	v_cndmask_b32_e32 v4, v7, v5, vcc
	v_lshlrev_b32_e32 v4, 2, v4
	ds_bpermute_b32 v5, v4, v2
	ds_bpermute_b32 v4, v4, v3
	v_cmp_gt_u32_e32 vcc, s0, v6
	; wave barrier
	s_waitcnt lgkmcnt(1)
	v_cndmask_b32_e64 v5, v5, -v5, vcc
	s_waitcnt lgkmcnt(0)
	v_cndmask_b32_e64 v6, v4, -v4, vcc
	s_waitcnt vmcnt(2)
	v_mul_f32_e32 v4, v5, v17
	s_waitcnt vmcnt(1)
	v_mul_f32_e32 v5, v6, v18
	v_fmac_f32_e32 v4, v2, v16
	s_waitcnt vmcnt(0)
	v_fmac_f32_e32 v5, v3, v8
	v_pk_mov_b32 v[2:3], v[4:5], v[4:5] op_sel:[0,1]
.LBB73_3:
	s_or_b64 exec, exec, s[2:3]
	s_mov_b32 s0, 0x7f800000
	v_and_b32_e32 v4, 0x7f800000, v2
	v_cmp_ne_u32_e32 vcc, s0, v4
                                        ; implicit-def: $vgpr4
	s_and_saveexec_b64 s[0:1], vcc
	s_xor_b64 s[0:1], exec, s[0:1]
; %bb.4:
	v_bfe_u32 v4, v2, 16, 1
	s_movk_i32 s2, 0x7fff
	v_add3_u32 v4, v2, v4, s2
; %bb.5:
	s_andn2_saveexec_b64 s[0:1], s[0:1]
; %bb.6:
	v_mov_b32_e32 v4, 0
	v_or_b32_e32 v5, 0x10000, v2
	v_cmp_eq_u32_sdwa vcc, v2, v4 src0_sel:WORD_0 src1_sel:DWORD
	v_cndmask_b32_e32 v4, v5, v2, vcc
; %bb.7:
	s_or_b64 exec, exec, s[0:1]
	s_mov_b32 s0, 0x7f800000
	v_and_b32_e32 v2, 0x7f800000, v3
	v_cmp_ne_u32_e32 vcc, s0, v2
                                        ; implicit-def: $vgpr5
	s_and_saveexec_b64 s[0:1], vcc
	s_xor_b64 s[0:1], exec, s[0:1]
; %bb.8:
	v_bfe_u32 v2, v3, 16, 1
	s_movk_i32 s2, 0x7fff
	v_add3_u32 v5, v3, v2, s2
                                        ; implicit-def: $vgpr2_vgpr3
; %bb.9:
	s_andn2_saveexec_b64 s[0:1], s[0:1]
; %bb.10:
	v_mov_b32_e32 v2, 0
	v_or_b32_e32 v5, 0x10000, v3
	v_cmp_eq_u32_sdwa vcc, v3, v2 src0_sel:WORD_0 src1_sel:DWORD
	v_cndmask_b32_e32 v5, v5, v3, vcc
; %bb.11:
	s_or_b64 exec, exec, s[0:1]
	v_lshrrev_b32_e32 v2, 16, v4
	s_mov_b32 s0, 0xffff0000
	v_and_or_b32 v2, v5, s0, v2
	global_store_dword v[0:1], v2, off
.LBB73_12:
	s_endpgm
	.section	.rodata,"a",@progbits
	.p2align	6, 0x0
	.amdhsa_kernel _ZN12tensorrt_llm7kernels21fusedQKNormRopeKernelIN3c108BFloat16EfLi64ELb0EEEvPviiifPKvS6_S6_PKlii
		.amdhsa_group_segment_fixed_size 0
		.amdhsa_private_segment_fixed_size 0
		.amdhsa_kernarg_size 320
		.amdhsa_user_sgpr_count 6
		.amdhsa_user_sgpr_private_segment_buffer 1
		.amdhsa_user_sgpr_dispatch_ptr 0
		.amdhsa_user_sgpr_queue_ptr 0
		.amdhsa_user_sgpr_kernarg_segment_ptr 1
		.amdhsa_user_sgpr_dispatch_id 0
		.amdhsa_user_sgpr_flat_scratch_init 0
		.amdhsa_user_sgpr_kernarg_preload_length 0
		.amdhsa_user_sgpr_kernarg_preload_offset 0
		.amdhsa_user_sgpr_private_segment_size 0
		.amdhsa_uses_dynamic_stack 0
		.amdhsa_system_sgpr_private_segment_wavefront_offset 0
		.amdhsa_system_sgpr_workgroup_id_x 1
		.amdhsa_system_sgpr_workgroup_id_y 0
		.amdhsa_system_sgpr_workgroup_id_z 0
		.amdhsa_system_sgpr_workgroup_info 0
		.amdhsa_system_vgpr_workitem_id 0
		.amdhsa_next_free_vgpr 19
		.amdhsa_next_free_sgpr 14
		.amdhsa_accum_offset 20
		.amdhsa_reserve_vcc 1
		.amdhsa_reserve_flat_scratch 0
		.amdhsa_float_round_mode_32 0
		.amdhsa_float_round_mode_16_64 0
		.amdhsa_float_denorm_mode_32 3
		.amdhsa_float_denorm_mode_16_64 3
		.amdhsa_dx10_clamp 1
		.amdhsa_ieee_mode 1
		.amdhsa_fp16_overflow 0
		.amdhsa_tg_split 0
		.amdhsa_exception_fp_ieee_invalid_op 0
		.amdhsa_exception_fp_denorm_src 0
		.amdhsa_exception_fp_ieee_div_zero 0
		.amdhsa_exception_fp_ieee_overflow 0
		.amdhsa_exception_fp_ieee_underflow 0
		.amdhsa_exception_fp_ieee_inexact 0
		.amdhsa_exception_int_div_zero 0
	.end_amdhsa_kernel
	.section	.text._ZN12tensorrt_llm7kernels21fusedQKNormRopeKernelIN3c108BFloat16EfLi64ELb0EEEvPviiifPKvS6_S6_PKlii,"axG",@progbits,_ZN12tensorrt_llm7kernels21fusedQKNormRopeKernelIN3c108BFloat16EfLi64ELb0EEEvPviiifPKvS6_S6_PKlii,comdat
.Lfunc_end73:
	.size	_ZN12tensorrt_llm7kernels21fusedQKNormRopeKernelIN3c108BFloat16EfLi64ELb0EEEvPviiifPKvS6_S6_PKlii, .Lfunc_end73-_ZN12tensorrt_llm7kernels21fusedQKNormRopeKernelIN3c108BFloat16EfLi64ELb0EEEvPviiifPKvS6_S6_PKlii
                                        ; -- End function
	.section	.AMDGPU.csdata,"",@progbits
; Kernel info:
; codeLenInByte = 1336
; NumSgprs: 18
; NumVgprs: 19
; NumAgprs: 0
; TotalNumVgprs: 19
; ScratchSize: 0
; MemoryBound: 0
; FloatMode: 240
; IeeeMode: 1
; LDSByteSize: 0 bytes/workgroup (compile time only)
; SGPRBlocks: 2
; VGPRBlocks: 2
; NumSGPRsForWavesPerEU: 18
; NumVGPRsForWavesPerEU: 19
; AccumOffset: 20
; Occupancy: 8
; WaveLimiterHint : 1
; COMPUTE_PGM_RSRC2:SCRATCH_EN: 0
; COMPUTE_PGM_RSRC2:USER_SGPR: 6
; COMPUTE_PGM_RSRC2:TRAP_HANDLER: 0
; COMPUTE_PGM_RSRC2:TGID_X_EN: 1
; COMPUTE_PGM_RSRC2:TGID_Y_EN: 0
; COMPUTE_PGM_RSRC2:TGID_Z_EN: 0
; COMPUTE_PGM_RSRC2:TIDIG_COMP_CNT: 0
; COMPUTE_PGM_RSRC3_GFX90A:ACCUM_OFFSET: 4
; COMPUTE_PGM_RSRC3_GFX90A:TG_SPLIT: 0
	.section	.text._ZN12tensorrt_llm7kernels21fusedQKNormRopeKernelIN3c108BFloat16EfLi128ELb1EEEvPviiifPKvS6_S6_PKlii,"axG",@progbits,_ZN12tensorrt_llm7kernels21fusedQKNormRopeKernelIN3c108BFloat16EfLi128ELb1EEEvPviiifPKvS6_S6_PKlii,comdat
	.protected	_ZN12tensorrt_llm7kernels21fusedQKNormRopeKernelIN3c108BFloat16EfLi128ELb1EEEvPviiifPKvS6_S6_PKlii ; -- Begin function _ZN12tensorrt_llm7kernels21fusedQKNormRopeKernelIN3c108BFloat16EfLi128ELb1EEEvPviiifPKvS6_S6_PKlii
	.globl	_ZN12tensorrt_llm7kernels21fusedQKNormRopeKernelIN3c108BFloat16EfLi128ELb1EEEvPviiifPKvS6_S6_PKlii
	.p2align	8
	.type	_ZN12tensorrt_llm7kernels21fusedQKNormRopeKernelIN3c108BFloat16EfLi128ELb1EEEvPviiifPKvS6_S6_PKlii,@function
_ZN12tensorrt_llm7kernels21fusedQKNormRopeKernelIN3c108BFloat16EfLi128ELb1EEEvPviiifPKvS6_S6_PKlii: ; @_ZN12tensorrt_llm7kernels21fusedQKNormRopeKernelIN3c108BFloat16EfLi128ELb1EEEvPviiifPKvS6_S6_PKlii
; %bb.0:
	s_load_dwordx4 s[8:11], s[4:5], 0x8
	s_load_dwordx2 s[12:13], s[4:5], 0x38
	s_load_dword s1, s[4:5], 0x4c
	v_lshrrev_b32_e32 v2, 5, v0
	s_waitcnt lgkmcnt(0)
	s_add_i32 s0, s9, s8
	s_abs_i32 s2, s0
	v_cvt_f32_u32_e32 v1, s2
	s_bfe_u32 s1, s1, 0xb0005
	s_mul_i32 s6, s6, s1
	s_sub_i32 s1, 0, s2
	v_rcp_iflag_f32_e32 v3, v1
	v_add_u32_e32 v1, s6, v2
	v_sub_u32_e32 v4, 0, v1
	v_max_i32_e32 v4, v1, v4
	v_mul_f32_e32 v3, 0x4f7ffffe, v3
	v_cvt_u32_f32_e32 v3, v3
	v_xor_b32_e32 v2, s0, v1
	v_ashrrev_i32_e32 v2, 31, v2
	v_mul_lo_u32 v5, s1, v3
	v_mul_hi_u32 v5, v3, v5
	v_add_u32_e32 v3, v3, v5
	v_mul_hi_u32 v3, v4, v3
	v_mul_lo_u32 v5, v3, s2
	v_sub_u32_e32 v4, v4, v5
	v_add_u32_e32 v5, 1, v3
	v_cmp_le_u32_e32 vcc, s2, v4
	v_cndmask_b32_e32 v3, v3, v5, vcc
	v_subrev_u32_e32 v5, s2, v4
	v_cndmask_b32_e32 v4, v4, v5, vcc
	v_add_u32_e32 v5, 1, v3
	v_cmp_le_u32_e32 vcc, s2, v4
	v_cndmask_b32_e32 v3, v3, v5, vcc
	v_xor_b32_e32 v3, v3, v2
	v_sub_u32_e32 v4, v3, v2
	v_cmp_gt_i32_e32 vcc, s12, v4
	s_and_saveexec_b64 s[2:3], vcc
	s_cbranch_execz .LBB74_20
; %bb.1:
	v_and_b32_e32 v5, 31, v0
	v_mul_lo_u32 v0, v4, s0
	v_sub_u32_e32 v0, v1, v0
	v_mov_b32_e32 v1, s8
	v_cmp_gt_i32_e32 vcc, s8, v0
	v_cndmask_b32_e64 v1, v1, 0, vcc
	s_add_i32 s0, s0, s10
	s_load_dwordx2 s[2:3], s[4:5], 0x0
	v_sub_u32_e32 v0, v0, v1
	v_mul_lo_u32 v2, v4, s0
	v_add3_u32 v0, v2, v1, v0
	v_lshlrev_b32_e32 v1, 2, v5
	v_lshl_or_b32 v0, v0, 7, v1
	v_ashrrev_i32_e32 v1, 31, v0
	v_lshlrev_b64 v[0:1], 1, v[0:1]
	s_waitcnt lgkmcnt(0)
	v_mov_b32_e32 v2, s3
	v_add_co_u32_e64 v0, s[0:1], s2, v0
	v_addc_co_u32_e64 v1, s[0:1], v2, v1, s[0:1]
	global_load_dwordx2 v[2:3], v[0:1], off
	s_load_dwordx8 s[0:7], s[4:5], 0x18
	v_lshlrev_b32_e32 v8, 3, v5
	v_mov_b32_e32 v16, s11
	s_waitcnt lgkmcnt(0)
	v_mov_b32_e32 v6, s3
	v_mov_b32_e32 v7, s1
	;; [unrolled: 1-line block ×4, first 2 shown]
	v_cndmask_b32_e32 v7, v6, v7, vcc
	v_cndmask_b32_e32 v6, v9, v10, vcc
	v_add_co_u32_e32 v6, vcc, v6, v8
	v_addc_co_u32_e32 v7, vcc, 0, v7, vcc
	global_load_dwordx2 v[6:7], v[6:7], off
	v_mbcnt_lo_u32_b32 v9, -1, 0
	v_mbcnt_hi_u32_b32 v9, -1, v9
	v_and_b32_e32 v10, 0x60, v9
	v_xor_b32_e32 v11, 16, v9
	v_add_u32_e32 v17, 32, v10
	v_cmp_lt_i32_e32 vcc, v11, v17
	v_cndmask_b32_e32 v10, v9, v11, vcc
	v_lshlrev_b32_e32 v18, 2, v10
	s_mov_b32 s0, 0x800000
	s_ashr_i32 s2, s13, 31
	s_lshr_b32 s1, s2, 30
	s_add_i32 s1, s13, s1
	s_ashr_i32 s1, s1, 2
	s_waitcnt vmcnt(1)
	v_alignbit_b32 v12, v3, v2, 16
	v_lshlrev_b32_e32 v10, 16, v2
	v_and_b32_e32 v11, 0xffff0000, v2
	v_and_b32_e32 v3, 0xffff0000, v3
	;; [unrolled: 1-line block ×3, first 2 shown]
	v_pk_mul_f32 v[12:13], v[10:11], v[10:11]
	v_pk_mul_f32 v[14:15], v[2:3], v[2:3]
	v_add_f32_e32 v12, v12, v13
	v_add_f32_e32 v12, v12, v14
	;; [unrolled: 1-line block ×3, first 2 shown]
	ds_bpermute_b32 v13, v18, v12
	v_xor_b32_e32 v14, 8, v9
	v_cmp_lt_i32_e32 vcc, v14, v17
	v_cndmask_b32_e32 v14, v9, v14, vcc
	v_lshlrev_b32_e32 v14, 2, v14
	s_waitcnt lgkmcnt(0)
	v_add_f32_e32 v12, v12, v13
	ds_bpermute_b32 v13, v14, v12
	v_xor_b32_e32 v14, 4, v9
	v_cmp_lt_i32_e32 vcc, v14, v17
	v_cndmask_b32_e32 v14, v9, v14, vcc
	v_lshlrev_b32_e32 v14, 2, v14
	s_waitcnt lgkmcnt(0)
	v_add_f32_e32 v12, v12, v13
	;; [unrolled: 7-line block ×4, first 2 shown]
	ds_bpermute_b32 v9, v9, v12
	s_waitcnt vmcnt(0)
	v_and_b32_e32 v13, 0xffff0000, v6
	v_and_b32_e32 v15, 0xffff0000, v7
	v_lshlrev_b32_e32 v14, 16, v7
	s_waitcnt lgkmcnt(0)
	v_add_f32_e32 v9, v12, v9
	v_fmac_f32_e32 v16, 0x3c000000, v9
	v_mul_f32_e32 v9, 0x4b800000, v16
	v_cmp_gt_f32_e32 vcc, s0, v16
	v_cndmask_b32_e32 v9, v16, v9, vcc
	v_rsq_f32_e32 v9, v9
	v_lshlrev_b32_e32 v12, 16, v6
	v_mul_f32_e32 v6, 0x45800000, v9
	v_cndmask_b32_e32 v6, v9, v6, vcc
	v_pk_mul_f32 v[12:13], v[6:7], v[12:13] op_sel_hi:[0,1]
	v_pk_mul_f32 v[14:15], v[6:7], v[14:15] op_sel_hi:[0,1]
	v_pk_mul_f32 v[6:7], v[12:13], v[10:11]
	v_pk_mul_f32 v[2:3], v[14:15], v[2:3]
	v_cmp_gt_i32_e32 vcc, s1, v5
	s_and_saveexec_b64 s[0:1], vcc
	s_cbranch_execz .LBB74_3
; %bb.2:
	v_ashrrev_i32_e32 v5, 31, v4
	v_lshlrev_b64 v[4:5], 3, v[4:5]
	v_mov_b32_e32 v9, s7
	v_add_co_u32_e32 v4, vcc, s6, v4
	v_addc_co_u32_e32 v5, vcc, v9, v5, vcc
	global_load_dwordx2 v[4:5], v[4:5], off
	s_lshr_b32 s3, s13, 31
	s_add_i32 s3, s13, s3
	s_ashr_i32 s6, s3, 1
	v_mov_b32_e32 v9, s5
	s_ashr_i32 s7, s6, 31
	s_lshl_b64 s[6:7], s[6:7], 2
	v_mov_b32_e32 v10, s7
	s_waitcnt vmcnt(0)
	v_mul_lo_u32 v11, v5, s13
	v_mul_lo_u32 v12, v4, s2
	v_mad_u64_u32 v[4:5], s[2:3], v4, s13, 0
	v_add3_u32 v5, v5, v12, v11
	v_lshlrev_b64 v[4:5], 2, v[4:5]
	v_add_co_u32_e32 v4, vcc, s4, v4
	v_addc_co_u32_e32 v5, vcc, v9, v5, vcc
	v_add_co_u32_e32 v4, vcc, v4, v8
	v_addc_co_u32_e32 v5, vcc, 0, v5, vcc
	;; [unrolled: 2-line block ×3, first 2 shown]
	global_load_dwordx2 v[10:11], v[4:5], off
	global_load_dwordx2 v[12:13], v[8:9], off
	s_waitcnt vmcnt(1)
	v_pk_mul_f32 v[4:5], v[6:7], v[10:11] op_sel_hi:[1,0]
	s_waitcnt vmcnt(0)
	v_pk_mul_f32 v[8:9], v[6:7], v[12:13] op_sel_hi:[1,0]
	v_pk_fma_f32 v[6:7], v[6:7], v[10:11], v[8:9] op_sel:[0,0,1] op_sel_hi:[1,0,0]
	v_mov_b32_e32 v10, v13
	v_mul_f32_e32 v5, v3, v13
	v_pk_mul_f32 v[12:13], v[2:3], v[10:11]
	v_sub_f32_e32 v6, v4, v9
	v_mov_b32_e32 v4, v13
	v_fma_f32 v8, v2, v11, -v5
	v_pk_fma_f32 v[4:5], v[2:3], v[10:11], v[4:5]
	v_mov_b32_e32 v2, v8
	v_mov_b32_e32 v3, v4
.LBB74_3:
	s_or_b64 exec, exec, s[0:1]
	s_mov_b32 s0, 0x7f800000
	v_and_b32_e32 v4, 0x7f800000, v6
	v_cmp_ne_u32_e32 vcc, s0, v4
                                        ; implicit-def: $vgpr4
	s_and_saveexec_b64 s[0:1], vcc
	s_xor_b64 s[0:1], exec, s[0:1]
; %bb.4:
	v_bfe_u32 v4, v6, 16, 1
	s_movk_i32 s2, 0x7fff
	v_add3_u32 v4, v6, v4, s2
; %bb.5:
	s_andn2_saveexec_b64 s[0:1], s[0:1]
; %bb.6:
	v_mov_b32_e32 v4, 0
	v_or_b32_e32 v5, 0x10000, v6
	v_cmp_eq_u32_sdwa vcc, v6, v4 src0_sel:WORD_0 src1_sel:DWORD
	v_cndmask_b32_e32 v4, v5, v6, vcc
; %bb.7:
	s_or_b64 exec, exec, s[0:1]
	s_mov_b32 s0, 0x7f800000
	v_and_b32_e32 v5, 0x7f800000, v7
	v_cmp_ne_u32_e32 vcc, s0, v5
                                        ; implicit-def: $vgpr5
	s_and_saveexec_b64 s[0:1], vcc
	s_xor_b64 s[0:1], exec, s[0:1]
; %bb.8:
	v_bfe_u32 v5, v7, 16, 1
	s_movk_i32 s2, 0x7fff
	v_add3_u32 v5, v7, v5, s2
                                        ; implicit-def: $vgpr7
; %bb.9:
	s_andn2_saveexec_b64 s[0:1], s[0:1]
; %bb.10:
	v_mov_b32_e32 v5, 0
	v_or_b32_e32 v6, 0x10000, v7
	v_cmp_eq_u32_sdwa vcc, v7, v5 src0_sel:WORD_0 src1_sel:DWORD
	v_cndmask_b32_e32 v5, v6, v7, vcc
; %bb.11:
	s_or_b64 exec, exec, s[0:1]
	s_mov_b32 s0, 0x7f800000
	v_and_b32_e32 v6, 0x7f800000, v2
	v_cmp_ne_u32_e32 vcc, s0, v6
                                        ; implicit-def: $vgpr6
	s_and_saveexec_b64 s[0:1], vcc
	s_xor_b64 s[0:1], exec, s[0:1]
; %bb.12:
	v_bfe_u32 v6, v2, 16, 1
	s_movk_i32 s2, 0x7fff
	v_add3_u32 v6, v2, v6, s2
; %bb.13:
	s_andn2_saveexec_b64 s[0:1], s[0:1]
; %bb.14:
	v_mov_b32_e32 v6, 0
	v_or_b32_e32 v7, 0x10000, v2
	v_cmp_eq_u32_sdwa vcc, v2, v6 src0_sel:WORD_0 src1_sel:DWORD
	v_cndmask_b32_e32 v6, v7, v2, vcc
; %bb.15:
	s_or_b64 exec, exec, s[0:1]
	s_mov_b32 s0, 0x7f800000
	v_and_b32_e32 v2, 0x7f800000, v3
	v_cmp_ne_u32_e32 vcc, s0, v2
                                        ; implicit-def: $vgpr2
	s_and_saveexec_b64 s[0:1], vcc
	s_xor_b64 s[0:1], exec, s[0:1]
; %bb.16:
	v_bfe_u32 v2, v3, 16, 1
	s_movk_i32 s2, 0x7fff
	v_add3_u32 v2, v3, v2, s2
                                        ; implicit-def: $vgpr3
; %bb.17:
	s_andn2_saveexec_b64 s[0:1], s[0:1]
; %bb.18:
	v_mov_b32_e32 v2, 0
	v_or_b32_e32 v7, 0x10000, v3
	v_cmp_eq_u32_sdwa vcc, v3, v2 src0_sel:WORD_0 src1_sel:DWORD
	v_cndmask_b32_e32 v2, v7, v3, vcc
; %bb.19:
	s_or_b64 exec, exec, s[0:1]
	v_lshrrev_b32_e32 v4, 16, v4
	s_mov_b32 s0, 0xffff0000
	v_and_b32_e32 v2, 0xffff0000, v2
	v_or_b32_sdwa v3, v2, v6 dst_sel:DWORD dst_unused:UNUSED_PAD src0_sel:DWORD src1_sel:WORD_1
	v_and_or_b32 v2, v5, s0, v4
	global_store_dwordx2 v[0:1], v[2:3], off
.LBB74_20:
	s_endpgm
	.section	.rodata,"a",@progbits
	.p2align	6, 0x0
	.amdhsa_kernel _ZN12tensorrt_llm7kernels21fusedQKNormRopeKernelIN3c108BFloat16EfLi128ELb1EEEvPviiifPKvS6_S6_PKlii
		.amdhsa_group_segment_fixed_size 0
		.amdhsa_private_segment_fixed_size 0
		.amdhsa_kernarg_size 320
		.amdhsa_user_sgpr_count 6
		.amdhsa_user_sgpr_private_segment_buffer 1
		.amdhsa_user_sgpr_dispatch_ptr 0
		.amdhsa_user_sgpr_queue_ptr 0
		.amdhsa_user_sgpr_kernarg_segment_ptr 1
		.amdhsa_user_sgpr_dispatch_id 0
		.amdhsa_user_sgpr_flat_scratch_init 0
		.amdhsa_user_sgpr_kernarg_preload_length 0
		.amdhsa_user_sgpr_kernarg_preload_offset 0
		.amdhsa_user_sgpr_private_segment_size 0
		.amdhsa_uses_dynamic_stack 0
		.amdhsa_system_sgpr_private_segment_wavefront_offset 0
		.amdhsa_system_sgpr_workgroup_id_x 1
		.amdhsa_system_sgpr_workgroup_id_y 0
		.amdhsa_system_sgpr_workgroup_id_z 0
		.amdhsa_system_sgpr_workgroup_info 0
		.amdhsa_system_vgpr_workitem_id 0
		.amdhsa_next_free_vgpr 19
		.amdhsa_next_free_sgpr 14
		.amdhsa_accum_offset 20
		.amdhsa_reserve_vcc 1
		.amdhsa_reserve_flat_scratch 0
		.amdhsa_float_round_mode_32 0
		.amdhsa_float_round_mode_16_64 0
		.amdhsa_float_denorm_mode_32 3
		.amdhsa_float_denorm_mode_16_64 3
		.amdhsa_dx10_clamp 1
		.amdhsa_ieee_mode 1
		.amdhsa_fp16_overflow 0
		.amdhsa_tg_split 0
		.amdhsa_exception_fp_ieee_invalid_op 0
		.amdhsa_exception_fp_denorm_src 0
		.amdhsa_exception_fp_ieee_div_zero 0
		.amdhsa_exception_fp_ieee_overflow 0
		.amdhsa_exception_fp_ieee_underflow 0
		.amdhsa_exception_fp_ieee_inexact 0
		.amdhsa_exception_int_div_zero 0
	.end_amdhsa_kernel
	.section	.text._ZN12tensorrt_llm7kernels21fusedQKNormRopeKernelIN3c108BFloat16EfLi128ELb1EEEvPviiifPKvS6_S6_PKlii,"axG",@progbits,_ZN12tensorrt_llm7kernels21fusedQKNormRopeKernelIN3c108BFloat16EfLi128ELb1EEEvPviiifPKvS6_S6_PKlii,comdat
.Lfunc_end74:
	.size	_ZN12tensorrt_llm7kernels21fusedQKNormRopeKernelIN3c108BFloat16EfLi128ELb1EEEvPviiifPKvS6_S6_PKlii, .Lfunc_end74-_ZN12tensorrt_llm7kernels21fusedQKNormRopeKernelIN3c108BFloat16EfLi128ELb1EEEvPviiifPKvS6_S6_PKlii
                                        ; -- End function
	.section	.AMDGPU.csdata,"",@progbits
; Kernel info:
; codeLenInByte = 1356
; NumSgprs: 18
; NumVgprs: 19
; NumAgprs: 0
; TotalNumVgprs: 19
; ScratchSize: 0
; MemoryBound: 0
; FloatMode: 240
; IeeeMode: 1
; LDSByteSize: 0 bytes/workgroup (compile time only)
; SGPRBlocks: 2
; VGPRBlocks: 2
; NumSGPRsForWavesPerEU: 18
; NumVGPRsForWavesPerEU: 19
; AccumOffset: 20
; Occupancy: 8
; WaveLimiterHint : 1
; COMPUTE_PGM_RSRC2:SCRATCH_EN: 0
; COMPUTE_PGM_RSRC2:USER_SGPR: 6
; COMPUTE_PGM_RSRC2:TRAP_HANDLER: 0
; COMPUTE_PGM_RSRC2:TGID_X_EN: 1
; COMPUTE_PGM_RSRC2:TGID_Y_EN: 0
; COMPUTE_PGM_RSRC2:TGID_Z_EN: 0
; COMPUTE_PGM_RSRC2:TIDIG_COMP_CNT: 0
; COMPUTE_PGM_RSRC3_GFX90A:ACCUM_OFFSET: 4
; COMPUTE_PGM_RSRC3_GFX90A:TG_SPLIT: 0
	.section	.text._ZN12tensorrt_llm7kernels21fusedQKNormRopeKernelIN3c108BFloat16EfLi128ELb0EEEvPviiifPKvS6_S6_PKlii,"axG",@progbits,_ZN12tensorrt_llm7kernels21fusedQKNormRopeKernelIN3c108BFloat16EfLi128ELb0EEEvPviiifPKvS6_S6_PKlii,comdat
	.protected	_ZN12tensorrt_llm7kernels21fusedQKNormRopeKernelIN3c108BFloat16EfLi128ELb0EEEvPviiifPKvS6_S6_PKlii ; -- Begin function _ZN12tensorrt_llm7kernels21fusedQKNormRopeKernelIN3c108BFloat16EfLi128ELb0EEEvPviiifPKvS6_S6_PKlii
	.globl	_ZN12tensorrt_llm7kernels21fusedQKNormRopeKernelIN3c108BFloat16EfLi128ELb0EEEvPviiifPKvS6_S6_PKlii
	.p2align	8
	.type	_ZN12tensorrt_llm7kernels21fusedQKNormRopeKernelIN3c108BFloat16EfLi128ELb0EEEvPviiifPKvS6_S6_PKlii,@function
_ZN12tensorrt_llm7kernels21fusedQKNormRopeKernelIN3c108BFloat16EfLi128ELb0EEEvPviiifPKvS6_S6_PKlii: ; @_ZN12tensorrt_llm7kernels21fusedQKNormRopeKernelIN3c108BFloat16EfLi128ELb0EEEvPviiifPKvS6_S6_PKlii
; %bb.0:
	s_load_dwordx4 s[8:11], s[4:5], 0x8
	s_load_dwordx2 s[12:13], s[4:5], 0x38
	s_load_dword s1, s[4:5], 0x4c
	v_lshrrev_b32_e32 v2, 5, v0
	s_waitcnt lgkmcnt(0)
	s_add_i32 s0, s9, s8
	s_abs_i32 s2, s0
	v_cvt_f32_u32_e32 v1, s2
	s_bfe_u32 s1, s1, 0xb0005
	s_mul_i32 s6, s6, s1
	s_sub_i32 s1, 0, s2
	v_rcp_iflag_f32_e32 v3, v1
	v_add_u32_e32 v1, s6, v2
	v_sub_u32_e32 v4, 0, v1
	v_max_i32_e32 v4, v1, v4
	v_mul_f32_e32 v3, 0x4f7ffffe, v3
	v_cvt_u32_f32_e32 v3, v3
	v_xor_b32_e32 v2, s0, v1
	v_ashrrev_i32_e32 v2, 31, v2
	v_mul_lo_u32 v5, s1, v3
	v_mul_hi_u32 v5, v3, v5
	v_add_u32_e32 v3, v3, v5
	v_mul_hi_u32 v3, v4, v3
	v_mul_lo_u32 v5, v3, s2
	v_sub_u32_e32 v4, v4, v5
	v_add_u32_e32 v5, 1, v3
	v_cmp_le_u32_e32 vcc, s2, v4
	v_cndmask_b32_e32 v3, v3, v5, vcc
	v_subrev_u32_e32 v5, s2, v4
	v_cndmask_b32_e32 v4, v4, v5, vcc
	v_add_u32_e32 v5, 1, v3
	v_cmp_le_u32_e32 vcc, s2, v4
	v_cndmask_b32_e32 v3, v3, v5, vcc
	v_xor_b32_e32 v3, v3, v2
	v_sub_u32_e32 v6, v3, v2
	v_cmp_gt_i32_e32 vcc, s12, v6
	s_and_saveexec_b64 s[2:3], vcc
	s_cbranch_execz .LBB75_20
; %bb.1:
	v_and_b32_e32 v10, 31, v0
	v_mul_lo_u32 v0, v6, s0
	v_sub_u32_e32 v0, v1, v0
	v_mov_b32_e32 v1, s8
	v_cmp_gt_i32_e32 vcc, s8, v0
	v_cndmask_b32_e64 v1, v1, 0, vcc
	s_add_i32 s0, s0, s10
	s_load_dwordx2 s[2:3], s[4:5], 0x0
	v_sub_u32_e32 v0, v0, v1
	v_mul_lo_u32 v2, v6, s0
	v_add3_u32 v0, v2, v1, v0
	v_lshlrev_b32_e32 v1, 2, v10
	v_lshl_or_b32 v0, v0, 7, v1
	v_ashrrev_i32_e32 v1, 31, v0
	v_lshlrev_b64 v[0:1], 1, v[0:1]
	s_waitcnt lgkmcnt(0)
	v_mov_b32_e32 v2, s3
	v_add_co_u32_e64 v4, s[0:1], s2, v0
	v_addc_co_u32_e64 v5, s[0:1], v2, v1, s[0:1]
	global_load_dwordx2 v[0:1], v[4:5], off
	s_load_dwordx8 s[0:7], s[4:5], 0x18
	v_lshlrev_b32_e32 v12, 3, v10
	s_waitcnt lgkmcnt(0)
	v_mov_b32_e32 v2, s3
	v_mov_b32_e32 v3, s1
	v_mov_b32_e32 v7, s2
	v_mov_b32_e32 v8, s0
	v_cndmask_b32_e32 v3, v2, v3, vcc
	v_cndmask_b32_e32 v2, v7, v8, vcc
	v_add_co_u32_e32 v2, vcc, v2, v12
	v_addc_co_u32_e32 v3, vcc, 0, v3, vcc
	global_load_dwordx2 v[2:3], v[2:3], off
	v_mbcnt_lo_u32_b32 v7, -1, 0
	v_mbcnt_hi_u32_b32 v11, -1, v7
	v_and_b32_e32 v7, 0x60, v11
	v_xor_b32_e32 v9, 16, v11
	v_add_u32_e32 v7, 32, v7
	v_cmp_lt_i32_e32 vcc, v9, v7
	v_cndmask_b32_e32 v9, v11, v9, vcc
	v_lshlrev_b32_e32 v9, 2, v9
	v_mov_b32_e32 v8, s11
	s_mov_b32 s0, 0x800000
	s_ashr_i32 s2, s13, 31
	s_lshr_b32 s1, s2, 30
	s_add_i32 s1, s13, s1
	s_ashr_i32 s1, s1, 2
	s_waitcnt vmcnt(1)
	v_and_b32_e32 v13, 0xffff0000, v0
	v_lshlrev_b32_e32 v14, 16, v0
	v_alignbit_b32 v0, v1, v0, 16
	v_and_b32_e32 v15, 0xffff0000, v1
	v_mul_f32_e32 v1, v13, v13
	v_and_b32_e32 v16, 0xffff0000, v0
	v_fmac_f32_e32 v1, v14, v14
	v_fmac_f32_e32 v1, v16, v16
	;; [unrolled: 1-line block ×3, first 2 shown]
	ds_bpermute_b32 v0, v9, v1
	v_xor_b32_e32 v9, 8, v11
	v_cmp_lt_i32_e32 vcc, v9, v7
	v_cndmask_b32_e32 v9, v11, v9, vcc
	v_lshlrev_b32_e32 v9, 2, v9
	s_waitcnt lgkmcnt(0)
	v_add_f32_e32 v0, v1, v0
	ds_bpermute_b32 v1, v9, v0
	v_xor_b32_e32 v9, 4, v11
	v_cmp_lt_i32_e32 vcc, v9, v7
	v_cndmask_b32_e32 v9, v11, v9, vcc
	v_lshlrev_b32_e32 v9, 2, v9
	s_waitcnt lgkmcnt(0)
	v_add_f32_e32 v0, v0, v1
	ds_bpermute_b32 v1, v9, v0
	v_xor_b32_e32 v9, 2, v11
	v_cmp_lt_i32_e32 vcc, v9, v7
	v_cndmask_b32_e32 v9, v11, v9, vcc
	v_lshlrev_b32_e32 v9, 2, v9
	s_waitcnt lgkmcnt(0)
	v_add_f32_e32 v0, v0, v1
	ds_bpermute_b32 v1, v9, v0
	v_xor_b32_e32 v9, 1, v11
	v_cmp_lt_i32_e32 vcc, v9, v7
	v_cndmask_b32_e32 v7, v11, v9, vcc
	v_lshlrev_b32_e32 v7, 2, v7
	s_waitcnt lgkmcnt(0)
	v_add_f32_e32 v0, v0, v1
	ds_bpermute_b32 v1, v7, v0
	s_waitcnt vmcnt(0)
	v_lshlrev_b32_e32 v7, 16, v2
	s_waitcnt lgkmcnt(0)
	v_add_f32_e32 v0, v0, v1
	v_fmac_f32_e32 v8, 0x3c000000, v0
	v_mul_f32_e32 v0, 0x4b800000, v8
	v_cmp_gt_f32_e32 vcc, s0, v8
	v_cndmask_b32_e32 v0, v8, v0, vcc
	v_rsq_f32_e32 v0, v0
	v_and_b32_e32 v1, 0xffff0000, v2
	v_lshlrev_b32_e32 v2, 16, v3
	v_and_b32_e32 v3, 0xffff0000, v3
	v_mul_f32_e32 v8, 0x45800000, v0
	v_cndmask_b32_e32 v0, v0, v8, vcc
	v_mul_f32_e32 v7, v0, v7
	v_mul_f32_e32 v1, v0, v1
	;; [unrolled: 1-line block ×8, first 2 shown]
	v_cmp_gt_i32_e32 vcc, s1, v10
	s_and_saveexec_b64 s[0:1], vcc
	s_cbranch_execz .LBB75_3
; %bb.2:
	v_ashrrev_i32_e32 v7, 31, v6
	v_lshlrev_b64 v[6:7], 3, v[6:7]
	v_mov_b32_e32 v8, s7
	v_add_co_u32_e32 v6, vcc, s6, v6
	v_addc_co_u32_e32 v7, vcc, v8, v7, vcc
	global_load_dwordx2 v[8:9], v[6:7], off
	v_mov_b32_e32 v13, s5
	s_abs_i32 s5, s13
	v_cvt_f32_u32_e32 v14, s5
	s_sub_i32 s8, 0, s5
	v_or_b32_e32 v6, 2, v12
	v_or_b32_e32 v15, 4, v12
	v_rcp_iflag_f32_e32 v14, v14
	v_mov_b32_e32 v7, 0
	s_lshr_b32 s3, s13, 31
	s_add_i32 s3, s13, s3
	v_mul_f32_e32 v14, 0x4f7ffffe, v14
	v_cvt_u32_f32_e32 v14, v14
	s_ashr_i32 s6, s3, 1
	s_ashr_i32 s7, s6, 31
	s_lshl_b64 s[6:7], s[6:7], 2
	v_mul_lo_u32 v16, s8, v14
	v_mul_hi_u32 v16, v14, v16
	v_add_u32_e32 v24, v14, v16
	v_mul_hi_u32 v14, v12, v24
	v_mul_hi_u32 v16, v6, v24
	v_mul_lo_u32 v14, v14, s5
	v_mul_hi_u32 v17, v15, v24
	v_mul_lo_u32 v16, v16, s5
	v_sub_u32_e32 v14, v12, v14
	v_mul_lo_u32 v17, v17, s5
	v_sub_u32_e32 v6, v6, v16
	v_subrev_u32_e32 v16, s5, v14
	v_cmp_le_u32_e32 vcc, s5, v14
	v_sub_u32_e32 v15, v15, v17
	v_subrev_u32_e32 v17, s5, v6
	v_cndmask_b32_e32 v14, v14, v16, vcc
	v_cmp_le_u32_e32 vcc, s5, v6
	v_subrev_u32_e32 v19, s5, v15
	v_cndmask_b32_e32 v6, v6, v17, vcc
	v_cmp_le_u32_e32 vcc, s5, v15
	v_cndmask_b32_e32 v20, v15, v19, vcc
	v_subrev_u32_e32 v15, s5, v14
	v_cmp_le_u32_e32 vcc, s5, v14
	v_subrev_u32_e32 v16, s5, v6
	v_cndmask_b32_e32 v14, v14, v15, vcc
	v_cmp_le_u32_e32 vcc, s5, v6
	v_cndmask_b32_e32 v16, v6, v16, vcc
	v_lshrrev_b32_e32 v6, 1, v14
	v_lshlrev_b64 v[14:15], 2, v[6:7]
	v_lshrrev_b32_e32 v6, 1, v16
	v_lshlrev_b64 v[16:17], 2, v[6:7]
	v_mov_b32_e32 v18, s7
	v_subrev_u32_e32 v21, s5, v20
	; wave barrier
	s_waitcnt vmcnt(0)
	v_mul_lo_u32 v6, v9, s13
	v_mul_lo_u32 v19, v8, s2
	v_mad_u64_u32 v[8:9], s[8:9], v8, s13, 0
	v_add3_u32 v9, v9, v19, v6
	v_lshlrev_b64 v[8:9], 2, v[8:9]
	v_add_co_u32_e32 v25, vcc, s4, v8
	v_addc_co_u32_e32 v13, vcc, v13, v9, vcc
	v_add_co_u32_e32 v26, vcc, s6, v25
	v_addc_co_u32_e32 v27, vcc, v13, v18, vcc
	;; [unrolled: 2-line block ×6, first 2 shown]
	v_cmp_le_u32_e32 vcc, s5, v20
	v_cndmask_b32_e32 v6, v20, v21, vcc
	v_lshrrev_b32_e32 v6, 1, v6
	v_lshlrev_b64 v[20:21], 2, v[6:7]
	v_add_co_u32_e32 v22, vcc, v25, v20
	v_addc_co_u32_e32 v23, vcc, v13, v21, vcc
	v_add_co_u32_e32 v20, vcc, v26, v20
	v_or_b32_e32 v6, 6, v12
	v_addc_co_u32_e32 v21, vcc, v27, v21, vcc
	global_load_dword v28, v[8:9], off
	global_load_dword v29, v[14:15], off
	;; [unrolled: 1-line block ×6, first 2 shown]
	v_mul_hi_u32 v8, v6, v24
	v_mul_lo_u32 v8, v8, s5
	v_sub_u32_e32 v6, v6, v8
	v_subrev_u32_e32 v8, s5, v6
	v_cmp_le_u32_e32 vcc, s5, v6
	v_cndmask_b32_e32 v6, v6, v8, vcc
	v_subrev_u32_e32 v8, s5, v6
	v_cmp_le_u32_e32 vcc, s5, v6
	v_cndmask_b32_e32 v6, v6, v8, vcc
	v_lshrrev_b32_e32 v6, 1, v6
	v_lshlrev_b64 v[6:7], 2, v[6:7]
	v_add_co_u32_e32 v8, vcc, v26, v6
	v_addc_co_u32_e32 v9, vcc, v27, v7, vcc
	v_add_co_u32_e32 v6, vcc, v25, v6
	global_load_dword v9, v[8:9], off
	v_addc_co_u32_e32 v7, vcc, v13, v7, vcc
	global_load_dword v12, v[6:7], off
	s_lshr_b32 s2, s2, 29
	s_add_i32 s2, s13, s2
	v_and_b32_e32 v6, 64, v11
	s_ashr_i32 s2, s2, 3
	v_add_u32_e32 v6, 64, v6
	v_xor_b32_e32 v7, s2, v11
	v_cmp_lt_i32_e32 vcc, v7, v6
	v_cndmask_b32_e32 v6, v11, v7, vcc
	v_lshlrev_b32_e32 v6, 2, v6
	ds_bpermute_b32 v7, v6, v0
	ds_bpermute_b32 v8, v6, v1
	;; [unrolled: 1-line block ×4, first 2 shown]
	v_cmp_gt_i32_e32 vcc, s2, v10
	s_waitcnt lgkmcnt(3)
	v_cndmask_b32_e64 v7, v7, -v7, vcc
	s_waitcnt lgkmcnt(2)
	v_cndmask_b32_e64 v8, v8, -v8, vcc
	;; [unrolled: 2-line block ×4, first 2 shown]
	; wave barrier
	s_waitcnt vmcnt(6)
	v_mul_f32_e32 v6, v7, v29
	v_fmac_f32_e32 v6, v0, v28
	s_waitcnt vmcnt(4)
	v_mul_f32_e32 v7, v8, v31
	v_fmac_f32_e32 v7, v1, v30
	;; [unrolled: 3-line block ×3, first 2 shown]
	s_waitcnt vmcnt(1)
	v_mul_f32_e32 v9, v11, v9
	s_waitcnt vmcnt(0)
	v_fmac_f32_e32 v9, v3, v12
	v_pk_mov_b32 v[0:1], v[6:7], v[6:7] op_sel:[0,1]
	v_pk_mov_b32 v[2:3], v[8:9], v[8:9] op_sel:[0,1]
.LBB75_3:
	s_or_b64 exec, exec, s[0:1]
	s_mov_b32 s0, 0x7f800000
	v_and_b32_e32 v6, 0x7f800000, v0
	v_cmp_ne_u32_e32 vcc, s0, v6
                                        ; implicit-def: $vgpr6
	s_and_saveexec_b64 s[0:1], vcc
	s_xor_b64 s[0:1], exec, s[0:1]
; %bb.4:
	v_bfe_u32 v6, v0, 16, 1
	s_movk_i32 s2, 0x7fff
	v_add3_u32 v6, v0, v6, s2
; %bb.5:
	s_andn2_saveexec_b64 s[0:1], s[0:1]
; %bb.6:
	v_mov_b32_e32 v6, 0
	v_or_b32_e32 v7, 0x10000, v0
	v_cmp_eq_u32_sdwa vcc, v0, v6 src0_sel:WORD_0 src1_sel:DWORD
	v_cndmask_b32_e32 v6, v7, v0, vcc
; %bb.7:
	s_or_b64 exec, exec, s[0:1]
	s_mov_b32 s0, 0x7f800000
	v_and_b32_e32 v0, 0x7f800000, v1
	v_cmp_ne_u32_e32 vcc, s0, v0
                                        ; implicit-def: $vgpr7
	s_and_saveexec_b64 s[0:1], vcc
	s_xor_b64 s[0:1], exec, s[0:1]
; %bb.8:
	v_bfe_u32 v0, v1, 16, 1
	s_movk_i32 s2, 0x7fff
	v_add3_u32 v7, v1, v0, s2
; %bb.9:
	s_andn2_saveexec_b64 s[0:1], s[0:1]
; %bb.10:
	v_mov_b32_e32 v0, 0
	v_or_b32_e32 v7, 0x10000, v1
	v_cmp_eq_u32_sdwa vcc, v1, v0 src0_sel:WORD_0 src1_sel:DWORD
	v_cndmask_b32_e32 v7, v7, v1, vcc
; %bb.11:
	s_or_b64 exec, exec, s[0:1]
	s_mov_b32 s0, 0x7f800000
	v_and_b32_e32 v0, 0x7f800000, v2
	v_cmp_ne_u32_e32 vcc, s0, v0
                                        ; implicit-def: $vgpr8
	s_and_saveexec_b64 s[0:1], vcc
	s_xor_b64 s[0:1], exec, s[0:1]
; %bb.12:
	v_bfe_u32 v0, v2, 16, 1
	s_movk_i32 s2, 0x7fff
	v_add3_u32 v8, v2, v0, s2
; %bb.13:
	s_andn2_saveexec_b64 s[0:1], s[0:1]
; %bb.14:
	v_mov_b32_e32 v0, 0
	v_or_b32_e32 v1, 0x10000, v2
	v_cmp_eq_u32_sdwa vcc, v2, v0 src0_sel:WORD_0 src1_sel:DWORD
	v_cndmask_b32_e32 v8, v1, v2, vcc
; %bb.15:
	s_or_b64 exec, exec, s[0:1]
	s_mov_b32 s0, 0x7f800000
	v_and_b32_e32 v0, 0x7f800000, v3
	v_cmp_ne_u32_e32 vcc, s0, v0
                                        ; implicit-def: $vgpr9
	s_and_saveexec_b64 s[0:1], vcc
	s_xor_b64 s[0:1], exec, s[0:1]
; %bb.16:
	v_bfe_u32 v0, v3, 16, 1
	s_movk_i32 s2, 0x7fff
	v_add3_u32 v9, v3, v0, s2
                                        ; implicit-def: $vgpr0_vgpr1_vgpr2_vgpr3
; %bb.17:
	s_andn2_saveexec_b64 s[0:1], s[0:1]
; %bb.18:
	v_mov_b32_e32 v0, 0
	v_or_b32_e32 v1, 0x10000, v3
	v_cmp_eq_u32_sdwa vcc, v3, v0 src0_sel:WORD_0 src1_sel:DWORD
	v_cndmask_b32_e32 v9, v1, v3, vcc
; %bb.19:
	s_or_b64 exec, exec, s[0:1]
	v_lshrrev_b32_e32 v0, 16, v6
	s_mov_b32 s0, 0xffff0000
	v_and_b32_e32 v1, 0xffff0000, v9
	v_or_b32_sdwa v1, v1, v8 dst_sel:DWORD dst_unused:UNUSED_PAD src0_sel:DWORD src1_sel:WORD_1
	v_and_or_b32 v0, v7, s0, v0
	global_store_dwordx2 v[4:5], v[0:1], off
.LBB75_20:
	s_endpgm
	.section	.rodata,"a",@progbits
	.p2align	6, 0x0
	.amdhsa_kernel _ZN12tensorrt_llm7kernels21fusedQKNormRopeKernelIN3c108BFloat16EfLi128ELb0EEEvPviiifPKvS6_S6_PKlii
		.amdhsa_group_segment_fixed_size 0
		.amdhsa_private_segment_fixed_size 0
		.amdhsa_kernarg_size 320
		.amdhsa_user_sgpr_count 6
		.amdhsa_user_sgpr_private_segment_buffer 1
		.amdhsa_user_sgpr_dispatch_ptr 0
		.amdhsa_user_sgpr_queue_ptr 0
		.amdhsa_user_sgpr_kernarg_segment_ptr 1
		.amdhsa_user_sgpr_dispatch_id 0
		.amdhsa_user_sgpr_flat_scratch_init 0
		.amdhsa_user_sgpr_kernarg_preload_length 0
		.amdhsa_user_sgpr_kernarg_preload_offset 0
		.amdhsa_user_sgpr_private_segment_size 0
		.amdhsa_uses_dynamic_stack 0
		.amdhsa_system_sgpr_private_segment_wavefront_offset 0
		.amdhsa_system_sgpr_workgroup_id_x 1
		.amdhsa_system_sgpr_workgroup_id_y 0
		.amdhsa_system_sgpr_workgroup_id_z 0
		.amdhsa_system_sgpr_workgroup_info 0
		.amdhsa_system_vgpr_workitem_id 0
		.amdhsa_next_free_vgpr 34
		.amdhsa_next_free_sgpr 14
		.amdhsa_accum_offset 36
		.amdhsa_reserve_vcc 1
		.amdhsa_reserve_flat_scratch 0
		.amdhsa_float_round_mode_32 0
		.amdhsa_float_round_mode_16_64 0
		.amdhsa_float_denorm_mode_32 3
		.amdhsa_float_denorm_mode_16_64 3
		.amdhsa_dx10_clamp 1
		.amdhsa_ieee_mode 1
		.amdhsa_fp16_overflow 0
		.amdhsa_tg_split 0
		.amdhsa_exception_fp_ieee_invalid_op 0
		.amdhsa_exception_fp_denorm_src 0
		.amdhsa_exception_fp_ieee_div_zero 0
		.amdhsa_exception_fp_ieee_overflow 0
		.amdhsa_exception_fp_ieee_underflow 0
		.amdhsa_exception_fp_ieee_inexact 0
		.amdhsa_exception_int_div_zero 0
	.end_amdhsa_kernel
	.section	.text._ZN12tensorrt_llm7kernels21fusedQKNormRopeKernelIN3c108BFloat16EfLi128ELb0EEEvPviiifPKvS6_S6_PKlii,"axG",@progbits,_ZN12tensorrt_llm7kernels21fusedQKNormRopeKernelIN3c108BFloat16EfLi128ELb0EEEvPviiifPKvS6_S6_PKlii,comdat
.Lfunc_end75:
	.size	_ZN12tensorrt_llm7kernels21fusedQKNormRopeKernelIN3c108BFloat16EfLi128ELb0EEEvPviiifPKvS6_S6_PKlii, .Lfunc_end75-_ZN12tensorrt_llm7kernels21fusedQKNormRopeKernelIN3c108BFloat16EfLi128ELb0EEEvPviiifPKvS6_S6_PKlii
                                        ; -- End function
	.section	.AMDGPU.csdata,"",@progbits
; Kernel info:
; codeLenInByte = 1844
; NumSgprs: 18
; NumVgprs: 34
; NumAgprs: 0
; TotalNumVgprs: 34
; ScratchSize: 0
; MemoryBound: 0
; FloatMode: 240
; IeeeMode: 1
; LDSByteSize: 0 bytes/workgroup (compile time only)
; SGPRBlocks: 2
; VGPRBlocks: 4
; NumSGPRsForWavesPerEU: 18
; NumVGPRsForWavesPerEU: 34
; AccumOffset: 36
; Occupancy: 8
; WaveLimiterHint : 1
; COMPUTE_PGM_RSRC2:SCRATCH_EN: 0
; COMPUTE_PGM_RSRC2:USER_SGPR: 6
; COMPUTE_PGM_RSRC2:TRAP_HANDLER: 0
; COMPUTE_PGM_RSRC2:TGID_X_EN: 1
; COMPUTE_PGM_RSRC2:TGID_Y_EN: 0
; COMPUTE_PGM_RSRC2:TGID_Z_EN: 0
; COMPUTE_PGM_RSRC2:TIDIG_COMP_CNT: 0
; COMPUTE_PGM_RSRC3_GFX90A:ACCUM_OFFSET: 8
; COMPUTE_PGM_RSRC3_GFX90A:TG_SPLIT: 0
	.section	.text._ZN12tensorrt_llm7kernels21fusedQKNormRopeKernelIN3c108BFloat16EfLi256ELb1EEEvPviiifPKvS6_S6_PKlii,"axG",@progbits,_ZN12tensorrt_llm7kernels21fusedQKNormRopeKernelIN3c108BFloat16EfLi256ELb1EEEvPviiifPKvS6_S6_PKlii,comdat
	.protected	_ZN12tensorrt_llm7kernels21fusedQKNormRopeKernelIN3c108BFloat16EfLi256ELb1EEEvPviiifPKvS6_S6_PKlii ; -- Begin function _ZN12tensorrt_llm7kernels21fusedQKNormRopeKernelIN3c108BFloat16EfLi256ELb1EEEvPviiifPKvS6_S6_PKlii
	.globl	_ZN12tensorrt_llm7kernels21fusedQKNormRopeKernelIN3c108BFloat16EfLi256ELb1EEEvPviiifPKvS6_S6_PKlii
	.p2align	8
	.type	_ZN12tensorrt_llm7kernels21fusedQKNormRopeKernelIN3c108BFloat16EfLi256ELb1EEEvPviiifPKvS6_S6_PKlii,@function
_ZN12tensorrt_llm7kernels21fusedQKNormRopeKernelIN3c108BFloat16EfLi256ELb1EEEvPviiifPKvS6_S6_PKlii: ; @_ZN12tensorrt_llm7kernels21fusedQKNormRopeKernelIN3c108BFloat16EfLi256ELb1EEEvPviiifPKvS6_S6_PKlii
; %bb.0:
	s_load_dwordx4 s[8:11], s[4:5], 0x8
	s_load_dwordx2 s[12:13], s[4:5], 0x38
	s_load_dword s1, s[4:5], 0x4c
	v_lshrrev_b32_e32 v2, 5, v0
	s_waitcnt lgkmcnt(0)
	s_add_i32 s0, s9, s8
	s_abs_i32 s2, s0
	v_cvt_f32_u32_e32 v1, s2
	s_bfe_u32 s1, s1, 0xb0005
	s_mul_i32 s6, s6, s1
	s_sub_i32 s1, 0, s2
	v_rcp_iflag_f32_e32 v3, v1
	v_add_u32_e32 v1, s6, v2
	v_sub_u32_e32 v4, 0, v1
	v_max_i32_e32 v4, v1, v4
	v_mul_f32_e32 v3, 0x4f7ffffe, v3
	v_cvt_u32_f32_e32 v3, v3
	v_xor_b32_e32 v2, s0, v1
	v_ashrrev_i32_e32 v2, 31, v2
	v_mul_lo_u32 v5, s1, v3
	v_mul_hi_u32 v5, v3, v5
	v_add_u32_e32 v3, v3, v5
	v_mul_hi_u32 v3, v4, v3
	v_mul_lo_u32 v5, v3, s2
	v_sub_u32_e32 v4, v4, v5
	v_add_u32_e32 v5, 1, v3
	v_cmp_le_u32_e32 vcc, s2, v4
	v_cndmask_b32_e32 v3, v3, v5, vcc
	v_subrev_u32_e32 v5, s2, v4
	v_cndmask_b32_e32 v4, v4, v5, vcc
	v_add_u32_e32 v5, 1, v3
	v_cmp_le_u32_e32 vcc, s2, v4
	v_cndmask_b32_e32 v3, v3, v5, vcc
	v_xor_b32_e32 v3, v3, v2
	v_sub_u32_e32 v8, v3, v2
	v_cmp_gt_i32_e32 vcc, s12, v8
	s_and_saveexec_b64 s[2:3], vcc
	s_cbranch_execz .LBB76_36
; %bb.1:
	v_and_b32_e32 v9, 31, v0
	v_mul_lo_u32 v0, v8, s0
	v_sub_u32_e32 v0, v1, v0
	v_mov_b32_e32 v1, s8
	v_cmp_gt_i32_e32 vcc, s8, v0
	v_cndmask_b32_e64 v1, v1, 0, vcc
	s_add_i32 s0, s0, s10
	s_load_dwordx2 s[2:3], s[4:5], 0x0
	v_sub_u32_e32 v0, v0, v1
	v_mul_lo_u32 v2, v8, s0
	v_add3_u32 v0, v2, v1, v0
	v_lshlrev_b32_e32 v1, 3, v9
	v_lshl_or_b32 v0, v0, 8, v1
	v_ashrrev_i32_e32 v1, 31, v0
	v_lshlrev_b64 v[0:1], 1, v[0:1]
	s_waitcnt lgkmcnt(0)
	v_mov_b32_e32 v2, s3
	v_add_co_u32_e64 v4, s[0:1], s2, v0
	v_addc_co_u32_e64 v5, s[0:1], v2, v1, s[0:1]
	global_load_dwordx4 v[14:17], v[4:5], off
	s_load_dwordx8 s[0:7], s[4:5], 0x18
	v_lshlrev_b32_e32 v12, 4, v9
	v_mbcnt_lo_u32_b32 v6, -1, 0
	v_mbcnt_hi_u32_b32 v26, -1, v6
	v_and_b32_e32 v6, 0x60, v26
	s_waitcnt lgkmcnt(0)
	v_mov_b32_e32 v0, s3
	v_mov_b32_e32 v1, s1
	;; [unrolled: 1-line block ×4, first 2 shown]
	v_cndmask_b32_e32 v1, v0, v1, vcc
	v_cndmask_b32_e32 v0, v2, v3, vcc
	v_add_co_u32_e32 v0, vcc, v0, v12
	v_addc_co_u32_e32 v1, vcc, 0, v1, vcc
	global_load_dwordx4 v[0:3], v[0:1], off
	v_xor_b32_e32 v7, 16, v26
	v_add_u32_e32 v30, 32, v6
	v_cmp_lt_i32_e32 vcc, v7, v30
	v_cndmask_b32_e32 v6, v26, v7, vcc
	v_lshlrev_b32_e32 v31, 2, v6
	v_xor_b32_e32 v27, 8, v26
	v_cmp_lt_i32_e32 vcc, v27, v30
	v_xor_b32_e32 v28, 4, v26
	v_xor_b32_e32 v29, 2, v26
	v_mov_b32_e32 v13, s11
	s_mov_b32 s0, 0x800000
	s_ashr_i32 s2, s13, 31
	s_lshr_b32 s1, s2, 29
	s_add_i32 s1, s13, s1
	s_ashr_i32 s1, s1, 3
	s_waitcnt vmcnt(1)
	v_and_b32_e32 v7, 0xffff0000, v14
	v_lshlrev_b32_e32 v6, 16, v14
	v_and_b32_e32 v19, 0xffff0000, v17
	v_lshlrev_b32_e32 v18, 16, v17
	;; [unrolled: 2-line block ×4, first 2 shown]
	v_pk_mul_f32 v[16:17], v[6:7], v[6:7]
	v_pk_mul_f32 v[22:23], v[20:21], v[20:21]
	v_add_f32_e32 v16, v16, v17
	v_add_f32_e32 v16, v16, v22
	v_pk_mul_f32 v[24:25], v[14:15], v[14:15]
	v_add_f32_e32 v16, v16, v23
	v_add_f32_e32 v16, v16, v24
	;; [unrolled: 3-line block ×3, first 2 shown]
	v_add_f32_e32 v10, v10, v11
	ds_bpermute_b32 v11, v31, v10
	v_cndmask_b32_e32 v17, v26, v27, vcc
	v_lshlrev_b32_e32 v17, 2, v17
	v_cmp_lt_i32_e32 vcc, v28, v30
	v_xor_b32_e32 v16, 1, v26
	s_waitcnt lgkmcnt(0)
	v_add_f32_e32 v10, v10, v11
	ds_bpermute_b32 v11, v17, v10
	v_cndmask_b32_e32 v17, v26, v28, vcc
	v_lshlrev_b32_e32 v17, 2, v17
	v_cmp_lt_i32_e32 vcc, v29, v30
	s_waitcnt lgkmcnt(0)
	v_add_f32_e32 v10, v10, v11
	ds_bpermute_b32 v11, v17, v10
	v_cndmask_b32_e32 v17, v26, v29, vcc
	v_lshlrev_b32_e32 v17, 2, v17
	v_cmp_lt_i32_e32 vcc, v16, v30
	s_waitcnt lgkmcnt(0)
	v_add_f32_e32 v10, v10, v11
	ds_bpermute_b32 v17, v17, v10
	v_cndmask_b32_e32 v11, v26, v16, vcc
	v_lshlrev_b32_e32 v16, 2, v11
	s_waitcnt vmcnt(0)
	v_and_b32_e32 v11, 0xffff0000, v0
	s_waitcnt lgkmcnt(0)
	v_add_f32_e32 v22, v10, v17
	ds_bpermute_b32 v23, v16, v22
	v_lshlrev_b32_e32 v10, 16, v0
	v_and_b32_e32 v17, 0xffff0000, v1
	v_lshlrev_b32_e32 v16, 16, v1
	v_and_b32_e32 v1, 0xffff0000, v2
	s_waitcnt lgkmcnt(0)
	v_add_f32_e32 v0, v22, v23
	v_fmac_f32_e32 v13, 0x3b800000, v0
	v_mul_f32_e32 v0, 0x4b800000, v13
	v_cmp_gt_f32_e32 vcc, s0, v13
	v_cndmask_b32_e32 v0, v13, v0, vcc
	v_rsq_f32_e32 v13, v0
	v_lshlrev_b32_e32 v0, 16, v2
	v_and_b32_e32 v23, 0xffff0000, v3
	v_lshlrev_b32_e32 v22, 16, v3
	v_mul_f32_e32 v2, 0x45800000, v13
	v_cndmask_b32_e32 v2, v13, v2, vcc
	v_pk_mul_f32 v[10:11], v[2:3], v[10:11] op_sel_hi:[0,1]
	v_pk_mul_f32 v[16:17], v[2:3], v[16:17] op_sel_hi:[0,1]
	;; [unrolled: 1-line block ×4, first 2 shown]
	v_pk_mul_f32 v[10:11], v[10:11], v[6:7]
	v_pk_mul_f32 v[6:7], v[16:17], v[20:21]
	;; [unrolled: 1-line block ×4, first 2 shown]
	v_cmp_gt_i32_e32 vcc, s1, v9
	s_and_saveexec_b64 s[0:1], vcc
	s_cbranch_execz .LBB76_3
; %bb.2:
	v_ashrrev_i32_e32 v9, 31, v8
	v_lshlrev_b64 v[8:9], 3, v[8:9]
	v_mov_b32_e32 v13, s7
	v_add_co_u32_e32 v8, vcc, s6, v8
	v_addc_co_u32_e32 v9, vcc, v13, v9, vcc
	global_load_dwordx2 v[8:9], v[8:9], off
	s_lshr_b32 s3, s13, 31
	s_add_i32 s3, s13, s3
	s_ashr_i32 s6, s3, 1
	v_mov_b32_e32 v13, s5
	s_ashr_i32 s7, s6, 31
	s_lshl_b64 s[6:7], s[6:7], 2
	v_mov_b32_e32 v14, s7
	s_waitcnt vmcnt(0)
	v_mul_lo_u32 v15, v9, s13
	v_mul_lo_u32 v16, v8, s2
	v_mad_u64_u32 v[8:9], s[2:3], v8, s13, 0
	v_add3_u32 v9, v9, v16, v15
	v_lshlrev_b64 v[8:9], 2, v[8:9]
	v_add_co_u32_e32 v8, vcc, s4, v8
	v_addc_co_u32_e32 v9, vcc, v13, v9, vcc
	v_add_co_u32_e32 v8, vcc, v8, v12
	v_addc_co_u32_e32 v9, vcc, 0, v9, vcc
	;; [unrolled: 2-line block ×3, first 2 shown]
	global_load_dwordx4 v[12:15], v[8:9], off
	global_load_dwordx4 v[16:19], v[20:21], off
	s_waitcnt vmcnt(1)
	v_pk_mul_f32 v[8:9], v[10:11], v[12:13] op_sel_hi:[1,0]
	s_waitcnt vmcnt(0)
	v_pk_mul_f32 v[20:21], v[10:11], v[16:17] op_sel_hi:[1,0]
	v_pk_mul_f32 v[16:17], v[6:7], v[16:17] op_sel:[0,1]
	v_pk_mul_f32 v[22:23], v[2:3], v[18:19] op_sel_hi:[1,0]
	v_pk_fma_f32 v[10:11], v[10:11], v[12:13], v[20:21] op_sel:[0,0,1] op_sel_hi:[1,0,0]
	v_pk_fma_f32 v[24:25], v[6:7], v[12:13], v[16:17] op_sel:[0,1,1] op_sel_hi:[1,1,0] neg_lo:[0,0,1] neg_hi:[0,0,1]
	v_pk_fma_f32 v[6:7], v[6:7], v[12:13], v[16:17] op_sel:[0,1,1] op_sel_hi:[1,1,0]
	v_pk_fma_f32 v[12:13], v[2:3], v[14:15], v[22:23] op_sel:[0,0,1] op_sel_hi:[1,0,0] neg_lo:[0,0,1] neg_hi:[0,0,1]
	v_pk_fma_f32 v[2:3], v[2:3], v[14:15], v[22:23] op_sel:[0,0,1] op_sel_hi:[1,0,0]
	v_mov_b32_e32 v14, v19
	v_pk_mul_f32 v[16:17], v[0:1], v[14:15]
	v_mul_f32_e32 v9, v1, v19
	v_sub_f32_e32 v10, v8, v21
	v_mov_b32_e32 v8, v17
	v_fma_f32 v13, v0, v15, -v9
	v_pk_fma_f32 v[8:9], v[0:1], v[14:15], v[8:9]
	v_mov_b32_e32 v6, v24
	v_mov_b32_e32 v2, v12
	;; [unrolled: 1-line block ×4, first 2 shown]
.LBB76_3:
	s_or_b64 exec, exec, s[0:1]
	s_mov_b32 s0, 0x7f800000
	v_and_b32_e32 v8, 0x7f800000, v10
	v_cmp_ne_u32_e32 vcc, s0, v8
                                        ; implicit-def: $vgpr8
	s_and_saveexec_b64 s[0:1], vcc
	s_xor_b64 s[0:1], exec, s[0:1]
; %bb.4:
	v_bfe_u32 v8, v10, 16, 1
	s_movk_i32 s2, 0x7fff
	v_add3_u32 v8, v10, v8, s2
; %bb.5:
	s_andn2_saveexec_b64 s[0:1], s[0:1]
; %bb.6:
	v_mov_b32_e32 v8, 0
	v_or_b32_e32 v9, 0x10000, v10
	v_cmp_eq_u32_sdwa vcc, v10, v8 src0_sel:WORD_0 src1_sel:DWORD
	v_cndmask_b32_e32 v8, v9, v10, vcc
; %bb.7:
	s_or_b64 exec, exec, s[0:1]
	s_mov_b32 s0, 0x7f800000
	v_and_b32_e32 v9, 0x7f800000, v11
	v_cmp_ne_u32_e32 vcc, s0, v9
                                        ; implicit-def: $vgpr9
	s_and_saveexec_b64 s[0:1], vcc
	s_xor_b64 s[0:1], exec, s[0:1]
; %bb.8:
	v_bfe_u32 v9, v11, 16, 1
	s_movk_i32 s2, 0x7fff
	v_add3_u32 v9, v11, v9, s2
                                        ; implicit-def: $vgpr11
; %bb.9:
	s_andn2_saveexec_b64 s[0:1], s[0:1]
; %bb.10:
	v_mov_b32_e32 v9, 0
	v_or_b32_e32 v10, 0x10000, v11
	v_cmp_eq_u32_sdwa vcc, v11, v9 src0_sel:WORD_0 src1_sel:DWORD
	v_cndmask_b32_e32 v9, v10, v11, vcc
; %bb.11:
	s_or_b64 exec, exec, s[0:1]
	s_mov_b32 s0, 0x7f800000
	v_and_b32_e32 v10, 0x7f800000, v6
	v_cmp_ne_u32_e32 vcc, s0, v10
                                        ; implicit-def: $vgpr10
	s_and_saveexec_b64 s[0:1], vcc
	s_xor_b64 s[0:1], exec, s[0:1]
; %bb.12:
	v_bfe_u32 v10, v6, 16, 1
	s_movk_i32 s2, 0x7fff
	v_add3_u32 v10, v6, v10, s2
; %bb.13:
	s_andn2_saveexec_b64 s[0:1], s[0:1]
; %bb.14:
	v_mov_b32_e32 v10, 0
	v_or_b32_e32 v11, 0x10000, v6
	v_cmp_eq_u32_sdwa vcc, v6, v10 src0_sel:WORD_0 src1_sel:DWORD
	v_cndmask_b32_e32 v10, v11, v6, vcc
; %bb.15:
	s_or_b64 exec, exec, s[0:1]
	s_mov_b32 s0, 0x7f800000
	v_and_b32_e32 v6, 0x7f800000, v7
	v_cmp_ne_u32_e32 vcc, s0, v6
                                        ; implicit-def: $vgpr6
	s_and_saveexec_b64 s[0:1], vcc
	s_xor_b64 s[0:1], exec, s[0:1]
; %bb.16:
	v_bfe_u32 v6, v7, 16, 1
	s_movk_i32 s2, 0x7fff
	v_add3_u32 v6, v7, v6, s2
                                        ; implicit-def: $vgpr7
; %bb.17:
	s_andn2_saveexec_b64 s[0:1], s[0:1]
; %bb.18:
	v_mov_b32_e32 v6, 0
	v_or_b32_e32 v11, 0x10000, v7
	v_cmp_eq_u32_sdwa vcc, v7, v6 src0_sel:WORD_0 src1_sel:DWORD
	v_cndmask_b32_e32 v6, v11, v7, vcc
; %bb.19:
	s_or_b64 exec, exec, s[0:1]
	s_mov_b32 s0, 0x7f800000
	v_and_b32_e32 v7, 0x7f800000, v2
	v_cmp_ne_u32_e32 vcc, s0, v7
                                        ; implicit-def: $vgpr7
	s_and_saveexec_b64 s[0:1], vcc
	s_xor_b64 s[0:1], exec, s[0:1]
; %bb.20:
	v_bfe_u32 v7, v2, 16, 1
	s_movk_i32 s2, 0x7fff
	v_add3_u32 v7, v2, v7, s2
; %bb.21:
	s_andn2_saveexec_b64 s[0:1], s[0:1]
; %bb.22:
	v_mov_b32_e32 v7, 0
	v_or_b32_e32 v11, 0x10000, v2
	v_cmp_eq_u32_sdwa vcc, v2, v7 src0_sel:WORD_0 src1_sel:DWORD
	v_cndmask_b32_e32 v7, v11, v2, vcc
; %bb.23:
	s_or_b64 exec, exec, s[0:1]
	s_mov_b32 s0, 0x7f800000
	v_and_b32_e32 v2, 0x7f800000, v3
	v_cmp_ne_u32_e32 vcc, s0, v2
                                        ; implicit-def: $vgpr2
	s_and_saveexec_b64 s[0:1], vcc
	s_xor_b64 s[0:1], exec, s[0:1]
; %bb.24:
	v_bfe_u32 v2, v3, 16, 1
	s_movk_i32 s2, 0x7fff
	v_add3_u32 v2, v3, v2, s2
                                        ; implicit-def: $vgpr3
; %bb.25:
	s_andn2_saveexec_b64 s[0:1], s[0:1]
; %bb.26:
	v_mov_b32_e32 v2, 0
	v_or_b32_e32 v11, 0x10000, v3
	v_cmp_eq_u32_sdwa vcc, v3, v2 src0_sel:WORD_0 src1_sel:DWORD
	v_cndmask_b32_e32 v2, v11, v3, vcc
; %bb.27:
	s_or_b64 exec, exec, s[0:1]
	s_mov_b32 s0, 0x7f800000
	v_and_b32_e32 v3, 0x7f800000, v0
	v_cmp_ne_u32_e32 vcc, s0, v3
                                        ; implicit-def: $vgpr3
	s_and_saveexec_b64 s[0:1], vcc
	s_xor_b64 s[0:1], exec, s[0:1]
; %bb.28:
	v_bfe_u32 v3, v0, 16, 1
	s_movk_i32 s2, 0x7fff
	v_add3_u32 v3, v0, v3, s2
; %bb.29:
	s_andn2_saveexec_b64 s[0:1], s[0:1]
; %bb.30:
	v_mov_b32_e32 v3, 0
	v_or_b32_e32 v11, 0x10000, v0
	v_cmp_eq_u32_sdwa vcc, v0, v3 src0_sel:WORD_0 src1_sel:DWORD
	v_cndmask_b32_e32 v3, v11, v0, vcc
; %bb.31:
	s_or_b64 exec, exec, s[0:1]
	s_mov_b32 s0, 0x7f800000
	v_and_b32_e32 v0, 0x7f800000, v1
	v_cmp_ne_u32_e32 vcc, s0, v0
                                        ; implicit-def: $vgpr0
	s_and_saveexec_b64 s[0:1], vcc
	s_xor_b64 s[0:1], exec, s[0:1]
; %bb.32:
	v_bfe_u32 v0, v1, 16, 1
	s_movk_i32 s2, 0x7fff
	v_add3_u32 v0, v1, v0, s2
                                        ; implicit-def: $vgpr1
; %bb.33:
	s_andn2_saveexec_b64 s[0:1], s[0:1]
; %bb.34:
	v_mov_b32_e32 v0, 0
	v_or_b32_e32 v11, 0x10000, v1
	v_cmp_eq_u32_sdwa vcc, v1, v0 src0_sel:WORD_0 src1_sel:DWORD
	v_cndmask_b32_e32 v0, v11, v1, vcc
; %bb.35:
	s_or_b64 exec, exec, s[0:1]
	s_mov_b32 s0, 0x7060302
	v_perm_b32 v3, v0, v3, s0
	v_perm_b32 v2, v2, v7, s0
	;; [unrolled: 1-line block ×4, first 2 shown]
	global_store_dwordx4 v[4:5], v[0:3], off
.LBB76_36:
	s_endpgm
	.section	.rodata,"a",@progbits
	.p2align	6, 0x0
	.amdhsa_kernel _ZN12tensorrt_llm7kernels21fusedQKNormRopeKernelIN3c108BFloat16EfLi256ELb1EEEvPviiifPKvS6_S6_PKlii
		.amdhsa_group_segment_fixed_size 0
		.amdhsa_private_segment_fixed_size 0
		.amdhsa_kernarg_size 320
		.amdhsa_user_sgpr_count 6
		.amdhsa_user_sgpr_private_segment_buffer 1
		.amdhsa_user_sgpr_dispatch_ptr 0
		.amdhsa_user_sgpr_queue_ptr 0
		.amdhsa_user_sgpr_kernarg_segment_ptr 1
		.amdhsa_user_sgpr_dispatch_id 0
		.amdhsa_user_sgpr_flat_scratch_init 0
		.amdhsa_user_sgpr_kernarg_preload_length 0
		.amdhsa_user_sgpr_kernarg_preload_offset 0
		.amdhsa_user_sgpr_private_segment_size 0
		.amdhsa_uses_dynamic_stack 0
		.amdhsa_system_sgpr_private_segment_wavefront_offset 0
		.amdhsa_system_sgpr_workgroup_id_x 1
		.amdhsa_system_sgpr_workgroup_id_y 0
		.amdhsa_system_sgpr_workgroup_id_z 0
		.amdhsa_system_sgpr_workgroup_info 0
		.amdhsa_system_vgpr_workitem_id 0
		.amdhsa_next_free_vgpr 32
		.amdhsa_next_free_sgpr 14
		.amdhsa_accum_offset 32
		.amdhsa_reserve_vcc 1
		.amdhsa_reserve_flat_scratch 0
		.amdhsa_float_round_mode_32 0
		.amdhsa_float_round_mode_16_64 0
		.amdhsa_float_denorm_mode_32 3
		.amdhsa_float_denorm_mode_16_64 3
		.amdhsa_dx10_clamp 1
		.amdhsa_ieee_mode 1
		.amdhsa_fp16_overflow 0
		.amdhsa_tg_split 0
		.amdhsa_exception_fp_ieee_invalid_op 0
		.amdhsa_exception_fp_denorm_src 0
		.amdhsa_exception_fp_ieee_div_zero 0
		.amdhsa_exception_fp_ieee_overflow 0
		.amdhsa_exception_fp_ieee_underflow 0
		.amdhsa_exception_fp_ieee_inexact 0
		.amdhsa_exception_int_div_zero 0
	.end_amdhsa_kernel
	.section	.text._ZN12tensorrt_llm7kernels21fusedQKNormRopeKernelIN3c108BFloat16EfLi256ELb1EEEvPviiifPKvS6_S6_PKlii,"axG",@progbits,_ZN12tensorrt_llm7kernels21fusedQKNormRopeKernelIN3c108BFloat16EfLi256ELb1EEEvPviiifPKvS6_S6_PKlii,comdat
.Lfunc_end76:
	.size	_ZN12tensorrt_llm7kernels21fusedQKNormRopeKernelIN3c108BFloat16EfLi256ELb1EEEvPviiifPKvS6_S6_PKlii, .Lfunc_end76-_ZN12tensorrt_llm7kernels21fusedQKNormRopeKernelIN3c108BFloat16EfLi256ELb1EEEvPviiifPKvS6_S6_PKlii
                                        ; -- End function
	.section	.AMDGPU.csdata,"",@progbits
; Kernel info:
; codeLenInByte = 1836
; NumSgprs: 18
; NumVgprs: 32
; NumAgprs: 0
; TotalNumVgprs: 32
; ScratchSize: 0
; MemoryBound: 0
; FloatMode: 240
; IeeeMode: 1
; LDSByteSize: 0 bytes/workgroup (compile time only)
; SGPRBlocks: 2
; VGPRBlocks: 3
; NumSGPRsForWavesPerEU: 18
; NumVGPRsForWavesPerEU: 32
; AccumOffset: 32
; Occupancy: 8
; WaveLimiterHint : 1
; COMPUTE_PGM_RSRC2:SCRATCH_EN: 0
; COMPUTE_PGM_RSRC2:USER_SGPR: 6
; COMPUTE_PGM_RSRC2:TRAP_HANDLER: 0
; COMPUTE_PGM_RSRC2:TGID_X_EN: 1
; COMPUTE_PGM_RSRC2:TGID_Y_EN: 0
; COMPUTE_PGM_RSRC2:TGID_Z_EN: 0
; COMPUTE_PGM_RSRC2:TIDIG_COMP_CNT: 0
; COMPUTE_PGM_RSRC3_GFX90A:ACCUM_OFFSET: 7
; COMPUTE_PGM_RSRC3_GFX90A:TG_SPLIT: 0
	.section	.text._ZN12tensorrt_llm7kernels21fusedQKNormRopeKernelIN3c108BFloat16EfLi256ELb0EEEvPviiifPKvS6_S6_PKlii,"axG",@progbits,_ZN12tensorrt_llm7kernels21fusedQKNormRopeKernelIN3c108BFloat16EfLi256ELb0EEEvPviiifPKvS6_S6_PKlii,comdat
	.protected	_ZN12tensorrt_llm7kernels21fusedQKNormRopeKernelIN3c108BFloat16EfLi256ELb0EEEvPviiifPKvS6_S6_PKlii ; -- Begin function _ZN12tensorrt_llm7kernels21fusedQKNormRopeKernelIN3c108BFloat16EfLi256ELb0EEEvPviiifPKvS6_S6_PKlii
	.globl	_ZN12tensorrt_llm7kernels21fusedQKNormRopeKernelIN3c108BFloat16EfLi256ELb0EEEvPviiifPKvS6_S6_PKlii
	.p2align	8
	.type	_ZN12tensorrt_llm7kernels21fusedQKNormRopeKernelIN3c108BFloat16EfLi256ELb0EEEvPviiifPKvS6_S6_PKlii,@function
_ZN12tensorrt_llm7kernels21fusedQKNormRopeKernelIN3c108BFloat16EfLi256ELb0EEEvPviiifPKvS6_S6_PKlii: ; @_ZN12tensorrt_llm7kernels21fusedQKNormRopeKernelIN3c108BFloat16EfLi256ELb0EEEvPviiifPKvS6_S6_PKlii
; %bb.0:
	s_load_dwordx4 s[8:11], s[4:5], 0x8
	s_load_dwordx2 s[12:13], s[4:5], 0x38
	s_load_dword s1, s[4:5], 0x4c
	v_lshrrev_b32_e32 v2, 5, v0
	s_waitcnt lgkmcnt(0)
	s_add_i32 s0, s9, s8
	s_abs_i32 s2, s0
	v_cvt_f32_u32_e32 v1, s2
	s_bfe_u32 s1, s1, 0xb0005
	s_mul_i32 s6, s6, s1
	s_sub_i32 s1, 0, s2
	v_rcp_iflag_f32_e32 v3, v1
	v_add_u32_e32 v1, s6, v2
	v_sub_u32_e32 v4, 0, v1
	v_max_i32_e32 v4, v1, v4
	v_mul_f32_e32 v3, 0x4f7ffffe, v3
	v_cvt_u32_f32_e32 v3, v3
	v_xor_b32_e32 v2, s0, v1
	v_ashrrev_i32_e32 v2, 31, v2
	v_mul_lo_u32 v5, s1, v3
	v_mul_hi_u32 v5, v3, v5
	v_add_u32_e32 v3, v3, v5
	v_mul_hi_u32 v3, v4, v3
	v_mul_lo_u32 v5, v3, s2
	v_sub_u32_e32 v4, v4, v5
	v_add_u32_e32 v5, 1, v3
	v_cmp_le_u32_e32 vcc, s2, v4
	v_cndmask_b32_e32 v3, v3, v5, vcc
	v_subrev_u32_e32 v5, s2, v4
	v_cndmask_b32_e32 v4, v4, v5, vcc
	v_add_u32_e32 v5, 1, v3
	v_cmp_le_u32_e32 vcc, s2, v4
	v_cndmask_b32_e32 v3, v3, v5, vcc
	v_xor_b32_e32 v3, v3, v2
	v_sub_u32_e32 v10, v3, v2
	v_cmp_gt_i32_e32 vcc, s12, v10
	s_and_saveexec_b64 s[2:3], vcc
	s_cbranch_execz .LBB77_36
; %bb.1:
	v_and_b32_e32 v14, 31, v0
	v_mul_lo_u32 v0, v10, s0
	v_sub_u32_e32 v0, v1, v0
	v_mov_b32_e32 v1, s8
	v_cmp_gt_i32_e32 vcc, s8, v0
	v_cndmask_b32_e64 v1, v1, 0, vcc
	s_add_i32 s0, s0, s10
	s_load_dwordx2 s[2:3], s[4:5], 0x0
	v_sub_u32_e32 v0, v0, v1
	v_mul_lo_u32 v2, v10, s0
	v_add3_u32 v0, v2, v1, v0
	v_lshlrev_b32_e32 v1, 3, v14
	v_lshl_or_b32 v0, v0, 8, v1
	v_ashrrev_i32_e32 v1, 31, v0
	v_lshlrev_b64 v[0:1], 1, v[0:1]
	s_waitcnt lgkmcnt(0)
	v_mov_b32_e32 v2, s3
	v_add_co_u32_e64 v8, s[0:1], s2, v0
	v_addc_co_u32_e64 v9, s[0:1], v2, v1, s[0:1]
	global_load_dwordx4 v[0:3], v[8:9], off
	s_load_dwordx8 s[0:7], s[4:5], 0x18
	v_lshlrev_b32_e32 v15, 4, v14
	v_mbcnt_lo_u32_b32 v11, -1, 0
	v_mbcnt_hi_u32_b32 v16, -1, v11
	v_and_b32_e32 v11, 0x60, v16
	s_waitcnt lgkmcnt(0)
	v_mov_b32_e32 v4, s3
	v_mov_b32_e32 v5, s1
	;; [unrolled: 1-line block ×4, first 2 shown]
	v_cndmask_b32_e32 v5, v4, v5, vcc
	v_cndmask_b32_e32 v4, v6, v7, vcc
	v_add_co_u32_e32 v4, vcc, v4, v15
	v_addc_co_u32_e32 v5, vcc, 0, v5, vcc
	global_load_dwordx4 v[4:7], v[4:5], off
	v_xor_b32_e32 v12, 16, v16
	v_add_u32_e32 v11, 32, v11
	v_cmp_lt_i32_e32 vcc, v12, v11
	v_cndmask_b32_e32 v12, v16, v12, vcc
	v_lshlrev_b32_e32 v27, 2, v12
	v_xor_b32_e32 v24, 8, v16
	v_cmp_lt_i32_e32 vcc, v24, v11
	v_xor_b32_e32 v25, 4, v16
	v_xor_b32_e32 v26, 2, v16
	v_mov_b32_e32 v17, s11
	s_mov_b32 s0, 0x800000
	s_ashr_i32 s2, s13, 31
	s_lshr_b32 s1, s2, 29
	s_add_i32 s1, s13, s1
	s_ashr_i32 s1, s1, 3
	s_waitcnt vmcnt(1)
	v_and_b32_e32 v29, 0xffff0000, v0
	v_lshlrev_b32_e32 v28, 16, v0
	v_and_b32_e32 v13, 0xffff0000, v1
	v_lshlrev_b32_e32 v12, 16, v1
	v_mul_f32_e32 v30, v29, v29
	v_pk_mul_f32 v[0:1], v[12:13], v[12:13]
	v_fmac_f32_e32 v30, v28, v28
	v_and_b32_e32 v19, 0xffff0000, v2
	v_lshlrev_b32_e32 v18, 16, v2
	v_add_f32_e32 v0, v30, v0
	v_and_b32_e32 v21, 0xffff0000, v3
	v_lshlrev_b32_e32 v20, 16, v3
	v_pk_mul_f32 v[2:3], v[18:19], v[18:19]
	v_add_f32_e32 v0, v0, v1
	v_add_f32_e32 v0, v0, v2
	v_pk_mul_f32 v[22:23], v[20:21], v[20:21]
	v_add_f32_e32 v0, v0, v3
	v_add_f32_e32 v0, v0, v22
	v_add_f32_e32 v0, v0, v23
	ds_bpermute_b32 v1, v27, v0
	v_cndmask_b32_e32 v3, v16, v24, vcc
	v_lshlrev_b32_e32 v3, 2, v3
	v_cmp_lt_i32_e32 vcc, v25, v11
	v_xor_b32_e32 v2, 1, v16
	s_waitcnt lgkmcnt(0)
	v_add_f32_e32 v0, v0, v1
	ds_bpermute_b32 v1, v3, v0
	v_cndmask_b32_e32 v3, v16, v25, vcc
	v_lshlrev_b32_e32 v3, 2, v3
	v_cmp_lt_i32_e32 vcc, v26, v11
	s_waitcnt lgkmcnt(0)
	v_add_f32_e32 v0, v0, v1
	ds_bpermute_b32 v1, v3, v0
	v_cndmask_b32_e32 v3, v16, v26, vcc
	v_lshlrev_b32_e32 v3, 2, v3
	v_cmp_lt_i32_e32 vcc, v2, v11
	v_cndmask_b32_e32 v2, v16, v2, vcc
	s_waitcnt lgkmcnt(0)
	v_add_f32_e32 v0, v0, v1
	ds_bpermute_b32 v1, v3, v0
	v_lshlrev_b32_e32 v2, 2, v2
	s_waitcnt vmcnt(0)
	v_lshlrev_b32_e32 v3, 16, v4
	v_lshlrev_b32_e32 v11, 16, v6
	s_waitcnt lgkmcnt(0)
	v_add_f32_e32 v0, v0, v1
	ds_bpermute_b32 v1, v2, v0
	v_and_b32_e32 v2, 0xffff0000, v4
	v_lshlrev_b32_e32 v4, 16, v5
	v_and_b32_e32 v5, 0xffff0000, v5
	s_waitcnt lgkmcnt(0)
	v_add_f32_e32 v0, v0, v1
	v_fmac_f32_e32 v17, 0x3b800000, v0
	v_mul_f32_e32 v0, 0x4b800000, v17
	v_cmp_gt_f32_e32 vcc, s0, v17
	v_cndmask_b32_e32 v0, v17, v0, vcc
	v_rsq_f32_e32 v0, v0
	v_and_b32_e32 v1, 0xffff0000, v6
	v_lshlrev_b32_e32 v6, 16, v7
	v_and_b32_e32 v7, 0xffff0000, v7
	v_mul_f32_e32 v17, 0x45800000, v0
	v_cndmask_b32_e32 v0, v0, v17, vcc
	v_mul_f32_e32 v3, v0, v3
	v_mul_f32_e32 v2, v0, v2
	;; [unrolled: 1-line block ×16, first 2 shown]
	v_cmp_gt_i32_e32 vcc, s1, v14
	s_and_saveexec_b64 s[0:1], vcc
	s_cbranch_execz .LBB77_3
; %bb.2:
	v_ashrrev_i32_e32 v11, 31, v10
	v_lshlrev_b64 v[10:11], 3, v[10:11]
	v_mov_b32_e32 v12, s7
	v_add_co_u32_e32 v10, vcc, s6, v10
	v_addc_co_u32_e32 v11, vcc, v12, v11, vcc
	global_load_dwordx2 v[12:13], v[10:11], off
	s_abs_i32 s3, s13
	v_cvt_f32_u32_e32 v18, s3
	s_sub_i32 s8, 0, s3
	v_or_b32_e32 v10, 2, v15
	v_or_b32_e32 v19, 4, v15
	v_rcp_iflag_f32_e32 v18, v18
	v_mov_b32_e32 v11, 0
	v_mov_b32_e32 v17, s5
	s_lshr_b32 s5, s13, 31
	v_mul_f32_e32 v18, 0x4f7ffffe, v18
	v_cvt_u32_f32_e32 v18, v18
	s_add_i32 s5, s13, s5
	s_ashr_i32 s6, s5, 1
	s_ashr_i32 s7, s6, 31
	v_mul_lo_u32 v20, s8, v18
	v_mul_hi_u32 v20, v18, v20
	v_add_u32_e32 v32, v18, v20
	v_mul_hi_u32 v18, v15, v32
	v_mul_hi_u32 v20, v10, v32
	v_mul_lo_u32 v18, v18, s3
	v_mul_hi_u32 v21, v19, v32
	v_mul_lo_u32 v20, v20, s3
	v_sub_u32_e32 v18, v15, v18
	v_mul_lo_u32 v21, v21, s3
	v_sub_u32_e32 v10, v10, v20
	v_subrev_u32_e32 v20, s3, v18
	v_cmp_le_u32_e32 vcc, s3, v18
	v_sub_u32_e32 v19, v19, v21
	v_subrev_u32_e32 v21, s3, v10
	v_cndmask_b32_e32 v18, v18, v20, vcc
	v_cmp_le_u32_e32 vcc, s3, v10
	v_subrev_u32_e32 v23, s3, v19
	v_cndmask_b32_e32 v10, v10, v21, vcc
	v_cmp_le_u32_e32 vcc, s3, v19
	v_cndmask_b32_e32 v24, v19, v23, vcc
	v_subrev_u32_e32 v19, s3, v18
	v_cmp_le_u32_e32 vcc, s3, v18
	v_subrev_u32_e32 v20, s3, v10
	v_cndmask_b32_e32 v18, v18, v19, vcc
	v_cmp_le_u32_e32 vcc, s3, v10
	v_cndmask_b32_e32 v20, v10, v20, vcc
	v_lshrrev_b32_e32 v10, 1, v18
	v_lshlrev_b64 v[18:19], 2, v[10:11]
	v_lshrrev_b32_e32 v10, 1, v20
	v_lshlrev_b64 v[20:21], 2, v[10:11]
	s_lshl_b64 s[6:7], s[6:7], 2
	v_mov_b32_e32 v22, s7
	v_subrev_u32_e32 v25, s3, v24
	; wave barrier
	s_waitcnt vmcnt(0)
	v_mul_lo_u32 v10, v13, s13
	v_mul_lo_u32 v23, v12, s2
	v_mad_u64_u32 v[12:13], s[8:9], v12, s13, 0
	v_add3_u32 v13, v13, v23, v10
	v_lshlrev_b64 v[12:13], 2, v[12:13]
	v_add_co_u32_e32 v33, vcc, s4, v12
	v_addc_co_u32_e32 v17, vcc, v17, v13, vcc
	v_add_co_u32_e32 v34, vcc, s6, v33
	v_addc_co_u32_e32 v35, vcc, v17, v22, vcc
	;; [unrolled: 2-line block ×6, first 2 shown]
	v_cmp_le_u32_e32 vcc, s3, v24
	v_cndmask_b32_e32 v10, v24, v25, vcc
	v_lshrrev_b32_e32 v10, 1, v10
	v_lshlrev_b64 v[24:25], 2, v[10:11]
	v_add_co_u32_e32 v26, vcc, v33, v24
	v_or_b32_e32 v10, 6, v15
	v_addc_co_u32_e32 v27, vcc, v17, v25, vcc
	v_mul_hi_u32 v28, v10, v32
	v_add_co_u32_e32 v24, vcc, v34, v24
	v_mul_lo_u32 v28, v28, s3
	v_addc_co_u32_e32 v25, vcc, v35, v25, vcc
	v_sub_u32_e32 v10, v10, v28
	v_subrev_u32_e32 v28, s3, v10
	v_cmp_le_u32_e32 vcc, s3, v10
	v_cndmask_b32_e32 v10, v10, v28, vcc
	v_subrev_u32_e32 v28, s3, v10
	v_cmp_le_u32_e32 vcc, s3, v10
	v_cndmask_b32_e32 v10, v10, v28, vcc
	v_lshrrev_b32_e32 v10, 1, v10
	v_lshlrev_b64 v[28:29], 2, v[10:11]
	v_add_co_u32_e32 v30, vcc, v33, v28
	v_addc_co_u32_e32 v31, vcc, v17, v29, vcc
	v_add_co_u32_e32 v28, vcc, v34, v28
	v_or_b32_e32 v10, 8, v15
	v_addc_co_u32_e32 v29, vcc, v35, v29, vcc
	global_load_dword v36, v[12:13], off
	global_load_dword v37, v[18:19], off
	;; [unrolled: 1-line block ×8, first 2 shown]
	v_mul_hi_u32 v12, v10, v32
	v_mul_lo_u32 v12, v12, s3
	v_sub_u32_e32 v10, v10, v12
	v_subrev_u32_e32 v12, s3, v10
	v_cmp_le_u32_e32 vcc, s3, v10
	v_cndmask_b32_e32 v10, v10, v12, vcc
	v_subrev_u32_e32 v12, s3, v10
	v_cmp_le_u32_e32 vcc, s3, v10
	v_cndmask_b32_e32 v10, v10, v12, vcc
	v_lshrrev_b32_e32 v10, 1, v10
	v_lshlrev_b64 v[12:13], 2, v[10:11]
	v_add_co_u32_e32 v18, vcc, v33, v12
	v_or_b32_e32 v10, 10, v15
	v_addc_co_u32_e32 v19, vcc, v17, v13, vcc
	v_mul_hi_u32 v20, v10, v32
	v_add_co_u32_e32 v12, vcc, v34, v12
	v_mul_lo_u32 v20, v20, s3
	v_addc_co_u32_e32 v13, vcc, v35, v13, vcc
	v_sub_u32_e32 v10, v10, v20
	v_subrev_u32_e32 v20, s3, v10
	v_cmp_le_u32_e32 vcc, s3, v10
	v_cndmask_b32_e32 v10, v10, v20, vcc
	v_subrev_u32_e32 v20, s3, v10
	v_cmp_le_u32_e32 vcc, s3, v10
	v_cndmask_b32_e32 v10, v10, v20, vcc
	v_lshrrev_b32_e32 v10, 1, v10
	v_lshlrev_b64 v[20:21], 2, v[10:11]
	v_add_co_u32_e32 v22, vcc, v33, v20
	v_or_b32_e32 v10, 12, v15
	v_addc_co_u32_e32 v23, vcc, v17, v21, vcc
	v_mul_hi_u32 v24, v10, v32
	v_add_co_u32_e32 v20, vcc, v34, v20
	v_mul_lo_u32 v24, v24, s3
	v_addc_co_u32_e32 v21, vcc, v35, v21, vcc
	v_sub_u32_e32 v10, v10, v24
	v_subrev_u32_e32 v24, s3, v10
	v_cmp_le_u32_e32 vcc, s3, v10
	v_cndmask_b32_e32 v10, v10, v24, vcc
	v_subrev_u32_e32 v24, s3, v10
	v_cmp_le_u32_e32 vcc, s3, v10
	v_cndmask_b32_e32 v10, v10, v24, vcc
	v_lshrrev_b32_e32 v10, 1, v10
	v_lshlrev_b64 v[24:25], 2, v[10:11]
	v_add_co_u32_e32 v26, vcc, v33, v24
	v_addc_co_u32_e32 v27, vcc, v17, v25, vcc
	v_add_co_u32_e32 v24, vcc, v34, v24
	v_or_b32_e32 v10, 14, v15
	v_addc_co_u32_e32 v25, vcc, v35, v25, vcc
	global_load_dword v28, v[18:19], off
	global_load_dword v29, v[12:13], off
	global_load_dword v30, v[22:23], off
	global_load_dword v31, v[20:21], off
	global_load_dword v44, v[26:27], off
	global_load_dword v45, v[24:25], off
	v_mul_hi_u32 v12, v10, v32
	v_mul_lo_u32 v12, v12, s3
	v_sub_u32_e32 v10, v10, v12
	v_subrev_u32_e32 v12, s3, v10
	v_cmp_le_u32_e32 vcc, s3, v10
	v_cndmask_b32_e32 v10, v10, v12, vcc
	v_subrev_u32_e32 v12, s3, v10
	v_cmp_le_u32_e32 vcc, s3, v10
	v_cndmask_b32_e32 v10, v10, v12, vcc
	v_lshrrev_b32_e32 v10, 1, v10
	v_lshlrev_b64 v[10:11], 2, v[10:11]
	v_add_co_u32_e32 v12, vcc, v33, v10
	v_addc_co_u32_e32 v13, vcc, v17, v11, vcc
	v_add_co_u32_e32 v10, vcc, v34, v10
	v_addc_co_u32_e32 v11, vcc, v35, v11, vcc
	global_load_dword v17, v[10:11], off
	global_load_dword v18, v[12:13], off
	s_lshr_b32 s2, s2, 28
	s_add_i32 s2, s13, s2
	s_ashr_i32 s2, s2, 4
	v_and_b32_e32 v11, 64, v16
	v_xor_b32_e32 v10, s2, v16
	v_add_u32_e32 v11, 64, v11
	v_cmp_lt_i32_e32 vcc, v10, v11
	v_cndmask_b32_e32 v10, v16, v10, vcc
	v_lshlrev_b32_e32 v16, 2, v10
	ds_bpermute_b32 v10, v16, v0
	ds_bpermute_b32 v11, v16, v1
	v_cmp_gt_i32_e32 vcc, s2, v14
	; wave barrier
	s_waitcnt lgkmcnt(1)
	v_cndmask_b32_e64 v10, v10, -v10, vcc
	s_waitcnt vmcnt(14)
	v_mul_f32_e32 v10, v10, v37
	s_waitcnt lgkmcnt(0)
	v_cndmask_b32_e64 v11, v11, -v11, vcc
	v_fmac_f32_e32 v10, v0, v36
	ds_bpermute_b32 v0, v16, v2
	s_waitcnt vmcnt(12)
	v_mul_f32_e32 v11, v11, v39
	v_fmac_f32_e32 v11, v1, v38
	ds_bpermute_b32 v1, v16, v3
	s_waitcnt lgkmcnt(1)
	v_cndmask_b32_e64 v0, v0, -v0, vcc
	s_waitcnt vmcnt(10)
	v_mul_f32_e32 v12, v0, v41
	ds_bpermute_b32 v0, v16, v4
	s_waitcnt lgkmcnt(1)
	v_cndmask_b32_e64 v1, v1, -v1, vcc
	s_waitcnt vmcnt(8)
	v_mul_f32_e32 v13, v1, v43
	ds_bpermute_b32 v1, v16, v5
	v_fmac_f32_e32 v12, v2, v40
	s_waitcnt lgkmcnt(1)
	v_cndmask_b32_e64 v0, v0, -v0, vcc
	v_fmac_f32_e32 v13, v3, v42
	s_waitcnt lgkmcnt(0)
	v_cndmask_b32_e64 v1, v1, -v1, vcc
	s_waitcnt vmcnt(6)
	v_mul_f32_e32 v14, v0, v29
	ds_bpermute_b32 v0, v16, v6
	s_waitcnt vmcnt(4)
	v_mul_f32_e32 v15, v1, v31
	ds_bpermute_b32 v1, v16, v7
	v_fmac_f32_e32 v14, v4, v28
	v_fmac_f32_e32 v15, v5, v30
	s_waitcnt lgkmcnt(1)
	v_cndmask_b32_e64 v0, v0, -v0, vcc
	s_waitcnt vmcnt(2)
	v_mul_f32_e32 v16, v0, v45
	s_waitcnt lgkmcnt(0)
	v_cndmask_b32_e64 v0, v1, -v1, vcc
	v_fmac_f32_e32 v16, v6, v44
	s_waitcnt vmcnt(1)
	v_mul_f32_e32 v17, v0, v17
	s_waitcnt vmcnt(0)
	v_fmac_f32_e32 v17, v7, v18
	v_pk_mov_b32 v[0:1], v[10:11], v[10:11] op_sel:[0,1]
	v_pk_mov_b32 v[2:3], v[12:13], v[12:13] op_sel:[0,1]
	;; [unrolled: 1-line block ×4, first 2 shown]
.LBB77_3:
	s_or_b64 exec, exec, s[0:1]
	s_mov_b32 s0, 0x7f800000
	v_and_b32_e32 v10, 0x7f800000, v0
	v_cmp_ne_u32_e32 vcc, s0, v10
                                        ; implicit-def: $vgpr10
	s_and_saveexec_b64 s[0:1], vcc
	s_xor_b64 s[0:1], exec, s[0:1]
; %bb.4:
	v_bfe_u32 v10, v0, 16, 1
	s_movk_i32 s2, 0x7fff
	v_add3_u32 v10, v0, v10, s2
; %bb.5:
	s_andn2_saveexec_b64 s[0:1], s[0:1]
; %bb.6:
	v_mov_b32_e32 v10, 0
	v_or_b32_e32 v11, 0x10000, v0
	v_cmp_eq_u32_sdwa vcc, v0, v10 src0_sel:WORD_0 src1_sel:DWORD
	v_cndmask_b32_e32 v10, v11, v0, vcc
; %bb.7:
	s_or_b64 exec, exec, s[0:1]
	s_mov_b32 s0, 0x7f800000
	v_and_b32_e32 v0, 0x7f800000, v1
	v_cmp_ne_u32_e32 vcc, s0, v0
                                        ; implicit-def: $vgpr11
	s_and_saveexec_b64 s[0:1], vcc
	s_xor_b64 s[0:1], exec, s[0:1]
; %bb.8:
	v_bfe_u32 v0, v1, 16, 1
	s_movk_i32 s2, 0x7fff
	v_add3_u32 v11, v1, v0, s2
; %bb.9:
	s_andn2_saveexec_b64 s[0:1], s[0:1]
; %bb.10:
	v_mov_b32_e32 v0, 0
	v_or_b32_e32 v11, 0x10000, v1
	v_cmp_eq_u32_sdwa vcc, v1, v0 src0_sel:WORD_0 src1_sel:DWORD
	v_cndmask_b32_e32 v11, v11, v1, vcc
; %bb.11:
	s_or_b64 exec, exec, s[0:1]
	s_mov_b32 s0, 0x7f800000
	v_and_b32_e32 v0, 0x7f800000, v2
	v_cmp_ne_u32_e32 vcc, s0, v0
                                        ; implicit-def: $vgpr12
	s_and_saveexec_b64 s[0:1], vcc
	s_xor_b64 s[0:1], exec, s[0:1]
; %bb.12:
	v_bfe_u32 v0, v2, 16, 1
	s_movk_i32 s2, 0x7fff
	v_add3_u32 v12, v2, v0, s2
; %bb.13:
	s_andn2_saveexec_b64 s[0:1], s[0:1]
; %bb.14:
	v_mov_b32_e32 v0, 0
	v_or_b32_e32 v1, 0x10000, v2
	v_cmp_eq_u32_sdwa vcc, v2, v0 src0_sel:WORD_0 src1_sel:DWORD
	v_cndmask_b32_e32 v12, v1, v2, vcc
; %bb.15:
	s_or_b64 exec, exec, s[0:1]
	s_mov_b32 s0, 0x7f800000
	v_and_b32_e32 v0, 0x7f800000, v3
	v_cmp_ne_u32_e32 vcc, s0, v0
                                        ; implicit-def: $vgpr13
	s_and_saveexec_b64 s[0:1], vcc
	s_xor_b64 s[0:1], exec, s[0:1]
; %bb.16:
	v_bfe_u32 v0, v3, 16, 1
	s_movk_i32 s2, 0x7fff
	v_add3_u32 v13, v3, v0, s2
; %bb.17:
	s_andn2_saveexec_b64 s[0:1], s[0:1]
; %bb.18:
	v_mov_b32_e32 v0, 0
	v_or_b32_e32 v1, 0x10000, v3
	v_cmp_eq_u32_sdwa vcc, v3, v0 src0_sel:WORD_0 src1_sel:DWORD
	v_cndmask_b32_e32 v13, v1, v3, vcc
; %bb.19:
	s_or_b64 exec, exec, s[0:1]
	s_mov_b32 s0, 0x7f800000
	v_and_b32_e32 v0, 0x7f800000, v4
	v_cmp_ne_u32_e32 vcc, s0, v0
                                        ; implicit-def: $vgpr14
	s_and_saveexec_b64 s[0:1], vcc
	s_xor_b64 s[0:1], exec, s[0:1]
; %bb.20:
	v_bfe_u32 v0, v4, 16, 1
	s_movk_i32 s2, 0x7fff
	v_add3_u32 v14, v4, v0, s2
; %bb.21:
	s_andn2_saveexec_b64 s[0:1], s[0:1]
; %bb.22:
	v_mov_b32_e32 v0, 0
	v_or_b32_e32 v1, 0x10000, v4
	v_cmp_eq_u32_sdwa vcc, v4, v0 src0_sel:WORD_0 src1_sel:DWORD
	v_cndmask_b32_e32 v14, v1, v4, vcc
; %bb.23:
	s_or_b64 exec, exec, s[0:1]
	s_mov_b32 s0, 0x7f800000
	v_and_b32_e32 v0, 0x7f800000, v5
	v_cmp_ne_u32_e32 vcc, s0, v0
                                        ; implicit-def: $vgpr15
	s_and_saveexec_b64 s[0:1], vcc
	s_xor_b64 s[0:1], exec, s[0:1]
; %bb.24:
	v_bfe_u32 v0, v5, 16, 1
	s_movk_i32 s2, 0x7fff
	v_add3_u32 v15, v5, v0, s2
; %bb.25:
	s_andn2_saveexec_b64 s[0:1], s[0:1]
; %bb.26:
	v_mov_b32_e32 v0, 0
	v_or_b32_e32 v1, 0x10000, v5
	v_cmp_eq_u32_sdwa vcc, v5, v0 src0_sel:WORD_0 src1_sel:DWORD
	v_cndmask_b32_e32 v15, v1, v5, vcc
; %bb.27:
	s_or_b64 exec, exec, s[0:1]
	s_mov_b32 s0, 0x7f800000
	v_and_b32_e32 v0, 0x7f800000, v6
	v_cmp_ne_u32_e32 vcc, s0, v0
                                        ; implicit-def: $vgpr16
	s_and_saveexec_b64 s[0:1], vcc
	s_xor_b64 s[0:1], exec, s[0:1]
; %bb.28:
	v_bfe_u32 v0, v6, 16, 1
	s_movk_i32 s2, 0x7fff
	v_add3_u32 v16, v6, v0, s2
; %bb.29:
	s_andn2_saveexec_b64 s[0:1], s[0:1]
; %bb.30:
	v_mov_b32_e32 v0, 0
	v_or_b32_e32 v1, 0x10000, v6
	v_cmp_eq_u32_sdwa vcc, v6, v0 src0_sel:WORD_0 src1_sel:DWORD
	v_cndmask_b32_e32 v16, v1, v6, vcc
; %bb.31:
	s_or_b64 exec, exec, s[0:1]
	s_mov_b32 s0, 0x7f800000
	v_and_b32_e32 v0, 0x7f800000, v7
	v_cmp_ne_u32_e32 vcc, s0, v0
                                        ; implicit-def: $vgpr17
	s_and_saveexec_b64 s[0:1], vcc
	s_xor_b64 s[0:1], exec, s[0:1]
; %bb.32:
	v_bfe_u32 v0, v7, 16, 1
	s_movk_i32 s2, 0x7fff
	v_add3_u32 v17, v7, v0, s2
                                        ; implicit-def: $vgpr0_vgpr1_vgpr2_vgpr3_vgpr4_vgpr5_vgpr6_vgpr7
; %bb.33:
	s_andn2_saveexec_b64 s[0:1], s[0:1]
; %bb.34:
	v_mov_b32_e32 v0, 0
	v_or_b32_e32 v1, 0x10000, v7
	v_cmp_eq_u32_sdwa vcc, v7, v0 src0_sel:WORD_0 src1_sel:DWORD
	v_cndmask_b32_e32 v17, v1, v7, vcc
; %bb.35:
	s_or_b64 exec, exec, s[0:1]
	s_mov_b32 s0, 0x7060302
	v_perm_b32 v3, v17, v16, s0
	v_perm_b32 v2, v15, v14, s0
	;; [unrolled: 1-line block ×4, first 2 shown]
	global_store_dwordx4 v[8:9], v[0:3], off
.LBB77_36:
	s_endpgm
	.section	.rodata,"a",@progbits
	.p2align	6, 0x0
	.amdhsa_kernel _ZN12tensorrt_llm7kernels21fusedQKNormRopeKernelIN3c108BFloat16EfLi256ELb0EEEvPviiifPKvS6_S6_PKlii
		.amdhsa_group_segment_fixed_size 0
		.amdhsa_private_segment_fixed_size 0
		.amdhsa_kernarg_size 320
		.amdhsa_user_sgpr_count 6
		.amdhsa_user_sgpr_private_segment_buffer 1
		.amdhsa_user_sgpr_dispatch_ptr 0
		.amdhsa_user_sgpr_queue_ptr 0
		.amdhsa_user_sgpr_kernarg_segment_ptr 1
		.amdhsa_user_sgpr_dispatch_id 0
		.amdhsa_user_sgpr_flat_scratch_init 0
		.amdhsa_user_sgpr_kernarg_preload_length 0
		.amdhsa_user_sgpr_kernarg_preload_offset 0
		.amdhsa_user_sgpr_private_segment_size 0
		.amdhsa_uses_dynamic_stack 0
		.amdhsa_system_sgpr_private_segment_wavefront_offset 0
		.amdhsa_system_sgpr_workgroup_id_x 1
		.amdhsa_system_sgpr_workgroup_id_y 0
		.amdhsa_system_sgpr_workgroup_id_z 0
		.amdhsa_system_sgpr_workgroup_info 0
		.amdhsa_system_vgpr_workitem_id 0
		.amdhsa_next_free_vgpr 46
		.amdhsa_next_free_sgpr 14
		.amdhsa_accum_offset 48
		.amdhsa_reserve_vcc 1
		.amdhsa_reserve_flat_scratch 0
		.amdhsa_float_round_mode_32 0
		.amdhsa_float_round_mode_16_64 0
		.amdhsa_float_denorm_mode_32 3
		.amdhsa_float_denorm_mode_16_64 3
		.amdhsa_dx10_clamp 1
		.amdhsa_ieee_mode 1
		.amdhsa_fp16_overflow 0
		.amdhsa_tg_split 0
		.amdhsa_exception_fp_ieee_invalid_op 0
		.amdhsa_exception_fp_denorm_src 0
		.amdhsa_exception_fp_ieee_div_zero 0
		.amdhsa_exception_fp_ieee_overflow 0
		.amdhsa_exception_fp_ieee_underflow 0
		.amdhsa_exception_fp_ieee_inexact 0
		.amdhsa_exception_int_div_zero 0
	.end_amdhsa_kernel
	.section	.text._ZN12tensorrt_llm7kernels21fusedQKNormRopeKernelIN3c108BFloat16EfLi256ELb0EEEvPviiifPKvS6_S6_PKlii,"axG",@progbits,_ZN12tensorrt_llm7kernels21fusedQKNormRopeKernelIN3c108BFloat16EfLi256ELb0EEEvPviiifPKvS6_S6_PKlii,comdat
.Lfunc_end77:
	.size	_ZN12tensorrt_llm7kernels21fusedQKNormRopeKernelIN3c108BFloat16EfLi256ELb0EEEvPviiifPKvS6_S6_PKlii, .Lfunc_end77-_ZN12tensorrt_llm7kernels21fusedQKNormRopeKernelIN3c108BFloat16EfLi256ELb0EEEvPviiifPKvS6_S6_PKlii
                                        ; -- End function
	.section	.AMDGPU.csdata,"",@progbits
; Kernel info:
; codeLenInByte = 2788
; NumSgprs: 18
; NumVgprs: 46
; NumAgprs: 0
; TotalNumVgprs: 46
; ScratchSize: 0
; MemoryBound: 0
; FloatMode: 240
; IeeeMode: 1
; LDSByteSize: 0 bytes/workgroup (compile time only)
; SGPRBlocks: 2
; VGPRBlocks: 5
; NumSGPRsForWavesPerEU: 18
; NumVGPRsForWavesPerEU: 46
; AccumOffset: 48
; Occupancy: 8
; WaveLimiterHint : 1
; COMPUTE_PGM_RSRC2:SCRATCH_EN: 0
; COMPUTE_PGM_RSRC2:USER_SGPR: 6
; COMPUTE_PGM_RSRC2:TRAP_HANDLER: 0
; COMPUTE_PGM_RSRC2:TGID_X_EN: 1
; COMPUTE_PGM_RSRC2:TGID_Y_EN: 0
; COMPUTE_PGM_RSRC2:TGID_Z_EN: 0
; COMPUTE_PGM_RSRC2:TIDIG_COMP_CNT: 0
; COMPUTE_PGM_RSRC3_GFX90A:ACCUM_OFFSET: 11
; COMPUTE_PGM_RSRC3_GFX90A:TG_SPLIT: 0
	.section	.text._ZN12tensorrt_llm7kernels32fusedQKNormRopeKernelNTokenHeadsIN3c108BFloat16EfLi64ELb1ELi2EEEvPviiifPKvS6_S6_PKlii,"axG",@progbits,_ZN12tensorrt_llm7kernels32fusedQKNormRopeKernelNTokenHeadsIN3c108BFloat16EfLi64ELb1ELi2EEEvPviiifPKvS6_S6_PKlii,comdat
	.protected	_ZN12tensorrt_llm7kernels32fusedQKNormRopeKernelNTokenHeadsIN3c108BFloat16EfLi64ELb1ELi2EEEvPviiifPKvS6_S6_PKlii ; -- Begin function _ZN12tensorrt_llm7kernels32fusedQKNormRopeKernelNTokenHeadsIN3c108BFloat16EfLi64ELb1ELi2EEEvPviiifPKvS6_S6_PKlii
	.globl	_ZN12tensorrt_llm7kernels32fusedQKNormRopeKernelNTokenHeadsIN3c108BFloat16EfLi64ELb1ELi2EEEvPviiifPKvS6_S6_PKlii
	.p2align	8
	.type	_ZN12tensorrt_llm7kernels32fusedQKNormRopeKernelNTokenHeadsIN3c108BFloat16EfLi64ELb1ELi2EEEvPviiifPKvS6_S6_PKlii,@function
_ZN12tensorrt_llm7kernels32fusedQKNormRopeKernelNTokenHeadsIN3c108BFloat16EfLi64ELb1ELi2EEEvPviiifPKvS6_S6_PKlii: ; @_ZN12tensorrt_llm7kernels32fusedQKNormRopeKernelNTokenHeadsIN3c108BFloat16EfLi64ELb1ELi2EEEvPviiifPKvS6_S6_PKlii
; %bb.0:
	s_load_dwordx4 s[12:15], s[4:5], 0x8
	s_load_dwordx2 s[2:3], s[4:5], 0x38
	s_load_dword s0, s[4:5], 0x4c
	v_lshrrev_b32_e32 v12, 5, v0
	s_waitcnt lgkmcnt(0)
	s_add_i32 s21, s13, s12
	s_add_i32 s1, s21, 1
	s_lshr_b32 s7, s1, 31
	s_add_i32 s1, s1, s7
	s_ashr_i32 s20, s1, 1
	s_abs_i32 s1, s20
	v_cvt_f32_u32_e32 v1, s1
	s_bfe_u32 s0, s0, 0xb0005
	s_mul_i32 s6, s6, s0
	v_add_u32_e32 v9, s6, v12
	v_rcp_iflag_f32_e32 v1, v1
	s_sub_i32 s6, 0, s1
	v_sub_u32_e32 v2, 0, v9
	v_max_i32_e32 v2, v9, v2
	v_mul_f32_e32 v1, 0x4f7ffffe, v1
	v_cvt_u32_f32_e32 v1, v1
	v_xor_b32_e32 v3, s20, v9
	v_ashrrev_i32_e32 v3, 31, v3
	v_mul_lo_u32 v4, s6, v1
	v_mul_hi_u32 v4, v1, v4
	v_add_u32_e32 v1, v1, v4
	v_mul_hi_u32 v1, v2, v1
	v_mul_lo_u32 v4, v1, s1
	v_sub_u32_e32 v2, v2, v4
	v_add_u32_e32 v4, 1, v1
	v_cmp_le_u32_e32 vcc, s1, v2
	v_cndmask_b32_e32 v1, v1, v4, vcc
	v_subrev_u32_e32 v4, s1, v2
	v_cndmask_b32_e32 v2, v2, v4, vcc
	v_add_u32_e32 v4, 1, v1
	v_cmp_le_u32_e32 vcc, s1, v2
	v_cndmask_b32_e32 v1, v1, v4, vcc
	v_xor_b32_e32 v1, v1, v3
	v_sub_u32_e32 v2, v1, v3
	v_cmp_gt_i32_e32 vcc, s2, v2
	s_and_saveexec_b64 s[6:7], vcc
	s_cbranch_execz .LBB78_25
; %bb.1:
	v_and_b32_e32 v8, 31, v0
	v_mul_lo_u32 v0, v2, s20
	v_sub_u32_e32 v0, v9, v0
	s_load_dwordx2 s[16:17], s[4:5], 0x0
	v_lshlrev_b32_e32 v0, 1, v0
	v_add_u32_e32 v1, 2, v0
	v_sub_u32_e32 v3, s21, v0
	v_cmp_lt_i32_e32 vcc, s21, v1
	v_cndmask_b32_e32 v7, 2, v3, vcc
	s_lshl_b32 s18, s3, 2
	s_mul_i32 s2, s18, s0
	v_lshlrev_b32_e32 v11, 8, v12
	v_cmp_lt_i32_e64 s[0:1], 0, v7
	v_lshlrev_b32_e32 v10, 2, v8
	s_and_saveexec_b64 s[6:7], s[0:1]
	s_cbranch_execz .LBB78_9
; %bb.2:
	s_mov_b32 s19, 1
	v_lshlrev_b32_e32 v4, 1, v8
	v_cmp_ne_u32_e32 vcc, 1, v7
	s_mov_b64 s[10:11], -1
	v_mov_b32_e32 v1, 0
	s_and_saveexec_b64 s[8:9], vcc
	s_cbranch_execz .LBB78_6
; %bb.3:
	s_add_i32 s21, s21, s14
	s_add_i32 s10, s2, 0
	v_mul_lo_u32 v6, v2, s21
	s_mov_b32 s22, 0
	v_add3_u32 v13, s10, v11, v10
	v_mov_b32_e32 v1, v0
	s_mov_b32 s21, s12
	s_mov_b32 s23, s12
	v_mov_b32_e32 v3, v6
	v_mov_b32_e32 v5, v4
	v_and_b32_e32 v14, 0x7ffffffe, v7
	s_mov_b64 s[10:11], 0
	v_mov_b32_e32 v15, s12
	v_mov_b32_e32 v16, s12
	s_waitcnt lgkmcnt(0)
	v_mov_b32_e32 v17, s17
.LBB78_4:                               ; =>This Inner Loop Header: Depth=1
	v_add_u32_e32 v19, s19, v1
	v_add_u32_e32 v18, s22, v0
	v_cmp_le_i32_e32 vcc, s23, v19
	v_cndmask_b32_e32 v20, 0, v15, vcc
	v_cmp_le_i32_e32 vcc, s21, v18
	v_cndmask_b32_e32 v21, 0, v16, vcc
	v_sub_u32_e32 v18, v18, v21
	v_sub_u32_e32 v19, v19, v20
	v_add3_u32 v18, v6, v21, v18
	v_add3_u32 v19, v3, v20, v19
	v_lshl_or_b32 v18, v18, 6, v4
	v_lshl_or_b32 v20, v19, 6, v5
	v_ashrrev_i32_e32 v19, 31, v18
	v_lshlrev_b64 v[18:19], 1, v[18:19]
	v_ashrrev_i32_e32 v21, 31, v20
	v_add_co_u32_e32 v18, vcc, s16, v18
	v_lshlrev_b64 v[20:21], 1, v[20:21]
	v_addc_co_u32_e32 v19, vcc, v17, v19, vcc
	v_add_co_u32_e32 v20, vcc, s16, v20
	v_addc_co_u32_e32 v21, vcc, v17, v21, vcc
	global_load_dword v22, v[18:19], off
	global_load_dword v23, v[20:21], off
	v_add_u32_e32 v14, -2, v14
	v_lshl_add_u32 v18, s22, 7, v13
	v_lshl_add_u32 v19, s19, 7, v13
	s_add_i32 s22, s22, 2
	s_add_i32 s19, s19, 2
	v_cmp_eq_u32_e32 vcc, 0, v14
	s_or_b64 s[10:11], vcc, s[10:11]
	s_waitcnt vmcnt(1)
	ds_write_b32 v18, v22
	s_waitcnt vmcnt(0)
	ds_write_b32 v19, v23
	s_andn2_b64 exec, exec, s[10:11]
	s_cbranch_execnz .LBB78_4
; %bb.5:
	s_or_b64 exec, exec, s[10:11]
	v_and_b32_e32 v1, 0x7ffffffe, v7
	v_cmp_ne_u32_e32 vcc, v7, v1
	s_orn2_b64 s[10:11], vcc, exec
.LBB78_6:
	s_or_b64 exec, exec, s[8:9]
	s_and_b64 exec, exec, s[10:11]
	s_cbranch_execz .LBB78_9
; %bb.7:
	s_add_i32 s8, s14, s13
	s_add_i32 s8, s8, s12
	s_lshl_b32 s9, s20, 1
	s_sub_i32 s8, s8, s9
	v_mul_lo_u32 v3, s8, v2
	v_lshlrev_b32_e32 v5, 1, v9
	v_add3_u32 v3, v1, v3, v5
	v_lshl_or_b32 v4, v3, 6, v4
	v_lshlrev_b32_e32 v3, 7, v1
	v_add3_u32 v3, s2, v11, v3
	v_add3_u32 v3, v3, v10, 0
	s_mov_b64 s[8:9], 0
	s_waitcnt lgkmcnt(0)
	v_mov_b32_e32 v6, s17
.LBB78_8:                               ; =>This Inner Loop Header: Depth=1
	v_ashrrev_i32_e32 v5, 31, v4
	v_lshlrev_b64 v[14:15], 1, v[4:5]
	v_add_co_u32_e32 v14, vcc, s16, v14
	v_addc_co_u32_e32 v15, vcc, v6, v15, vcc
	global_load_dword v5, v[14:15], off
	v_add_u32_e32 v1, 1, v1
	v_cmp_ge_i32_e32 vcc, v1, v7
	v_add_u32_e32 v4, 64, v4
	s_or_b64 s[8:9], vcc, s[8:9]
	s_waitcnt vmcnt(0)
	ds_write_b32 v3, v5
	v_add_u32_e32 v3, 0x80, v3
	s_andn2_b64 exec, exec, s[8:9]
	s_cbranch_execnz .LBB78_8
.LBB78_9:
	s_or_b64 exec, exec, s[6:7]
	s_add_i32 s18, s18, 15
	s_load_dwordx8 s[4:11], s[4:5], 0x18
	s_ashr_i32 s19, s18, 31
	s_lshr_b32 s19, s19, 28
	s_add_i32 s18, s18, s19
	s_ashr_i32 s21, s18, 4
	v_mul_lo_u32 v1, v12, s3
	v_cmp_gt_i32_e32 vcc, s21, v8
	v_lshlrev_b32_e32 v12, 2, v1
	s_and_saveexec_b64 s[18:19], vcc
	s_cbranch_execz .LBB78_12
; %bb.10:
	v_ashrrev_i32_e32 v3, 31, v2
	v_lshlrev_b64 v[4:5], 3, v[2:3]
	s_waitcnt lgkmcnt(0)
	v_mov_b32_e32 v1, s11
	v_add_co_u32_e32 v4, vcc, s10, v4
	v_addc_co_u32_e32 v5, vcc, v1, v5, vcc
	global_load_dwordx2 v[4:5], v[4:5], off
	s_ashr_i32 s22, s3, 31
	v_lshlrev_b32_e32 v3, 4, v8
	v_add3_u32 v1, v12, v3, 0
	v_mov_b32_e32 v6, s9
	s_mov_b64 s[10:11], 0
	s_waitcnt vmcnt(0)
	v_mul_lo_u32 v13, v5, s3
	v_mul_lo_u32 v14, v4, s22
	v_mad_u64_u32 v[4:5], s[22:23], v4, s3, 0
	v_add3_u32 v5, v5, v14, v13
	v_lshlrev_b64 v[4:5], 2, v[4:5]
	v_add_co_u32_e32 v3, vcc, v4, v3
	v_addc_co_u32_e32 v5, vcc, 0, v5, vcc
	v_add_co_u32_e32 v4, vcc, s8, v3
	v_addc_co_u32_e32 v5, vcc, v6, v5, vcc
	v_mov_b32_e32 v3, v8
.LBB78_11:                              ; =>This Inner Loop Header: Depth=1
	global_load_dwordx4 v[14:17], v[4:5], off
	v_add_co_u32_e32 v4, vcc, 0x200, v4
	v_add_u32_e32 v3, 32, v3
	v_addc_co_u32_e32 v5, vcc, 0, v5, vcc
	v_cmp_le_i32_e32 vcc, s21, v3
	s_or_b64 s[10:11], vcc, s[10:11]
	s_waitcnt vmcnt(0)
	ds_write_b128 v1, v[14:17]
	v_add_u32_e32 v1, 0x200, v1
	s_andn2_b64 exec, exec, s[10:11]
	s_cbranch_execnz .LBB78_11
.LBB78_12:
	s_or_b64 exec, exec, s[18:19]
	s_and_b64 exec, exec, s[0:1]
	s_cbranch_execz .LBB78_25
; %bb.13:
	s_waitcnt lgkmcnt(0)
	global_load_dword v1, v10, s[4:5]
	global_load_dword v6, v10, s[6:7]
	v_mbcnt_lo_u32_b32 v3, -1, 0
	s_lshr_b32 s0, s3, 31
	s_add_i32 s1, s14, s13
	v_add_u32_e32 v5, s2, v11
	v_mbcnt_hi_u32_b32 v3, -1, v3
	v_add3_u32 v12, 0, v12, v10
	s_lshl_b32 s11, s20, 1
	s_add_i32 s0, s3, s0
	s_add_i32 s1, s1, s12
	v_add3_u32 v10, v5, v10, 0
	v_and_b32_e32 v5, 0x60, v3
	s_ashr_i32 s0, s0, 1
	v_xor_b32_e32 v14, 16, v3
	s_sub_i32 s1, s1, s11
	v_add_u32_e32 v5, 32, v5
	v_xor_b32_e32 v15, 8, v3
	v_cmp_gt_i32_e32 vcc, s0, v8
	v_lshl_add_u32 v13, s0, 2, v12
	v_mul_lo_u32 v2, s1, v2
	v_cmp_lt_i32_e64 s[0:1], v14, v5
	v_xor_b32_e32 v16, 4, v3
	v_cndmask_b32_e64 v14, v3, v14, s[0:1]
	v_cmp_lt_i32_e64 s[0:1], v15, v5
	v_xor_b32_e32 v17, 2, v3
	v_cndmask_b32_e64 v15, v3, v15, s[0:1]
	;; [unrolled: 3-line block ×3, first 2 shown]
	v_cmp_lt_i32_e64 s[0:1], v17, v5
	v_lshlrev_b32_e32 v4, 7, v9
	v_cndmask_b32_e64 v17, v3, v17, s[0:1]
	v_cmp_lt_i32_e64 s[0:1], v18, v5
	v_cndmask_b32_e64 v3, v3, v18, s[0:1]
	v_lshl_add_u32 v2, v2, 6, v4
	s_mov_b32 s6, 0
	s_mov_b64 s[4:5], 0
	s_mov_b32 s7, 0xffff0000
	v_mov_b32_e32 v9, s15
	s_mov_b32 s8, 0x800000
	s_mov_b32 s9, 0x7f800000
	s_movk_i32 s10, 0x7fff
	v_mov_b32_e32 v11, s17
	v_lshlrev_b32_e32 v14, 2, v14
	v_lshlrev_b32_e32 v15, 2, v15
	;; [unrolled: 1-line block ×5, first 2 shown]
	v_lshl_or_b32 v2, v8, 1, v2
	v_mov_b32_e32 v20, 0
	s_waitcnt vmcnt(1)
	v_lshrrev_b32_e32 v8, 16, v1
	s_waitcnt vmcnt(0)
	v_lshrrev_b32_e32 v19, 16, v6
	s_branch .LBB78_15
.LBB78_14:                              ;   in Loop: Header=BB78_15 Depth=1
	s_or_b64 exec, exec, s[2:3]
	v_lshrrev_b32_e32 v3, 16, v3
	v_and_or_b32 v21, v21, s7, v3
	v_ashrrev_i32_e32 v3, 31, v2
	v_lshlrev_b64 v[4:5], 1, v[2:3]
	v_add_co_u32_e64 v4, s[0:1], s16, v4
	v_addc_co_u32_e64 v5, s[0:1], v11, v5, s[0:1]
	s_add_i32 s6, s6, 1
	v_cmp_ge_i32_e64 s[0:1], s6, v7
	v_add_u32_e32 v2, 64, v2
	s_or_b64 s[4:5], s[0:1], s[4:5]
	v_add_u32_e32 v10, 0x80, v10
	global_store_dword v[4:5], v21, off
	s_andn2_b64 exec, exec, s[4:5]
	s_cbranch_execz .LBB78_25
.LBB78_15:                              ; =>This Inner Loop Header: Depth=1
	ds_read_b32 v3, v10
	s_waitcnt lgkmcnt(0)
	v_and_b32_e32 v5, 0xffff0000, v3
	v_lshlrev_b32_e32 v4, 16, v3
	v_pk_mul_f32 v[22:23], v[4:5], v[4:5]
	v_add_f32_e32 v3, v23, v22
	ds_bpermute_b32 v21, v14, v3
	v_mov_b32_e32 v23, v9
	v_add_u32_e32 v22, s6, v0
	v_cmp_gt_i32_e64 s[2:3], s12, v22
	v_cndmask_b32_e64 v22, v6, v1, s[2:3]
	s_waitcnt lgkmcnt(0)
	v_add_f32_e32 v3, v3, v21
	ds_bpermute_b32 v21, v15, v3
	v_lshlrev_b32_e32 v22, 16, v22
	s_waitcnt lgkmcnt(0)
	v_add_f32_e32 v3, v3, v21
	ds_bpermute_b32 v21, v16, v3
	s_waitcnt lgkmcnt(0)
	v_add_f32_e32 v3, v3, v21
	ds_bpermute_b32 v21, v17, v3
	;; [unrolled: 3-line block ×3, first 2 shown]
	s_waitcnt lgkmcnt(0)
	v_add_f32_e32 v3, v3, v21
	v_fmac_f32_e32 v23, 0x3c800000, v3
	v_mul_f32_e32 v3, 0x4b800000, v23
	v_cmp_gt_f32_e64 s[0:1], s8, v23
	v_cndmask_b32_e64 v3, v23, v3, s[0:1]
	v_rsq_f32_e32 v3, v3
	v_cndmask_b32_e64 v21, v19, v8, s[2:3]
	v_lshlrev_b32_e32 v23, 16, v21
	v_mul_f32_e32 v21, 0x45800000, v3
	v_cndmask_b32_e64 v24, v3, v21, s[0:1]
	v_pk_mul_f32 v[22:23], v[24:25], v[22:23] op_sel_hi:[0,1]
	v_pk_mul_f32 v[4:5], v[22:23], v[4:5]
	s_and_saveexec_b64 s[0:1], vcc
	s_cbranch_execz .LBB78_17
; %bb.16:                               ;   in Loop: Header=BB78_15 Depth=1
	ds_read_b32 v22, v13
	ds_read_b32 v23, v12
	s_waitcnt lgkmcnt(1)
	v_mul_f32_e32 v3, v5, v22
	s_waitcnt lgkmcnt(0)
	v_pk_mul_f32 v[24:25], v[4:5], v[22:23]
	v_fma_f32 v26, v4, v23, -v3
	v_mov_b32_e32 v3, v24
	v_pk_fma_f32 v[4:5], v[4:5], v[22:23], v[2:3]
	v_mov_b32_e32 v27, v5
	v_pk_mov_b32 v[4:5], v[26:27], v[26:27] op_sel:[0,1]
.LBB78_17:                              ;   in Loop: Header=BB78_15 Depth=1
	s_or_b64 exec, exec, s[0:1]
	v_and_b32_e32 v3, 0x7f800000, v4
	v_cmp_ne_u32_e64 s[0:1], s9, v3
                                        ; implicit-def: $vgpr3
	s_and_saveexec_b64 s[2:3], s[0:1]
	s_xor_b64 s[0:1], exec, s[2:3]
; %bb.18:                               ;   in Loop: Header=BB78_15 Depth=1
	v_bfe_u32 v3, v4, 16, 1
	v_add3_u32 v3, v4, v3, s10
; %bb.19:                               ;   in Loop: Header=BB78_15 Depth=1
	s_andn2_saveexec_b64 s[2:3], s[0:1]
; %bb.20:                               ;   in Loop: Header=BB78_15 Depth=1
	v_or_b32_e32 v3, 0x10000, v4
	v_cmp_eq_u32_sdwa s[0:1], v4, v20 src0_sel:WORD_0 src1_sel:DWORD
	v_cndmask_b32_e64 v3, v3, v4, s[0:1]
; %bb.21:                               ;   in Loop: Header=BB78_15 Depth=1
	s_or_b64 exec, exec, s[2:3]
	v_and_b32_e32 v4, 0x7f800000, v5
	v_cmp_ne_u32_e64 s[0:1], s9, v4
                                        ; implicit-def: $vgpr21
	s_and_saveexec_b64 s[2:3], s[0:1]
	s_xor_b64 s[0:1], exec, s[2:3]
; %bb.22:                               ;   in Loop: Header=BB78_15 Depth=1
	v_bfe_u32 v4, v5, 16, 1
	v_add3_u32 v21, v5, v4, s10
                                        ; implicit-def: $vgpr4_vgpr5
; %bb.23:                               ;   in Loop: Header=BB78_15 Depth=1
	s_andn2_saveexec_b64 s[2:3], s[0:1]
	s_cbranch_execz .LBB78_14
; %bb.24:                               ;   in Loop: Header=BB78_15 Depth=1
	v_or_b32_e32 v4, 0x10000, v5
	v_cmp_eq_u32_sdwa s[0:1], v5, v20 src0_sel:WORD_0 src1_sel:DWORD
	v_cndmask_b32_e64 v21, v4, v5, s[0:1]
	s_branch .LBB78_14
.LBB78_25:
	s_endpgm
	.section	.rodata,"a",@progbits
	.p2align	6, 0x0
	.amdhsa_kernel _ZN12tensorrt_llm7kernels32fusedQKNormRopeKernelNTokenHeadsIN3c108BFloat16EfLi64ELb1ELi2EEEvPviiifPKvS6_S6_PKlii
		.amdhsa_group_segment_fixed_size 0
		.amdhsa_private_segment_fixed_size 0
		.amdhsa_kernarg_size 320
		.amdhsa_user_sgpr_count 6
		.amdhsa_user_sgpr_private_segment_buffer 1
		.amdhsa_user_sgpr_dispatch_ptr 0
		.amdhsa_user_sgpr_queue_ptr 0
		.amdhsa_user_sgpr_kernarg_segment_ptr 1
		.amdhsa_user_sgpr_dispatch_id 0
		.amdhsa_user_sgpr_flat_scratch_init 0
		.amdhsa_user_sgpr_kernarg_preload_length 0
		.amdhsa_user_sgpr_kernarg_preload_offset 0
		.amdhsa_user_sgpr_private_segment_size 0
		.amdhsa_uses_dynamic_stack 0
		.amdhsa_system_sgpr_private_segment_wavefront_offset 0
		.amdhsa_system_sgpr_workgroup_id_x 1
		.amdhsa_system_sgpr_workgroup_id_y 0
		.amdhsa_system_sgpr_workgroup_id_z 0
		.amdhsa_system_sgpr_workgroup_info 0
		.amdhsa_system_vgpr_workitem_id 0
		.amdhsa_next_free_vgpr 28
		.amdhsa_next_free_sgpr 24
		.amdhsa_accum_offset 28
		.amdhsa_reserve_vcc 1
		.amdhsa_reserve_flat_scratch 0
		.amdhsa_float_round_mode_32 0
		.amdhsa_float_round_mode_16_64 0
		.amdhsa_float_denorm_mode_32 3
		.amdhsa_float_denorm_mode_16_64 3
		.amdhsa_dx10_clamp 1
		.amdhsa_ieee_mode 1
		.amdhsa_fp16_overflow 0
		.amdhsa_tg_split 0
		.amdhsa_exception_fp_ieee_invalid_op 0
		.amdhsa_exception_fp_denorm_src 0
		.amdhsa_exception_fp_ieee_div_zero 0
		.amdhsa_exception_fp_ieee_overflow 0
		.amdhsa_exception_fp_ieee_underflow 0
		.amdhsa_exception_fp_ieee_inexact 0
		.amdhsa_exception_int_div_zero 0
	.end_amdhsa_kernel
	.section	.text._ZN12tensorrt_llm7kernels32fusedQKNormRopeKernelNTokenHeadsIN3c108BFloat16EfLi64ELb1ELi2EEEvPviiifPKvS6_S6_PKlii,"axG",@progbits,_ZN12tensorrt_llm7kernels32fusedQKNormRopeKernelNTokenHeadsIN3c108BFloat16EfLi64ELb1ELi2EEEvPviiifPKvS6_S6_PKlii,comdat
.Lfunc_end78:
	.size	_ZN12tensorrt_llm7kernels32fusedQKNormRopeKernelNTokenHeadsIN3c108BFloat16EfLi64ELb1ELi2EEEvPviiifPKvS6_S6_PKlii, .Lfunc_end78-_ZN12tensorrt_llm7kernels32fusedQKNormRopeKernelNTokenHeadsIN3c108BFloat16EfLi64ELb1ELi2EEEvPviiifPKvS6_S6_PKlii
                                        ; -- End function
	.section	.AMDGPU.csdata,"",@progbits
; Kernel info:
; codeLenInByte = 1872
; NumSgprs: 28
; NumVgprs: 28
; NumAgprs: 0
; TotalNumVgprs: 28
; ScratchSize: 0
; MemoryBound: 0
; FloatMode: 240
; IeeeMode: 1
; LDSByteSize: 0 bytes/workgroup (compile time only)
; SGPRBlocks: 3
; VGPRBlocks: 3
; NumSGPRsForWavesPerEU: 28
; NumVGPRsForWavesPerEU: 28
; AccumOffset: 28
; Occupancy: 8
; WaveLimiterHint : 0
; COMPUTE_PGM_RSRC2:SCRATCH_EN: 0
; COMPUTE_PGM_RSRC2:USER_SGPR: 6
; COMPUTE_PGM_RSRC2:TRAP_HANDLER: 0
; COMPUTE_PGM_RSRC2:TGID_X_EN: 1
; COMPUTE_PGM_RSRC2:TGID_Y_EN: 0
; COMPUTE_PGM_RSRC2:TGID_Z_EN: 0
; COMPUTE_PGM_RSRC2:TIDIG_COMP_CNT: 0
; COMPUTE_PGM_RSRC3_GFX90A:ACCUM_OFFSET: 6
; COMPUTE_PGM_RSRC3_GFX90A:TG_SPLIT: 0
	.section	.text._ZN12tensorrt_llm7kernels32fusedQKNormRopeKernelNTokenHeadsIN3c108BFloat16EfLi64ELb0ELi2EEEvPviiifPKvS6_S6_PKlii,"axG",@progbits,_ZN12tensorrt_llm7kernels32fusedQKNormRopeKernelNTokenHeadsIN3c108BFloat16EfLi64ELb0ELi2EEEvPviiifPKvS6_S6_PKlii,comdat
	.protected	_ZN12tensorrt_llm7kernels32fusedQKNormRopeKernelNTokenHeadsIN3c108BFloat16EfLi64ELb0ELi2EEEvPviiifPKvS6_S6_PKlii ; -- Begin function _ZN12tensorrt_llm7kernels32fusedQKNormRopeKernelNTokenHeadsIN3c108BFloat16EfLi64ELb0ELi2EEEvPviiifPKvS6_S6_PKlii
	.globl	_ZN12tensorrt_llm7kernels32fusedQKNormRopeKernelNTokenHeadsIN3c108BFloat16EfLi64ELb0ELi2EEEvPviiifPKvS6_S6_PKlii
	.p2align	8
	.type	_ZN12tensorrt_llm7kernels32fusedQKNormRopeKernelNTokenHeadsIN3c108BFloat16EfLi64ELb0ELi2EEEvPviiifPKvS6_S6_PKlii,@function
_ZN12tensorrt_llm7kernels32fusedQKNormRopeKernelNTokenHeadsIN3c108BFloat16EfLi64ELb0ELi2EEEvPviiifPKvS6_S6_PKlii: ; @_ZN12tensorrt_llm7kernels32fusedQKNormRopeKernelNTokenHeadsIN3c108BFloat16EfLi64ELb0ELi2EEEvPviiifPKvS6_S6_PKlii
; %bb.0:
	s_load_dwordx4 s[12:15], s[4:5], 0x8
	s_load_dwordx2 s[2:3], s[4:5], 0x38
	s_load_dword s0, s[4:5], 0x4c
	v_lshrrev_b32_e32 v12, 5, v0
	s_waitcnt lgkmcnt(0)
	s_add_i32 s19, s13, s12
	s_add_i32 s1, s19, 1
	s_lshr_b32 s7, s1, 31
	s_add_i32 s1, s1, s7
	s_ashr_i32 s20, s1, 1
	s_abs_i32 s1, s20
	v_cvt_f32_u32_e32 v1, s1
	s_bfe_u32 s0, s0, 0xb0005
	s_mul_i32 s6, s6, s0
	v_add_u32_e32 v8, s6, v12
	v_rcp_iflag_f32_e32 v1, v1
	s_sub_i32 s6, 0, s1
	v_sub_u32_e32 v2, 0, v8
	v_max_i32_e32 v2, v8, v2
	v_mul_f32_e32 v1, 0x4f7ffffe, v1
	v_cvt_u32_f32_e32 v1, v1
	v_xor_b32_e32 v3, s20, v8
	v_ashrrev_i32_e32 v3, 31, v3
	v_mul_lo_u32 v4, s6, v1
	v_mul_hi_u32 v4, v1, v4
	v_add_u32_e32 v1, v1, v4
	v_mul_hi_u32 v1, v2, v1
	v_mul_lo_u32 v4, v1, s1
	v_sub_u32_e32 v2, v2, v4
	v_add_u32_e32 v4, 1, v1
	v_cmp_le_u32_e32 vcc, s1, v2
	v_cndmask_b32_e32 v1, v1, v4, vcc
	v_subrev_u32_e32 v4, s1, v2
	v_cndmask_b32_e32 v2, v2, v4, vcc
	v_add_u32_e32 v4, 1, v1
	v_cmp_le_u32_e32 vcc, s1, v2
	v_cndmask_b32_e32 v1, v1, v4, vcc
	v_xor_b32_e32 v1, v1, v3
	v_sub_u32_e32 v2, v1, v3
	v_cmp_gt_i32_e32 vcc, s2, v2
	s_and_saveexec_b64 s[6:7], vcc
	s_cbranch_execz .LBB79_25
; %bb.1:
	v_and_b32_e32 v9, 31, v0
	v_mul_lo_u32 v0, v2, s20
	v_sub_u32_e32 v0, v8, v0
	s_load_dwordx2 s[16:17], s[4:5], 0x0
	v_lshlrev_b32_e32 v0, 1, v0
	v_add_u32_e32 v1, 2, v0
	v_sub_u32_e32 v3, s19, v0
	v_cmp_lt_i32_e32 vcc, s19, v1
	v_cndmask_b32_e32 v7, 2, v3, vcc
	s_lshl_b32 s2, s3, 2
	s_mul_i32 s21, s2, s0
	v_lshlrev_b32_e32 v10, 8, v12
	v_cmp_lt_i32_e64 s[0:1], 0, v7
	v_lshlrev_b32_e32 v11, 2, v9
	s_and_saveexec_b64 s[6:7], s[0:1]
	s_cbranch_execz .LBB79_9
; %bb.2:
	s_mov_b32 s18, 1
	v_lshlrev_b32_e32 v4, 1, v9
	v_cmp_ne_u32_e32 vcc, 1, v7
	s_mov_b64 s[10:11], -1
	v_mov_b32_e32 v1, 0
	s_and_saveexec_b64 s[8:9], vcc
	s_cbranch_execz .LBB79_6
; %bb.3:
	s_add_i32 s19, s19, s14
	s_add_i32 s10, s21, 0
	v_mul_lo_u32 v6, v2, s19
	s_mov_b32 s22, 0
	v_add3_u32 v13, s10, v10, v11
	v_mov_b32_e32 v1, v0
	s_mov_b32 s19, s12
	s_mov_b32 s23, s12
	v_mov_b32_e32 v3, v6
	v_mov_b32_e32 v5, v4
	v_and_b32_e32 v14, 0x7ffffffe, v7
	s_mov_b64 s[10:11], 0
	v_mov_b32_e32 v15, s12
	v_mov_b32_e32 v16, s12
	s_waitcnt lgkmcnt(0)
	v_mov_b32_e32 v17, s17
.LBB79_4:                               ; =>This Inner Loop Header: Depth=1
	v_add_u32_e32 v19, s18, v1
	v_add_u32_e32 v18, s22, v0
	v_cmp_le_i32_e32 vcc, s23, v19
	v_cndmask_b32_e32 v20, 0, v15, vcc
	v_cmp_le_i32_e32 vcc, s19, v18
	v_cndmask_b32_e32 v21, 0, v16, vcc
	v_sub_u32_e32 v18, v18, v21
	v_sub_u32_e32 v19, v19, v20
	v_add3_u32 v18, v6, v21, v18
	v_add3_u32 v19, v3, v20, v19
	v_lshl_or_b32 v18, v18, 6, v4
	v_lshl_or_b32 v20, v19, 6, v5
	v_ashrrev_i32_e32 v19, 31, v18
	v_lshlrev_b64 v[18:19], 1, v[18:19]
	v_ashrrev_i32_e32 v21, 31, v20
	v_add_co_u32_e32 v18, vcc, s16, v18
	v_lshlrev_b64 v[20:21], 1, v[20:21]
	v_addc_co_u32_e32 v19, vcc, v17, v19, vcc
	v_add_co_u32_e32 v20, vcc, s16, v20
	v_addc_co_u32_e32 v21, vcc, v17, v21, vcc
	global_load_dword v22, v[18:19], off
	global_load_dword v23, v[20:21], off
	v_add_u32_e32 v14, -2, v14
	v_lshl_add_u32 v18, s22, 7, v13
	v_lshl_add_u32 v19, s18, 7, v13
	s_add_i32 s22, s22, 2
	s_add_i32 s18, s18, 2
	v_cmp_eq_u32_e32 vcc, 0, v14
	s_or_b64 s[10:11], vcc, s[10:11]
	s_waitcnt vmcnt(1)
	ds_write_b32 v18, v22
	s_waitcnt vmcnt(0)
	ds_write_b32 v19, v23
	s_andn2_b64 exec, exec, s[10:11]
	s_cbranch_execnz .LBB79_4
; %bb.5:
	s_or_b64 exec, exec, s[10:11]
	v_and_b32_e32 v1, 0x7ffffffe, v7
	v_cmp_ne_u32_e32 vcc, v7, v1
	s_orn2_b64 s[10:11], vcc, exec
.LBB79_6:
	s_or_b64 exec, exec, s[8:9]
	s_and_b64 exec, exec, s[10:11]
	s_cbranch_execz .LBB79_9
; %bb.7:
	s_add_i32 s8, s14, s13
	s_add_i32 s8, s8, s12
	s_lshl_b32 s9, s20, 1
	s_sub_i32 s8, s8, s9
	v_mul_lo_u32 v3, s8, v2
	v_lshlrev_b32_e32 v5, 1, v8
	v_add3_u32 v3, v1, v3, v5
	v_lshl_or_b32 v4, v3, 6, v4
	v_lshlrev_b32_e32 v3, 7, v1
	v_add3_u32 v3, s21, v10, v3
	v_add3_u32 v3, v3, v11, 0
	s_mov_b64 s[8:9], 0
	s_waitcnt lgkmcnt(0)
	v_mov_b32_e32 v6, s17
.LBB79_8:                               ; =>This Inner Loop Header: Depth=1
	v_ashrrev_i32_e32 v5, 31, v4
	v_lshlrev_b64 v[14:15], 1, v[4:5]
	v_add_co_u32_e32 v14, vcc, s16, v14
	v_addc_co_u32_e32 v15, vcc, v6, v15, vcc
	global_load_dword v5, v[14:15], off
	v_add_u32_e32 v1, 1, v1
	v_cmp_ge_i32_e32 vcc, v1, v7
	v_add_u32_e32 v4, 64, v4
	s_or_b64 s[8:9], vcc, s[8:9]
	s_waitcnt vmcnt(0)
	ds_write_b32 v3, v5
	v_add_u32_e32 v3, 0x80, v3
	s_andn2_b64 exec, exec, s[8:9]
	s_cbranch_execnz .LBB79_8
.LBB79_9:
	s_or_b64 exec, exec, s[6:7]
	s_add_i32 s2, s2, 15
	s_load_dwordx8 s[4:11], s[4:5], 0x18
	s_ashr_i32 s18, s2, 31
	s_lshr_b32 s18, s18, 28
	s_add_i32 s2, s2, s18
	s_ashr_i32 s2, s2, 4
	v_cmp_gt_i32_e32 vcc, s2, v9
	v_mul_lo_u32 v12, v12, s3
	s_and_saveexec_b64 s[18:19], vcc
	s_cbranch_execz .LBB79_12
; %bb.10:
	v_ashrrev_i32_e32 v3, 31, v2
	v_lshlrev_b64 v[4:5], 3, v[2:3]
	s_waitcnt lgkmcnt(0)
	v_mov_b32_e32 v1, s11
	v_add_co_u32_e32 v4, vcc, s10, v4
	v_addc_co_u32_e32 v5, vcc, v1, v5, vcc
	global_load_dwordx2 v[4:5], v[4:5], off
	s_ashr_i32 s22, s3, 31
	v_lshlrev_b32_e32 v1, 2, v12
	v_lshlrev_b32_e32 v3, 4, v9
	v_add3_u32 v1, v1, v3, 0
	v_mov_b32_e32 v6, s9
	s_mov_b64 s[10:11], 0
	s_waitcnt vmcnt(0)
	v_mul_lo_u32 v13, v5, s3
	v_mul_lo_u32 v14, v4, s22
	v_mad_u64_u32 v[4:5], s[22:23], v4, s3, 0
	v_add3_u32 v5, v5, v14, v13
	v_lshlrev_b64 v[4:5], 2, v[4:5]
	v_add_co_u32_e32 v3, vcc, v4, v3
	v_addc_co_u32_e32 v5, vcc, 0, v5, vcc
	v_add_co_u32_e32 v4, vcc, s8, v3
	v_addc_co_u32_e32 v5, vcc, v6, v5, vcc
	v_mov_b32_e32 v3, v9
.LBB79_11:                              ; =>This Inner Loop Header: Depth=1
	global_load_dwordx4 v[14:17], v[4:5], off
	v_add_co_u32_e32 v4, vcc, 0x200, v4
	v_add_u32_e32 v3, 32, v3
	v_addc_co_u32_e32 v5, vcc, 0, v5, vcc
	v_cmp_le_i32_e32 vcc, s2, v3
	s_or_b64 s[10:11], vcc, s[10:11]
	s_waitcnt vmcnt(0)
	ds_write_b128 v1, v[14:17]
	v_add_u32_e32 v1, 0x200, v1
	s_andn2_b64 exec, exec, s[10:11]
	s_cbranch_execnz .LBB79_11
.LBB79_12:
	s_or_b64 exec, exec, s[18:19]
	s_and_b64 exec, exec, s[0:1]
	s_cbranch_execz .LBB79_25
; %bb.13:
	s_waitcnt lgkmcnt(0)
	global_load_dword v1, v11, s[4:5]
	global_load_dword v6, v11, s[6:7]
	v_mbcnt_lo_u32_b32 v4, -1, 0
	s_abs_i32 s4, s3
	s_lshr_b32 s0, s3, 31
	v_mbcnt_hi_u32_b32 v4, -1, v4
	v_cvt_f32_u32_e32 v14, s4
	v_lshl_add_u32 v3, v12, 2, 0
	s_add_i32 s0, s3, s0
	v_and_b32_e32 v12, 0x60, v4
	s_add_i32 s1, s14, s13
	s_ashr_i32 s0, s0, 1
	v_xor_b32_e32 v13, 16, v4
	v_add_u32_e32 v12, 32, v12
	s_add_i32 s6, s1, s12
	v_xor_b32_e32 v15, 8, v4
	v_lshl_add_u32 v21, s0, 2, v3
	v_cmp_gt_i32_e32 vcc, s0, v9
	s_lshr_b32 s2, s0, 1
	v_cmp_lt_i32_e64 s[0:1], v13, v12
	v_xor_b32_e32 v16, 4, v4
	v_cndmask_b32_e64 v13, v4, v13, s[0:1]
	v_cmp_lt_i32_e64 s[0:1], v15, v12
	v_rcp_iflag_f32_e32 v22, v14
	v_xor_b32_e32 v17, 2, v4
	v_cndmask_b32_e64 v15, v4, v15, s[0:1]
	v_cmp_lt_i32_e64 s[0:1], v16, v12
	v_xor_b32_e32 v18, 1, v4
	v_cndmask_b32_e64 v16, v4, v16, s[0:1]
	v_cmp_lt_i32_e64 s[0:1], v17, v12
	v_cndmask_b32_e64 v17, v4, v17, s[0:1]
	v_cmp_lt_i32_e64 s[0:1], v18, v12
	v_cndmask_b32_e64 v18, v4, v18, s[0:1]
	v_lshlrev_b32_e32 v12, 2, v13
	v_lshlrev_b32_e32 v13, 2, v15
	;; [unrolled: 1-line block ×3, first 2 shown]
	v_mul_f32_e32 v17, 0x4f7ffffe, v22
	v_and_b32_e32 v19, 64, v4
	v_lshlrev_b32_e32 v14, 2, v16
	v_lshlrev_b32_e32 v16, 2, v18
	v_cvt_u32_f32_e32 v18, v17
	v_add_u32_e32 v19, 64, v19
	v_xor_b32_e32 v20, s2, v4
	v_cmp_gt_u32_e64 s[0:1], s2, v9
	v_cmp_lt_i32_e64 s[2:3], v20, v19
	s_sub_i32 s5, 0, s4
	v_cndmask_b32_e64 v4, v4, v20, s[2:3]
	v_lshlrev_b32_e32 v17, 2, v4
	v_mul_lo_u32 v4, s5, v18
	v_mul_hi_u32 v4, v18, v4
	v_add_u32_e32 v4, v18, v4
	v_or_b32_e32 v5, 2, v11
	v_mul_hi_u32 v18, v11, v4
	v_mul_hi_u32 v4, v5, v4
	v_mul_lo_u32 v18, v18, s4
	v_mul_lo_u32 v4, v4, s4
	v_sub_u32_e32 v18, v11, v18
	v_sub_u32_e32 v4, v5, v4
	v_subrev_u32_e32 v5, s4, v18
	v_cmp_le_u32_e64 s[2:3], s4, v18
	v_subrev_u32_e32 v19, s4, v4
	v_cndmask_b32_e64 v5, v18, v5, s[2:3]
	v_cmp_le_u32_e64 s[2:3], s4, v4
	v_cndmask_b32_e64 v4, v4, v19, s[2:3]
	v_subrev_u32_e32 v18, s4, v5
	v_cmp_le_u32_e64 s[2:3], s4, v5
	v_subrev_u32_e32 v19, s4, v4
	v_cndmask_b32_e64 v5, v5, v18, s[2:3]
	v_cmp_le_u32_e64 s[2:3], s4, v4
	v_cndmask_b32_e64 v4, v4, v19, s[2:3]
	v_lshlrev_b32_e32 v5, 1, v5
	v_lshlrev_b32_e32 v4, 1, v4
	s_lshl_b32 s2, s20, 1
	v_and_b32_e32 v5, -4, v5
	v_and_b32_e32 v4, -4, v4
	s_sub_i32 s2, s6, s2
	v_add_u32_e32 v18, v3, v5
	v_add_u32_e32 v20, v3, v4
	v_mul_lo_u32 v2, s2, v2
	v_lshlrev_b32_e32 v3, 7, v8
	v_lshl_add_u32 v2, v2, 6, v3
	v_add_u32_e32 v3, s21, v10
	s_mov_b32 s8, 0
	v_add_u32_e32 v19, v21, v5
	v_add_u32_e32 v21, v21, v4
	s_waitcnt vmcnt(1)
	v_lshrrev_b32_e32 v22, 16, v1
	s_waitcnt vmcnt(0)
	v_lshrrev_b32_e32 v23, 16, v6
	v_lshl_or_b32 v2, v9, 1, v2
	v_add3_u32 v8, v3, v11, 0
	s_mov_b64 s[6:7], 0
	s_mov_b32 s9, 0xffff0000
	v_mov_b32_e32 v9, s15
	s_mov_b32 s10, 0x800000
	s_mov_b32 s11, 0x7f800000
	s_movk_i32 s13, 0x7fff
	v_mov_b32_e32 v10, 0
	s_branch .LBB79_15
.LBB79_14:                              ;   in Loop: Header=BB79_15 Depth=1
	s_or_b64 exec, exec, s[4:5]
	v_lshrrev_b32_e32 v3, 16, v3
	v_and_or_b32 v11, v11, s9, v3
	v_ashrrev_i32_e32 v3, 31, v2
	v_lshlrev_b64 v[4:5], 1, v[2:3]
	v_mov_b32_e32 v3, s17
	v_add_co_u32_e64 v4, s[2:3], s16, v4
	v_addc_co_u32_e64 v5, s[2:3], v3, v5, s[2:3]
	s_add_i32 s8, s8, 1
	v_cmp_ge_i32_e64 s[2:3], s8, v7
	v_add_u32_e32 v2, 64, v2
	s_or_b64 s[6:7], s[2:3], s[6:7]
	v_add_u32_e32 v8, 0x80, v8
	global_store_dword v[4:5], v11, off
	s_andn2_b64 exec, exec, s[6:7]
	s_cbranch_execz .LBB79_25
.LBB79_15:                              ; =>This Inner Loop Header: Depth=1
	ds_read_b32 v3, v8
	v_mov_b32_e32 v11, v9
	s_waitcnt lgkmcnt(0)
	v_and_b32_e32 v24, 0xffff0000, v3
	v_lshlrev_b32_e32 v25, 16, v3
	v_pk_mul_f32 v[4:5], v[24:25], v[24:25]
	v_add_f32_e32 v3, v4, v5
	ds_bpermute_b32 v4, v12, v3
	v_add_u32_e32 v5, s8, v0
	v_cmp_gt_i32_e64 s[2:3], s12, v5
	v_cndmask_b32_e64 v5, v6, v1, s[2:3]
	s_waitcnt lgkmcnt(0)
	v_add_f32_e32 v3, v3, v4
	ds_bpermute_b32 v4, v13, v3
	s_waitcnt lgkmcnt(0)
	v_add_f32_e32 v3, v3, v4
	ds_bpermute_b32 v4, v14, v3
	;; [unrolled: 3-line block ×4, first 2 shown]
	s_waitcnt lgkmcnt(0)
	v_add_f32_e32 v3, v3, v4
	v_fmac_f32_e32 v11, 0x3c800000, v3
	v_mul_f32_e32 v3, 0x4b800000, v11
	v_cmp_gt_f32_e64 s[4:5], s10, v11
	v_cndmask_b32_e64 v3, v11, v3, s[4:5]
	v_rsq_f32_e32 v3, v3
	v_lshlrev_b32_e32 v4, 16, v5
	v_cndmask_b32_e64 v5, v23, v22, s[2:3]
	v_lshlrev_b32_e32 v5, 16, v5
	v_mul_f32_e32 v11, 0x45800000, v3
	v_cndmask_b32_e64 v3, v3, v11, s[4:5]
	v_mul_f32_e32 v4, v3, v4
	v_mul_f32_e32 v3, v3, v5
	;; [unrolled: 1-line block ×4, first 2 shown]
	s_and_saveexec_b64 s[2:3], vcc
	s_cbranch_execz .LBB79_17
; %bb.16:                               ;   in Loop: Header=BB79_15 Depth=1
	ds_bpermute_b32 v3, v17, v4
	; wave barrier
	ds_read_b32 v11, v18
	ds_read_b32 v24, v19
	ds_bpermute_b32 v25, v17, v5
	ds_read_b32 v26, v20
	ds_read_b32 v27, v21
	s_waitcnt lgkmcnt(5)
	v_cndmask_b32_e64 v3, v3, -v3, s[0:1]
	s_waitcnt lgkmcnt(3)
	v_mul_f32_e32 v24, v3, v24
	s_waitcnt lgkmcnt(2)
	v_cndmask_b32_e64 v3, v25, -v25, s[0:1]
	s_waitcnt lgkmcnt(0)
	v_mul_f32_e32 v25, v3, v27
	v_fmac_f32_e32 v24, v4, v11
	v_fmac_f32_e32 v25, v5, v26
	v_pk_mov_b32 v[4:5], v[24:25], v[24:25] op_sel:[0,1]
	; wave barrier
.LBB79_17:                              ;   in Loop: Header=BB79_15 Depth=1
	s_or_b64 exec, exec, s[2:3]
	v_and_b32_e32 v3, 0x7f800000, v4
	v_cmp_ne_u32_e64 s[2:3], s11, v3
                                        ; implicit-def: $vgpr3
	s_and_saveexec_b64 s[4:5], s[2:3]
	s_xor_b64 s[2:3], exec, s[4:5]
; %bb.18:                               ;   in Loop: Header=BB79_15 Depth=1
	v_bfe_u32 v3, v4, 16, 1
	v_add3_u32 v3, v4, v3, s13
; %bb.19:                               ;   in Loop: Header=BB79_15 Depth=1
	s_andn2_saveexec_b64 s[4:5], s[2:3]
; %bb.20:                               ;   in Loop: Header=BB79_15 Depth=1
	v_or_b32_e32 v3, 0x10000, v4
	v_cmp_eq_u32_sdwa s[2:3], v4, v10 src0_sel:WORD_0 src1_sel:DWORD
	v_cndmask_b32_e64 v3, v3, v4, s[2:3]
; %bb.21:                               ;   in Loop: Header=BB79_15 Depth=1
	s_or_b64 exec, exec, s[4:5]
	v_and_b32_e32 v4, 0x7f800000, v5
	v_cmp_ne_u32_e64 s[2:3], s11, v4
                                        ; implicit-def: $vgpr11
	s_and_saveexec_b64 s[4:5], s[2:3]
	s_xor_b64 s[2:3], exec, s[4:5]
; %bb.22:                               ;   in Loop: Header=BB79_15 Depth=1
	v_bfe_u32 v4, v5, 16, 1
	v_add3_u32 v11, v5, v4, s13
                                        ; implicit-def: $vgpr4_vgpr5
; %bb.23:                               ;   in Loop: Header=BB79_15 Depth=1
	s_andn2_saveexec_b64 s[4:5], s[2:3]
	s_cbranch_execz .LBB79_14
; %bb.24:                               ;   in Loop: Header=BB79_15 Depth=1
	v_or_b32_e32 v4, 0x10000, v5
	v_cmp_eq_u32_sdwa s[2:3], v5, v10 src0_sel:WORD_0 src1_sel:DWORD
	v_cndmask_b32_e64 v11, v4, v5, s[2:3]
	s_branch .LBB79_14
.LBB79_25:
	s_endpgm
	.section	.rodata,"a",@progbits
	.p2align	6, 0x0
	.amdhsa_kernel _ZN12tensorrt_llm7kernels32fusedQKNormRopeKernelNTokenHeadsIN3c108BFloat16EfLi64ELb0ELi2EEEvPviiifPKvS6_S6_PKlii
		.amdhsa_group_segment_fixed_size 0
		.amdhsa_private_segment_fixed_size 0
		.amdhsa_kernarg_size 320
		.amdhsa_user_sgpr_count 6
		.amdhsa_user_sgpr_private_segment_buffer 1
		.amdhsa_user_sgpr_dispatch_ptr 0
		.amdhsa_user_sgpr_queue_ptr 0
		.amdhsa_user_sgpr_kernarg_segment_ptr 1
		.amdhsa_user_sgpr_dispatch_id 0
		.amdhsa_user_sgpr_flat_scratch_init 0
		.amdhsa_user_sgpr_kernarg_preload_length 0
		.amdhsa_user_sgpr_kernarg_preload_offset 0
		.amdhsa_user_sgpr_private_segment_size 0
		.amdhsa_uses_dynamic_stack 0
		.amdhsa_system_sgpr_private_segment_wavefront_offset 0
		.amdhsa_system_sgpr_workgroup_id_x 1
		.amdhsa_system_sgpr_workgroup_id_y 0
		.amdhsa_system_sgpr_workgroup_id_z 0
		.amdhsa_system_sgpr_workgroup_info 0
		.amdhsa_system_vgpr_workitem_id 0
		.amdhsa_next_free_vgpr 28
		.amdhsa_next_free_sgpr 24
		.amdhsa_accum_offset 28
		.amdhsa_reserve_vcc 1
		.amdhsa_reserve_flat_scratch 0
		.amdhsa_float_round_mode_32 0
		.amdhsa_float_round_mode_16_64 0
		.amdhsa_float_denorm_mode_32 3
		.amdhsa_float_denorm_mode_16_64 3
		.amdhsa_dx10_clamp 1
		.amdhsa_ieee_mode 1
		.amdhsa_fp16_overflow 0
		.amdhsa_tg_split 0
		.amdhsa_exception_fp_ieee_invalid_op 0
		.amdhsa_exception_fp_denorm_src 0
		.amdhsa_exception_fp_ieee_div_zero 0
		.amdhsa_exception_fp_ieee_overflow 0
		.amdhsa_exception_fp_ieee_underflow 0
		.amdhsa_exception_fp_ieee_inexact 0
		.amdhsa_exception_int_div_zero 0
	.end_amdhsa_kernel
	.section	.text._ZN12tensorrt_llm7kernels32fusedQKNormRopeKernelNTokenHeadsIN3c108BFloat16EfLi64ELb0ELi2EEEvPviiifPKvS6_S6_PKlii,"axG",@progbits,_ZN12tensorrt_llm7kernels32fusedQKNormRopeKernelNTokenHeadsIN3c108BFloat16EfLi64ELb0ELi2EEEvPviiifPKvS6_S6_PKlii,comdat
.Lfunc_end79:
	.size	_ZN12tensorrt_llm7kernels32fusedQKNormRopeKernelNTokenHeadsIN3c108BFloat16EfLi64ELb0ELi2EEEvPviiifPKvS6_S6_PKlii, .Lfunc_end79-_ZN12tensorrt_llm7kernels32fusedQKNormRopeKernelNTokenHeadsIN3c108BFloat16EfLi64ELb0ELi2EEEvPviiifPKvS6_S6_PKlii
                                        ; -- End function
	.section	.AMDGPU.csdata,"",@progbits
; Kernel info:
; codeLenInByte = 2156
; NumSgprs: 28
; NumVgprs: 28
; NumAgprs: 0
; TotalNumVgprs: 28
; ScratchSize: 0
; MemoryBound: 0
; FloatMode: 240
; IeeeMode: 1
; LDSByteSize: 0 bytes/workgroup (compile time only)
; SGPRBlocks: 3
; VGPRBlocks: 3
; NumSGPRsForWavesPerEU: 28
; NumVGPRsForWavesPerEU: 28
; AccumOffset: 28
; Occupancy: 8
; WaveLimiterHint : 0
; COMPUTE_PGM_RSRC2:SCRATCH_EN: 0
; COMPUTE_PGM_RSRC2:USER_SGPR: 6
; COMPUTE_PGM_RSRC2:TRAP_HANDLER: 0
; COMPUTE_PGM_RSRC2:TGID_X_EN: 1
; COMPUTE_PGM_RSRC2:TGID_Y_EN: 0
; COMPUTE_PGM_RSRC2:TGID_Z_EN: 0
; COMPUTE_PGM_RSRC2:TIDIG_COMP_CNT: 0
; COMPUTE_PGM_RSRC3_GFX90A:ACCUM_OFFSET: 6
; COMPUTE_PGM_RSRC3_GFX90A:TG_SPLIT: 0
	.section	.text._ZN12tensorrt_llm7kernels32fusedQKNormRopeKernelNTokenHeadsIN3c108BFloat16EfLi128ELb1ELi2EEEvPviiifPKvS6_S6_PKlii,"axG",@progbits,_ZN12tensorrt_llm7kernels32fusedQKNormRopeKernelNTokenHeadsIN3c108BFloat16EfLi128ELb1ELi2EEEvPviiifPKvS6_S6_PKlii,comdat
	.protected	_ZN12tensorrt_llm7kernels32fusedQKNormRopeKernelNTokenHeadsIN3c108BFloat16EfLi128ELb1ELi2EEEvPviiifPKvS6_S6_PKlii ; -- Begin function _ZN12tensorrt_llm7kernels32fusedQKNormRopeKernelNTokenHeadsIN3c108BFloat16EfLi128ELb1ELi2EEEvPviiifPKvS6_S6_PKlii
	.globl	_ZN12tensorrt_llm7kernels32fusedQKNormRopeKernelNTokenHeadsIN3c108BFloat16EfLi128ELb1ELi2EEEvPviiifPKvS6_S6_PKlii
	.p2align	8
	.type	_ZN12tensorrt_llm7kernels32fusedQKNormRopeKernelNTokenHeadsIN3c108BFloat16EfLi128ELb1ELi2EEEvPviiifPKvS6_S6_PKlii,@function
_ZN12tensorrt_llm7kernels32fusedQKNormRopeKernelNTokenHeadsIN3c108BFloat16EfLi128ELb1ELi2EEEvPviiifPKvS6_S6_PKlii: ; @_ZN12tensorrt_llm7kernels32fusedQKNormRopeKernelNTokenHeadsIN3c108BFloat16EfLi128ELb1ELi2EEEvPviiifPKvS6_S6_PKlii
; %bb.0:
	s_load_dwordx4 s[12:15], s[4:5], 0x8
	s_load_dwordx2 s[16:17], s[4:5], 0x38
	s_load_dword s1, s[4:5], 0x4c
	v_lshrrev_b32_e32 v2, 5, v0
	s_waitcnt lgkmcnt(0)
	s_add_i32 s0, s13, s12
	s_add_i32 s2, s0, 1
	s_lshr_b32 s3, s2, 31
	s_add_i32 s2, s2, s3
	s_ashr_i32 s20, s2, 1
	s_abs_i32 s2, s20
	v_cvt_f32_u32_e32 v1, s2
	s_bfe_u32 s1, s1, 0xb0005
	s_mul_i32 s6, s6, s1
	s_sub_i32 s3, 0, s2
	v_rcp_iflag_f32_e32 v3, v1
	v_add_u32_e32 v1, s6, v2
	v_sub_u32_e32 v4, 0, v1
	v_max_i32_e32 v4, v1, v4
	v_mul_f32_e32 v3, 0x4f7ffffe, v3
	v_cvt_u32_f32_e32 v3, v3
	v_xor_b32_e32 v5, s20, v1
	v_ashrrev_i32_e32 v5, 31, v5
	v_mul_lo_u32 v6, s3, v3
	v_mul_hi_u32 v6, v3, v6
	v_add_u32_e32 v3, v3, v6
	v_mul_hi_u32 v3, v4, v3
	v_mul_lo_u32 v6, v3, s2
	v_sub_u32_e32 v4, v4, v6
	v_add_u32_e32 v6, 1, v3
	v_cmp_le_u32_e32 vcc, s2, v4
	v_cndmask_b32_e32 v3, v3, v6, vcc
	v_subrev_u32_e32 v6, s2, v4
	v_cndmask_b32_e32 v4, v4, v6, vcc
	v_add_u32_e32 v6, 1, v3
	v_cmp_le_u32_e32 vcc, s2, v4
	v_cndmask_b32_e32 v3, v3, v6, vcc
	v_xor_b32_e32 v3, v3, v5
	v_sub_u32_e32 v4, v3, v5
	v_cmp_gt_i32_e32 vcc, s16, v4
	s_and_saveexec_b64 s[2:3], vcc
	s_cbranch_execz .LBB80_28
; %bb.1:
	v_and_b32_e32 v6, 31, v0
	v_mul_lo_u32 v0, v4, s20
	v_sub_u32_e32 v0, v1, v0
	s_load_dwordx2 s[2:3], s[4:5], 0x0
	v_lshlrev_b32_e32 v10, 1, v0
	v_add_u32_e32 v0, 2, v10
	v_sub_u32_e32 v3, s0, v10
	v_cmp_lt_i32_e32 vcc, s0, v0
	v_cndmask_b32_e32 v11, 2, v3, vcc
	s_lshl_b32 s18, s17, 2
	s_mul_i32 s16, s18, s1
	v_lshlrev_b32_e32 v9, 9, v2
	v_cmp_lt_i32_e64 s[0:1], 0, v11
	v_lshlrev_b32_e32 v8, 3, v6
	v_lshlrev_b32_e32 v7, 8, v1
	s_and_saveexec_b64 s[6:7], s[0:1]
	s_cbranch_execz .LBB80_4
; %bb.2:
	s_add_i32 s8, s16, 0
	v_add3_u32 v3, s8, v9, v8
	s_add_i32 s8, s14, s13
	s_add_i32 s8, s8, s12
	s_lshl_b32 s9, s20, 1
	s_sub_i32 s8, s8, s9
	v_mul_lo_u32 v0, s8, v4
	v_lshl_add_u32 v0, v0, 7, v7
	s_mov_b32 s10, 0
	v_lshl_or_b32 v0, v6, 2, v0
	s_mov_b64 s[8:9], 0
	s_waitcnt lgkmcnt(0)
	v_mov_b32_e32 v5, s3
.LBB80_3:                               ; =>This Inner Loop Header: Depth=1
	v_ashrrev_i32_e32 v1, 31, v0
	v_lshlrev_b64 v[12:13], 1, v[0:1]
	v_add_co_u32_e32 v12, vcc, s2, v12
	v_addc_co_u32_e32 v13, vcc, v5, v13, vcc
	global_load_dwordx2 v[12:13], v[12:13], off
	s_add_i32 s10, s10, 1
	v_cmp_ge_i32_e32 vcc, s10, v11
	v_add_u32_e32 v0, 0x80, v0
	s_or_b64 s[8:9], vcc, s[8:9]
	s_waitcnt vmcnt(0)
	ds_write_b64 v3, v[12:13]
	v_add_u32_e32 v3, 0x100, v3
	s_andn2_b64 exec, exec, s[8:9]
	s_cbranch_execnz .LBB80_3
.LBB80_4:
	s_or_b64 exec, exec, s[6:7]
	s_add_i32 s18, s18, 15
	s_load_dwordx8 s[4:11], s[4:5], 0x18
	s_ashr_i32 s19, s18, 31
	s_lshr_b32 s19, s19, 28
	s_add_i32 s18, s18, s19
	s_ashr_i32 s21, s18, 4
	v_mul_lo_u32 v0, v2, s17
	v_cmp_gt_i32_e32 vcc, s21, v6
	v_lshlrev_b32_e32 v12, 2, v0
	s_and_saveexec_b64 s[18:19], vcc
	s_cbranch_execz .LBB80_7
; %bb.5:
	v_ashrrev_i32_e32 v5, 31, v4
	v_lshlrev_b64 v[0:1], 3, v[4:5]
	s_waitcnt lgkmcnt(0)
	v_mov_b32_e32 v2, s11
	v_add_co_u32_e32 v0, vcc, s10, v0
	v_addc_co_u32_e32 v1, vcc, v2, v1, vcc
	global_load_dwordx2 v[0:1], v[0:1], off
	s_ashr_i32 s22, s17, 31
	v_lshlrev_b32_e32 v3, 4, v6
	v_mov_b32_e32 v5, s9
	s_mov_b64 s[10:11], 0
	v_add3_u32 v2, v12, v3, 0
	s_waitcnt vmcnt(0)
	v_mul_lo_u32 v13, v1, s17
	v_mul_lo_u32 v14, v0, s22
	v_mad_u64_u32 v[0:1], s[22:23], v0, s17, 0
	v_add3_u32 v1, v1, v14, v13
	v_lshlrev_b64 v[0:1], 2, v[0:1]
	v_add_co_u32_e32 v0, vcc, v0, v3
	v_addc_co_u32_e32 v1, vcc, 0, v1, vcc
	v_add_co_u32_e32 v0, vcc, s8, v0
	v_addc_co_u32_e32 v1, vcc, v5, v1, vcc
	v_mov_b32_e32 v3, v6
.LBB80_6:                               ; =>This Inner Loop Header: Depth=1
	global_load_dwordx4 v[14:17], v[0:1], off
	v_add_co_u32_e32 v0, vcc, 0x200, v0
	v_add_u32_e32 v3, 32, v3
	v_addc_co_u32_e32 v1, vcc, 0, v1, vcc
	v_cmp_le_i32_e32 vcc, s21, v3
	s_or_b64 s[10:11], vcc, s[10:11]
	s_waitcnt vmcnt(0)
	ds_write_b128 v2, v[14:17]
	v_add_u32_e32 v2, 0x200, v2
	s_andn2_b64 exec, exec, s[10:11]
	s_cbranch_execnz .LBB80_6
.LBB80_7:
	s_or_b64 exec, exec, s[18:19]
	s_and_b64 exec, exec, s[0:1]
	s_cbranch_execz .LBB80_28
; %bb.8:
	s_waitcnt lgkmcnt(0)
	global_load_dwordx2 v[0:1], v8, s[4:5]
	global_load_dwordx2 v[2:3], v8, s[6:7]
	v_mbcnt_lo_u32_b32 v5, -1, 0
	v_add_u32_e32 v9, s16, v9
	v_mbcnt_hi_u32_b32 v5, -1, v5
	v_add3_u32 v12, 0, v12, v8
	v_add3_u32 v14, v9, v8, 0
	v_and_b32_e32 v8, 0x60, v5
	v_xor_b32_e32 v9, 16, v5
	v_add_u32_e32 v8, 32, v8
	v_xor_b32_e32 v15, 8, v5
	v_cmp_lt_i32_e32 vcc, v9, v8
	s_add_i32 s6, s14, s13
	v_xor_b32_e32 v16, 4, v5
	v_cndmask_b32_e32 v9, v5, v9, vcc
	v_cmp_lt_i32_e32 vcc, v15, v8
	s_lshr_b32 s0, s17, 31
	s_ashr_i32 s1, s17, 31
	s_lshl_b32 s7, s20, 1
	s_add_i32 s6, s6, s12
	v_xor_b32_e32 v17, 2, v5
	v_cndmask_b32_e32 v19, v5, v15, vcc
	v_cmp_lt_i32_e32 vcc, v16, v8
	s_add_i32 s0, s17, s0
	s_lshr_b32 s1, s1, 30
	v_xor_b32_e32 v18, 1, v5
	s_sub_i32 s6, s6, s7
	v_cndmask_b32_e32 v20, v5, v16, vcc
	v_cmp_lt_i32_e32 vcc, v17, v8
	s_lshl_b32 s0, s0, 1
	s_add_i32 s1, s17, s1
	v_mul_lo_u32 v4, s6, v4
	v_cndmask_b32_e32 v21, v5, v17, vcc
	v_cmp_lt_i32_e32 vcc, v18, v8
	s_and_b32 s0, s0, -4
	s_ashr_i32 s1, s1, 2
	v_cndmask_b32_e32 v5, v5, v18, vcc
	v_lshl_add_u32 v4, v4, 7, v7
	s_mov_b32 s8, 0
	s_mov_b64 s[4:5], 0
	s_mov_b32 s9, 0xffff0000
	v_mov_b32_e32 v13, s15
	s_mov_b32 s10, 0x800000
	s_mov_b32 s11, 0x7f800000
	s_movk_i32 s13, 0x7fff
	v_cmp_gt_i32_e32 vcc, s1, v6
	v_add_u32_e32 v15, s0, v12
	v_lshlrev_b32_e32 v16, 2, v9
	v_lshlrev_b32_e32 v17, 2, v19
	;; [unrolled: 1-line block ×5, first 2 shown]
	v_lshl_or_b32 v4, v6, 2, v4
	v_mov_b32_e32 v25, 0
	s_waitcnt vmcnt(1)
	v_lshrrev_b32_e32 v21, 16, v0
	s_waitcnt vmcnt(0)
	v_lshrrev_b32_e32 v22, 16, v2
	v_lshrrev_b32_e32 v23, 16, v1
	;; [unrolled: 1-line block ×3, first 2 shown]
	s_branch .LBB80_10
.LBB80_9:                               ;   in Loop: Header=BB80_10 Depth=1
	s_or_b64 exec, exec, s[6:7]
	v_lshrrev_b32_e32 v28, 16, v5
	v_ashrrev_i32_e32 v5, 31, v4
	v_lshlrev_b64 v[26:27], 1, v[4:5]
	v_mov_b32_e32 v5, s3
	v_add_co_u32_e64 v26, s[0:1], s2, v26
	v_addc_co_u32_e64 v27, s[0:1], v5, v27, s[0:1]
	s_add_i32 s8, s8, 1
	v_and_b32_e32 v5, 0xffff0000, v6
	v_cmp_ge_i32_e64 s[0:1], s8, v11
	v_or_b32_sdwa v7, v5, v9 dst_sel:DWORD dst_unused:UNUSED_PAD src0_sel:DWORD src1_sel:WORD_1
	v_and_or_b32 v6, v8, s9, v28
	v_add_u32_e32 v4, 0x80, v4
	s_or_b64 s[4:5], s[0:1], s[4:5]
	v_add_u32_e32 v14, 0x100, v14
	global_store_dwordx2 v[26:27], v[6:7], off
	s_andn2_b64 exec, exec, s[4:5]
	s_cbranch_execz .LBB80_28
.LBB80_10:                              ; =>This Inner Loop Header: Depth=1
	ds_read_b64 v[6:7], v14
	s_waitcnt lgkmcnt(0)
	v_alignbit_b32 v5, v7, v6, 16
	v_lshlrev_b32_e32 v8, 16, v6
	v_and_b32_e32 v9, 0xffff0000, v6
	v_and_b32_e32 v7, 0xffff0000, v7
	;; [unrolled: 1-line block ×3, first 2 shown]
	v_pk_mul_f32 v[26:27], v[8:9], v[8:9]
	v_pk_mul_f32 v[28:29], v[6:7], v[6:7]
	v_add_f32_e32 v5, v26, v27
	v_add_f32_e32 v5, v5, v28
	;; [unrolled: 1-line block ×3, first 2 shown]
	ds_bpermute_b32 v26, v16, v5
	v_add_u32_e32 v27, s8, v10
	v_mov_b32_e32 v28, v13
	v_cmp_gt_i32_e64 s[0:1], s12, v27
	v_cndmask_b32_e64 v27, v22, v21, s[0:1]
	s_waitcnt lgkmcnt(0)
	v_add_f32_e32 v5, v5, v26
	ds_bpermute_b32 v26, v17, v5
	v_cndmask_b32_e64 v29, v2, v0, s[0:1]
	v_cndmask_b32_e64 v30, v24, v23, s[0:1]
	;; [unrolled: 1-line block ×3, first 2 shown]
	v_lshlrev_b32_e32 v27, 16, v27
	s_waitcnt lgkmcnt(0)
	v_add_f32_e32 v5, v5, v26
	ds_bpermute_b32 v26, v18, v5
	s_waitcnt lgkmcnt(0)
	v_add_f32_e32 v5, v5, v26
	ds_bpermute_b32 v26, v19, v5
	;; [unrolled: 3-line block ×3, first 2 shown]
	s_waitcnt lgkmcnt(0)
	v_add_f32_e32 v5, v5, v26
	v_fmac_f32_e32 v28, 0x3c000000, v5
	v_mul_f32_e32 v5, 0x4b800000, v28
	v_cmp_gt_f32_e64 s[0:1], s10, v28
	v_cndmask_b32_e64 v5, v28, v5, s[0:1]
	v_rsq_f32_e32 v5, v5
	v_lshlrev_b32_e32 v26, 16, v29
	v_lshlrev_b32_e32 v29, 16, v30
	v_lshlrev_b32_e32 v28, 16, v31
	v_mul_f32_e32 v30, 0x45800000, v5
	v_cndmask_b32_e64 v30, v5, v30, s[0:1]
	v_pk_mul_f32 v[26:27], v[30:31], v[26:27] op_sel_hi:[0,1]
	v_pk_mul_f32 v[28:29], v[30:31], v[28:29] op_sel_hi:[0,1]
	v_pk_mul_f32 v[8:9], v[26:27], v[8:9]
	v_pk_mul_f32 v[6:7], v[28:29], v[6:7]
	s_and_saveexec_b64 s[0:1], vcc
	s_cbranch_execz .LBB80_12
; %bb.11:                               ;   in Loop: Header=BB80_10 Depth=1
	ds_read2_b32 v[26:27], v15 offset1:1
	ds_read2_b32 v[28:29], v12 offset1:1
	s_waitcnt lgkmcnt(1)
	v_pk_mul_f32 v[30:31], v[8:9], v[26:27] op_sel_hi:[1,0]
	s_waitcnt lgkmcnt(0)
	v_pk_mul_f32 v[32:33], v[8:9], v[28:29] op_sel_hi:[1,0]
	v_pk_fma_f32 v[8:9], v[8:9], v[28:29], v[30:31] op_sel:[0,0,1] op_sel_hi:[1,0,0]
	v_mov_b32_e32 v28, v27
	v_mul_f32_e32 v5, v7, v27
	v_pk_mul_f32 v[26:27], v[6:7], v[28:29]
	v_mov_b32_e32 v8, v27
	v_fma_f32 v5, v6, v29, -v5
	v_pk_fma_f32 v[26:27], v[6:7], v[28:29], v[8:9]
	v_sub_f32_e32 v8, v32, v31
	v_mov_b32_e32 v6, v5
	v_mov_b32_e32 v7, v26
.LBB80_12:                              ;   in Loop: Header=BB80_10 Depth=1
	s_or_b64 exec, exec, s[0:1]
	v_and_b32_e32 v5, 0x7f800000, v8
	v_cmp_ne_u32_e64 s[0:1], s11, v5
                                        ; implicit-def: $vgpr5
	s_and_saveexec_b64 s[6:7], s[0:1]
	s_xor_b64 s[0:1], exec, s[6:7]
; %bb.13:                               ;   in Loop: Header=BB80_10 Depth=1
	v_bfe_u32 v5, v8, 16, 1
	v_add3_u32 v5, v8, v5, s13
; %bb.14:                               ;   in Loop: Header=BB80_10 Depth=1
	s_andn2_saveexec_b64 s[6:7], s[0:1]
; %bb.15:                               ;   in Loop: Header=BB80_10 Depth=1
	v_or_b32_e32 v5, 0x10000, v8
	v_cmp_eq_u32_sdwa s[0:1], v8, v25 src0_sel:WORD_0 src1_sel:DWORD
	v_cndmask_b32_e64 v5, v5, v8, s[0:1]
; %bb.16:                               ;   in Loop: Header=BB80_10 Depth=1
	s_or_b64 exec, exec, s[6:7]
	v_and_b32_e32 v8, 0x7f800000, v9
	v_cmp_ne_u32_e64 s[0:1], s11, v8
                                        ; implicit-def: $vgpr8
	s_and_saveexec_b64 s[6:7], s[0:1]
	s_xor_b64 s[0:1], exec, s[6:7]
; %bb.17:                               ;   in Loop: Header=BB80_10 Depth=1
	v_bfe_u32 v8, v9, 16, 1
	v_add3_u32 v8, v9, v8, s13
                                        ; implicit-def: $vgpr9
; %bb.18:                               ;   in Loop: Header=BB80_10 Depth=1
	s_andn2_saveexec_b64 s[6:7], s[0:1]
; %bb.19:                               ;   in Loop: Header=BB80_10 Depth=1
	v_or_b32_e32 v8, 0x10000, v9
	v_cmp_eq_u32_sdwa s[0:1], v9, v25 src0_sel:WORD_0 src1_sel:DWORD
	v_cndmask_b32_e64 v8, v8, v9, s[0:1]
; %bb.20:                               ;   in Loop: Header=BB80_10 Depth=1
	s_or_b64 exec, exec, s[6:7]
	v_and_b32_e32 v9, 0x7f800000, v6
	v_cmp_ne_u32_e64 s[0:1], s11, v9
                                        ; implicit-def: $vgpr9
	s_and_saveexec_b64 s[6:7], s[0:1]
	s_xor_b64 s[0:1], exec, s[6:7]
; %bb.21:                               ;   in Loop: Header=BB80_10 Depth=1
	v_bfe_u32 v9, v6, 16, 1
	v_add3_u32 v9, v6, v9, s13
; %bb.22:                               ;   in Loop: Header=BB80_10 Depth=1
	s_andn2_saveexec_b64 s[6:7], s[0:1]
; %bb.23:                               ;   in Loop: Header=BB80_10 Depth=1
	v_or_b32_e32 v9, 0x10000, v6
	v_cmp_eq_u32_sdwa s[0:1], v6, v25 src0_sel:WORD_0 src1_sel:DWORD
	v_cndmask_b32_e64 v9, v9, v6, s[0:1]
; %bb.24:                               ;   in Loop: Header=BB80_10 Depth=1
	s_or_b64 exec, exec, s[6:7]
	v_and_b32_e32 v6, 0x7f800000, v7
	v_cmp_ne_u32_e64 s[0:1], s11, v6
                                        ; implicit-def: $vgpr6
	s_and_saveexec_b64 s[6:7], s[0:1]
	s_xor_b64 s[0:1], exec, s[6:7]
; %bb.25:                               ;   in Loop: Header=BB80_10 Depth=1
	v_bfe_u32 v6, v7, 16, 1
	v_add3_u32 v6, v7, v6, s13
                                        ; implicit-def: $vgpr7
; %bb.26:                               ;   in Loop: Header=BB80_10 Depth=1
	s_andn2_saveexec_b64 s[6:7], s[0:1]
	s_cbranch_execz .LBB80_9
; %bb.27:                               ;   in Loop: Header=BB80_10 Depth=1
	v_or_b32_e32 v6, 0x10000, v7
	v_cmp_eq_u32_sdwa s[0:1], v7, v25 src0_sel:WORD_0 src1_sel:DWORD
	v_cndmask_b32_e64 v6, v6, v7, s[0:1]
	s_branch .LBB80_9
.LBB80_28:
	s_endpgm
	.section	.rodata,"a",@progbits
	.p2align	6, 0x0
	.amdhsa_kernel _ZN12tensorrt_llm7kernels32fusedQKNormRopeKernelNTokenHeadsIN3c108BFloat16EfLi128ELb1ELi2EEEvPviiifPKvS6_S6_PKlii
		.amdhsa_group_segment_fixed_size 0
		.amdhsa_private_segment_fixed_size 0
		.amdhsa_kernarg_size 320
		.amdhsa_user_sgpr_count 6
		.amdhsa_user_sgpr_private_segment_buffer 1
		.amdhsa_user_sgpr_dispatch_ptr 0
		.amdhsa_user_sgpr_queue_ptr 0
		.amdhsa_user_sgpr_kernarg_segment_ptr 1
		.amdhsa_user_sgpr_dispatch_id 0
		.amdhsa_user_sgpr_flat_scratch_init 0
		.amdhsa_user_sgpr_kernarg_preload_length 0
		.amdhsa_user_sgpr_kernarg_preload_offset 0
		.amdhsa_user_sgpr_private_segment_size 0
		.amdhsa_uses_dynamic_stack 0
		.amdhsa_system_sgpr_private_segment_wavefront_offset 0
		.amdhsa_system_sgpr_workgroup_id_x 1
		.amdhsa_system_sgpr_workgroup_id_y 0
		.amdhsa_system_sgpr_workgroup_id_z 0
		.amdhsa_system_sgpr_workgroup_info 0
		.amdhsa_system_vgpr_workitem_id 0
		.amdhsa_next_free_vgpr 34
		.amdhsa_next_free_sgpr 24
		.amdhsa_accum_offset 36
		.amdhsa_reserve_vcc 1
		.amdhsa_reserve_flat_scratch 0
		.amdhsa_float_round_mode_32 0
		.amdhsa_float_round_mode_16_64 0
		.amdhsa_float_denorm_mode_32 3
		.amdhsa_float_denorm_mode_16_64 3
		.amdhsa_dx10_clamp 1
		.amdhsa_ieee_mode 1
		.amdhsa_fp16_overflow 0
		.amdhsa_tg_split 0
		.amdhsa_exception_fp_ieee_invalid_op 0
		.amdhsa_exception_fp_denorm_src 0
		.amdhsa_exception_fp_ieee_div_zero 0
		.amdhsa_exception_fp_ieee_overflow 0
		.amdhsa_exception_fp_ieee_underflow 0
		.amdhsa_exception_fp_ieee_inexact 0
		.amdhsa_exception_int_div_zero 0
	.end_amdhsa_kernel
	.section	.text._ZN12tensorrt_llm7kernels32fusedQKNormRopeKernelNTokenHeadsIN3c108BFloat16EfLi128ELb1ELi2EEEvPviiifPKvS6_S6_PKlii,"axG",@progbits,_ZN12tensorrt_llm7kernels32fusedQKNormRopeKernelNTokenHeadsIN3c108BFloat16EfLi128ELb1ELi2EEEvPviiifPKvS6_S6_PKlii,comdat
.Lfunc_end80:
	.size	_ZN12tensorrt_llm7kernels32fusedQKNormRopeKernelNTokenHeadsIN3c108BFloat16EfLi128ELb1ELi2EEEvPviiifPKvS6_S6_PKlii, .Lfunc_end80-_ZN12tensorrt_llm7kernels32fusedQKNormRopeKernelNTokenHeadsIN3c108BFloat16EfLi128ELb1ELi2EEEvPviiifPKvS6_S6_PKlii
                                        ; -- End function
	.section	.AMDGPU.csdata,"",@progbits
; Kernel info:
; codeLenInByte = 1800
; NumSgprs: 28
; NumVgprs: 34
; NumAgprs: 0
; TotalNumVgprs: 34
; ScratchSize: 0
; MemoryBound: 0
; FloatMode: 240
; IeeeMode: 1
; LDSByteSize: 0 bytes/workgroup (compile time only)
; SGPRBlocks: 3
; VGPRBlocks: 4
; NumSGPRsForWavesPerEU: 28
; NumVGPRsForWavesPerEU: 34
; AccumOffset: 36
; Occupancy: 8
; WaveLimiterHint : 0
; COMPUTE_PGM_RSRC2:SCRATCH_EN: 0
; COMPUTE_PGM_RSRC2:USER_SGPR: 6
; COMPUTE_PGM_RSRC2:TRAP_HANDLER: 0
; COMPUTE_PGM_RSRC2:TGID_X_EN: 1
; COMPUTE_PGM_RSRC2:TGID_Y_EN: 0
; COMPUTE_PGM_RSRC2:TGID_Z_EN: 0
; COMPUTE_PGM_RSRC2:TIDIG_COMP_CNT: 0
; COMPUTE_PGM_RSRC3_GFX90A:ACCUM_OFFSET: 8
; COMPUTE_PGM_RSRC3_GFX90A:TG_SPLIT: 0
	.section	.text._ZN12tensorrt_llm7kernels32fusedQKNormRopeKernelNTokenHeadsIN3c108BFloat16EfLi128ELb0ELi2EEEvPviiifPKvS6_S6_PKlii,"axG",@progbits,_ZN12tensorrt_llm7kernels32fusedQKNormRopeKernelNTokenHeadsIN3c108BFloat16EfLi128ELb0ELi2EEEvPviiifPKvS6_S6_PKlii,comdat
	.protected	_ZN12tensorrt_llm7kernels32fusedQKNormRopeKernelNTokenHeadsIN3c108BFloat16EfLi128ELb0ELi2EEEvPviiifPKvS6_S6_PKlii ; -- Begin function _ZN12tensorrt_llm7kernels32fusedQKNormRopeKernelNTokenHeadsIN3c108BFloat16EfLi128ELb0ELi2EEEvPviiifPKvS6_S6_PKlii
	.globl	_ZN12tensorrt_llm7kernels32fusedQKNormRopeKernelNTokenHeadsIN3c108BFloat16EfLi128ELb0ELi2EEEvPviiifPKvS6_S6_PKlii
	.p2align	8
	.type	_ZN12tensorrt_llm7kernels32fusedQKNormRopeKernelNTokenHeadsIN3c108BFloat16EfLi128ELb0ELi2EEEvPviiifPKvS6_S6_PKlii,@function
_ZN12tensorrt_llm7kernels32fusedQKNormRopeKernelNTokenHeadsIN3c108BFloat16EfLi128ELb0ELi2EEEvPviiifPKvS6_S6_PKlii: ; @_ZN12tensorrt_llm7kernels32fusedQKNormRopeKernelNTokenHeadsIN3c108BFloat16EfLi128ELb0ELi2EEEvPviiifPKvS6_S6_PKlii
; %bb.0:
	s_load_dwordx4 s[12:15], s[4:5], 0x8
	s_load_dwordx2 s[2:3], s[4:5], 0x38
	s_load_dword s1, s[4:5], 0x4c
	v_lshrrev_b32_e32 v3, 5, v0
	s_waitcnt lgkmcnt(0)
	s_add_i32 s0, s13, s12
	s_add_i32 s7, s0, 1
	s_lshr_b32 s8, s7, 31
	s_add_i32 s7, s7, s8
	s_ashr_i32 s20, s7, 1
	s_abs_i32 s7, s20
	v_cvt_f32_u32_e32 v1, s7
	s_bfe_u32 s1, s1, 0xb0005
	s_mul_i32 s6, s6, s1
	v_rcp_iflag_f32_e32 v2, v1
	v_add_u32_e32 v1, s6, v3
	s_sub_i32 s6, 0, s7
	v_sub_u32_e32 v4, 0, v1
	v_mul_f32_e32 v2, 0x4f7ffffe, v2
	v_cvt_u32_f32_e32 v2, v2
	v_max_i32_e32 v4, v1, v4
	v_xor_b32_e32 v5, s20, v1
	v_ashrrev_i32_e32 v5, 31, v5
	v_mul_lo_u32 v6, s6, v2
	v_mul_hi_u32 v6, v2, v6
	v_add_u32_e32 v2, v2, v6
	v_mul_hi_u32 v2, v4, v2
	v_mul_lo_u32 v6, v2, s7
	v_sub_u32_e32 v4, v4, v6
	v_add_u32_e32 v6, 1, v2
	v_cmp_le_u32_e32 vcc, s7, v4
	v_cndmask_b32_e32 v2, v2, v6, vcc
	v_subrev_u32_e32 v6, s7, v4
	v_cndmask_b32_e32 v4, v4, v6, vcc
	v_add_u32_e32 v6, 1, v2
	v_cmp_le_u32_e32 vcc, s7, v4
	v_cndmask_b32_e32 v2, v2, v6, vcc
	v_xor_b32_e32 v2, v2, v5
	v_sub_u32_e32 v2, v2, v5
	v_cmp_gt_i32_e32 vcc, s2, v2
	s_and_saveexec_b64 s[6:7], vcc
	s_cbranch_execz .LBB81_28
; %bb.1:
	v_and_b32_e32 v8, 31, v0
	v_mul_lo_u32 v0, v2, s20
	v_sub_u32_e32 v0, v1, v0
	s_load_dwordx2 s[16:17], s[4:5], 0x0
	v_lshlrev_b32_e32 v10, 1, v0
	v_add_u32_e32 v0, 2, v10
	v_sub_u32_e32 v4, s0, v10
	v_cmp_lt_i32_e32 vcc, s0, v0
	v_cndmask_b32_e32 v11, 2, v4, vcc
	s_lshl_b32 s2, s3, 2
	s_mul_i32 s21, s2, s1
	v_lshlrev_b32_e32 v9, 9, v3
	v_cmp_lt_i32_e64 s[0:1], 0, v11
	v_lshlrev_b32_e32 v24, 3, v8
	v_lshlrev_b32_e32 v27, 8, v1
	s_and_saveexec_b64 s[6:7], s[0:1]
	s_cbranch_execz .LBB81_4
; %bb.2:
	s_add_i32 s8, s21, 0
	v_add3_u32 v4, s8, v9, v24
	s_add_i32 s8, s14, s13
	s_add_i32 s8, s8, s12
	s_lshl_b32 s9, s20, 1
	s_sub_i32 s8, s8, s9
	v_mul_lo_u32 v0, s8, v2
	v_lshl_add_u32 v0, v0, 7, v27
	s_mov_b32 s10, 0
	v_lshl_or_b32 v0, v8, 2, v0
	s_mov_b64 s[8:9], 0
	s_waitcnt lgkmcnt(0)
	v_mov_b32_e32 v5, s17
.LBB81_3:                               ; =>This Inner Loop Header: Depth=1
	v_ashrrev_i32_e32 v1, 31, v0
	v_lshlrev_b64 v[6:7], 1, v[0:1]
	v_add_co_u32_e32 v6, vcc, s16, v6
	v_addc_co_u32_e32 v7, vcc, v5, v7, vcc
	global_load_dwordx2 v[6:7], v[6:7], off
	s_add_i32 s10, s10, 1
	v_cmp_ge_i32_e32 vcc, s10, v11
	v_add_u32_e32 v0, 0x80, v0
	s_or_b64 s[8:9], vcc, s[8:9]
	s_waitcnt vmcnt(0)
	ds_write_b64 v4, v[6:7]
	v_add_u32_e32 v4, 0x100, v4
	s_andn2_b64 exec, exec, s[8:9]
	s_cbranch_execnz .LBB81_3
.LBB81_4:
	s_or_b64 exec, exec, s[6:7]
	s_add_i32 s2, s2, 15
	s_load_dwordx8 s[4:11], s[4:5], 0x18
	s_ashr_i32 s18, s2, 31
	s_lshr_b32 s18, s18, 28
	s_add_i32 s2, s2, s18
	s_ashr_i32 s2, s2, 4
	v_cmp_gt_i32_e32 vcc, s2, v8
	v_mul_lo_u32 v12, v3, s3
	s_and_saveexec_b64 s[18:19], vcc
	s_cbranch_execz .LBB81_7
; %bb.5:
	v_ashrrev_i32_e32 v3, 31, v2
	v_lshlrev_b64 v[0:1], 3, v[2:3]
	s_waitcnt lgkmcnt(0)
	v_mov_b32_e32 v3, s11
	v_add_co_u32_e32 v0, vcc, s10, v0
	v_addc_co_u32_e32 v1, vcc, v3, v1, vcc
	global_load_dwordx2 v[0:1], v[0:1], off
	s_ashr_i32 s22, s3, 31
	v_lshlrev_b32_e32 v4, 4, v8
	v_lshlrev_b32_e32 v3, 2, v12
	v_mov_b32_e32 v5, s9
	s_mov_b64 s[10:11], 0
	v_add3_u32 v3, v3, v4, 0
	s_waitcnt vmcnt(0)
	v_mul_lo_u32 v6, v1, s3
	v_mul_lo_u32 v7, v0, s22
	v_mad_u64_u32 v[0:1], s[22:23], v0, s3, 0
	v_add3_u32 v1, v1, v7, v6
	v_lshlrev_b64 v[0:1], 2, v[0:1]
	v_add_co_u32_e32 v0, vcc, v0, v4
	v_addc_co_u32_e32 v1, vcc, 0, v1, vcc
	v_add_co_u32_e32 v0, vcc, s8, v0
	v_addc_co_u32_e32 v1, vcc, v5, v1, vcc
	v_mov_b32_e32 v4, v8
.LBB81_6:                               ; =>This Inner Loop Header: Depth=1
	global_load_dwordx4 v[14:17], v[0:1], off
	v_add_co_u32_e32 v0, vcc, 0x200, v0
	v_add_u32_e32 v4, 32, v4
	v_addc_co_u32_e32 v1, vcc, 0, v1, vcc
	v_cmp_le_i32_e32 vcc, s2, v4
	s_or_b64 s[10:11], vcc, s[10:11]
	s_waitcnt vmcnt(0)
	ds_write_b128 v3, v[14:17]
	v_add_u32_e32 v3, 0x200, v3
	s_andn2_b64 exec, exec, s[10:11]
	s_cbranch_execnz .LBB81_6
.LBB81_7:
	s_or_b64 exec, exec, s[18:19]
	s_and_b64 exec, exec, s[0:1]
	s_cbranch_execz .LBB81_28
; %bb.8:
	s_waitcnt lgkmcnt(0)
	global_load_dwordx2 v[4:5], v24, s[4:5]
	global_load_dwordx2 v[6:7], v24, s[6:7]
	v_mbcnt_lo_u32_b32 v1, -1, 0
	s_abs_i32 s4, s3
	v_mbcnt_hi_u32_b32 v1, -1, v1
	v_cvt_f32_u32_e32 v14, s4
	v_lshl_add_u32 v0, v12, 2, 0
	v_and_b32_e32 v12, 0x60, v1
	v_xor_b32_e32 v13, 16, v1
	v_add_u32_e32 v12, 32, v12
	v_xor_b32_e32 v15, 8, v1
	v_cmp_lt_i32_e32 vcc, v13, v12
	v_xor_b32_e32 v16, 4, v1
	v_cndmask_b32_e32 v13, v1, v13, vcc
	v_cmp_lt_i32_e32 vcc, v15, v12
	v_rcp_iflag_f32_e32 v21, v14
	v_xor_b32_e32 v17, 2, v1
	v_cndmask_b32_e32 v15, v1, v15, vcc
	v_cmp_lt_i32_e32 vcc, v16, v12
	s_ashr_i32 s1, s3, 31
	v_xor_b32_e32 v18, 1, v1
	v_cndmask_b32_e32 v16, v1, v16, vcc
	v_cmp_lt_i32_e32 vcc, v17, v12
	s_lshr_b32 s2, s1, 30
	s_lshr_b32 s1, s1, 29
	v_cndmask_b32_e32 v17, v1, v17, vcc
	v_cmp_lt_i32_e32 vcc, v18, v12
	s_add_i32 s1, s3, s1
	v_cndmask_b32_e32 v18, v1, v18, vcc
	v_lshlrev_b32_e32 v12, 2, v13
	v_lshlrev_b32_e32 v13, 2, v15
	v_lshlrev_b32_e32 v15, 2, v17
	v_mul_f32_e32 v17, 0x4f7ffffe, v21
	s_add_i32 s2, s3, s2
	v_and_b32_e32 v19, 64, v1
	s_ashr_i32 s1, s1, 3
	v_lshlrev_b32_e32 v14, 2, v16
	v_lshlrev_b32_e32 v16, 2, v18
	v_cvt_u32_f32_e32 v18, v17
	s_lshr_b32 s0, s3, 31
	s_ashr_i32 s2, s2, 2
	v_add_u32_e32 v19, 64, v19
	v_xor_b32_e32 v20, s1, v1
	s_add_i32 s0, s3, s0
	v_cmp_gt_i32_e32 vcc, s2, v8
	v_cmp_lt_i32_e64 s[2:3], v20, v19
	s_sub_i32 s5, 0, s4
	v_cndmask_b32_e64 v1, v1, v20, s[2:3]
	v_lshlrev_b32_e32 v17, 2, v1
	v_mul_lo_u32 v1, s5, v18
	v_mul_hi_u32 v1, v18, v1
	v_add_u32_e32 v1, v18, v1
	v_or_b32_e32 v3, 2, v24
	v_mul_hi_u32 v18, v24, v1
	v_mul_hi_u32 v19, v3, v1
	v_mul_lo_u32 v18, v18, s4
	v_mul_lo_u32 v19, v19, s4
	v_sub_u32_e32 v18, v24, v18
	v_sub_u32_e32 v3, v3, v19
	v_subrev_u32_e32 v19, s4, v18
	v_cmp_le_u32_e64 s[2:3], s4, v18
	v_cndmask_b32_e64 v18, v18, v19, s[2:3]
	v_subrev_u32_e32 v19, s4, v18
	v_cmp_le_u32_e64 s[2:3], s4, v18
	v_subrev_u32_e32 v25, s4, v3
	v_cndmask_b32_e64 v18, v18, v19, s[2:3]
	v_cmp_le_u32_e64 s[2:3], s4, v3
	v_cndmask_b32_e64 v3, v3, v25, s[2:3]
	v_subrev_u32_e32 v25, s4, v3
	v_cmp_le_u32_e64 s[2:3], s4, v3
	s_lshl_b32 s0, s0, 1
	v_cndmask_b32_e64 v3, v3, v25, s[2:3]
	s_and_b32 s0, s0, -4
	v_lshlrev_b32_e32 v3, 1, v3
	v_or_b32_e32 v28, 4, v24
	v_add_u32_e32 v31, s0, v0
	v_and_b32_e32 v3, -4, v3
	v_add_u32_e32 v25, v0, v3
	v_add_u32_e32 v26, v31, v3
	v_mul_hi_u32 v3, v28, v1
	v_mul_lo_u32 v3, v3, s4
	v_sub_u32_e32 v3, v28, v3
	v_subrev_u32_e32 v28, s4, v3
	v_cmp_le_u32_e64 s[2:3], s4, v3
	v_cndmask_b32_e64 v3, v3, v28, s[2:3]
	v_or_b32_e32 v30, 6, v24
	v_subrev_u32_e32 v28, s4, v3
	v_cmp_le_u32_e64 s[2:3], s4, v3
	v_cndmask_b32_e64 v3, v3, v28, s[2:3]
	v_mul_hi_u32 v1, v30, v1
	v_lshlrev_b32_e32 v3, 1, v3
	v_mul_lo_u32 v1, v1, s4
	v_and_b32_e32 v3, -4, v3
	v_sub_u32_e32 v1, v30, v1
	v_add_u32_e32 v28, v0, v3
	v_add_u32_e32 v29, v31, v3
	v_subrev_u32_e32 v3, s4, v1
	v_cmp_le_u32_e64 s[2:3], s4, v1
	v_cndmask_b32_e64 v1, v1, v3, s[2:3]
	v_subrev_u32_e32 v3, s4, v1
	v_cmp_le_u32_e64 s[2:3], s4, v1
	v_cndmask_b32_e64 v1, v1, v3, s[2:3]
	s_add_i32 s2, s14, s13
	v_lshlrev_b32_e32 v18, 1, v18
	v_lshlrev_b32_e32 v1, 1, v1
	s_add_i32 s2, s2, s12
	s_lshl_b32 s3, s20, 1
	v_and_b32_e32 v19, -4, v18
	v_and_b32_e32 v1, -4, v1
	s_sub_i32 s2, s2, s3
	v_add_u32_e32 v18, v0, v19
	v_add_u32_e32 v30, v0, v1
	v_mul_lo_u32 v0, s2, v2
	v_lshl_add_u32 v0, v0, 7, v27
	v_cmp_gt_i32_e64 s[0:1], s1, v8
	v_lshl_or_b32 v8, v8, 2, v0
	v_add_u32_e32 v0, s21, v9
	s_mov_b32 s8, 0
	v_add_u32_e32 v19, v31, v19
	s_waitcnt vmcnt(1)
	v_lshrrev_b32_e32 v20, 16, v4
	v_lshrrev_b32_e32 v21, 16, v5
	s_waitcnt vmcnt(0)
	v_lshrrev_b32_e32 v22, 16, v6
	v_lshrrev_b32_e32 v23, 16, v7
	v_add_u32_e32 v31, v31, v1
	v_add3_u32 v24, v0, v24, 0
	s_mov_b64 s[4:5], 0
	s_mov_b32 s9, 0xffff0000
	s_mov_b32 s10, 0x800000
	s_mov_b32 s11, 0x7f800000
	s_movk_i32 s13, 0x7fff
	v_mov_b32_e32 v27, s15
	v_mov_b32_e32 v32, 0
	s_branch .LBB81_10
.LBB81_9:                               ;   in Loop: Header=BB81_10 Depth=1
	s_or_b64 exec, exec, s[6:7]
	v_lshrrev_b32_e32 v2, 16, v9
	v_ashrrev_i32_e32 v9, 31, v8
	v_lshlrev_b64 v[0:1], 1, v[8:9]
	v_mov_b32_e32 v3, s17
	v_add_co_u32_e64 v0, s[2:3], s16, v0
	v_addc_co_u32_e64 v1, s[2:3], v3, v1, s[2:3]
	s_add_i32 s8, s8, 1
	v_and_b32_e32 v3, 0xffff0000, v35
	v_cmp_ge_i32_e64 s[2:3], s8, v11
	v_or_b32_sdwa v3, v3, v34 dst_sel:DWORD dst_unused:UNUSED_PAD src0_sel:DWORD src1_sel:WORD_1
	v_and_or_b32 v2, v33, s9, v2
	v_add_u32_e32 v8, 0x80, v8
	s_or_b64 s[4:5], s[2:3], s[4:5]
	v_add_u32_e32 v24, 0x100, v24
	global_store_dwordx2 v[0:1], v[2:3], off
	s_andn2_b64 exec, exec, s[4:5]
	s_cbranch_execz .LBB81_28
.LBB81_10:                              ; =>This Inner Loop Header: Depth=1
	ds_read_b64 v[0:1], v24
	v_add_u32_e32 v34, s8, v10
	v_mov_b32_e32 v35, v27
	v_cmp_gt_i32_e64 s[2:3], s12, v34
	v_cndmask_b32_e64 v34, v6, v4, s[2:3]
	s_waitcnt lgkmcnt(0)
	v_and_b32_e32 v2, 0xffff0000, v0
	v_lshlrev_b32_e32 v3, 16, v0
	v_alignbit_b32 v0, v1, v0, 16
	v_and_b32_e32 v9, 0xffff0000, v1
	v_mul_f32_e32 v1, v2, v2
	v_and_b32_e32 v33, 0xffff0000, v0
	v_fmac_f32_e32 v1, v3, v3
	v_fmac_f32_e32 v1, v33, v33
	;; [unrolled: 1-line block ×3, first 2 shown]
	ds_bpermute_b32 v0, v12, v1
	v_cndmask_b32_e64 v36, v22, v20, s[2:3]
	v_cndmask_b32_e64 v37, v7, v5, s[2:3]
	;; [unrolled: 1-line block ×3, first 2 shown]
	v_lshlrev_b32_e32 v34, 16, v34
	s_waitcnt lgkmcnt(0)
	v_add_f32_e32 v0, v1, v0
	ds_bpermute_b32 v1, v13, v0
	s_waitcnt lgkmcnt(0)
	v_add_f32_e32 v0, v0, v1
	ds_bpermute_b32 v1, v14, v0
	s_waitcnt lgkmcnt(0)
	v_add_f32_e32 v0, v0, v1
	ds_bpermute_b32 v1, v15, v0
	s_waitcnt lgkmcnt(0)
	v_add_f32_e32 v0, v0, v1
	ds_bpermute_b32 v1, v16, v0
	s_waitcnt lgkmcnt(0)
	v_add_f32_e32 v0, v0, v1
	v_fmac_f32_e32 v35, 0x3c000000, v0
	v_mul_f32_e32 v0, 0x4b800000, v35
	v_cmp_gt_f32_e64 s[2:3], s10, v35
	v_cndmask_b32_e64 v0, v35, v0, s[2:3]
	v_rsq_f32_e32 v0, v0
	v_lshlrev_b32_e32 v35, 16, v37
	v_lshlrev_b32_e32 v1, 16, v36
	;; [unrolled: 1-line block ×3, first 2 shown]
	v_mul_f32_e32 v37, 0x45800000, v0
	v_cndmask_b32_e64 v0, v0, v37, s[2:3]
	v_mul_f32_e32 v34, v0, v34
	v_mul_f32_e32 v1, v0, v1
	v_mul_f32_e32 v35, v0, v35
	v_mul_f32_e32 v36, v0, v36
	v_mul_f32_e32 v0, v34, v3
	v_mul_f32_e32 v1, v1, v2
	v_mul_f32_e32 v2, v35, v33
	v_mul_f32_e32 v3, v36, v9
	s_and_saveexec_b64 s[2:3], vcc
	s_cbranch_execz .LBB81_12
; %bb.11:                               ;   in Loop: Header=BB81_10 Depth=1
	ds_bpermute_b32 v9, v17, v0
	ds_bpermute_b32 v33, v17, v1
	; wave barrier
	ds_read_b32 v35, v18
	ds_read_b32 v34, v19
	ds_read_b32 v36, v25
	ds_read_b32 v37, v26
	ds_read_b32 v38, v28
	ds_read_b32 v39, v29
	ds_read_b32 v40, v30
	ds_read_b32 v41, v31
	s_waitcnt lgkmcnt(9)
	v_cndmask_b32_e64 v9, v9, -v9, s[0:1]
	s_waitcnt lgkmcnt(6)
	v_mul_f32_e32 v34, v9, v34
	v_fmac_f32_e32 v34, v0, v35
	ds_bpermute_b32 v0, v17, v2
	v_cndmask_b32_e64 v9, v33, -v33, s[0:1]
	s_waitcnt lgkmcnt(5)
	v_mul_f32_e32 v35, v9, v37
	ds_bpermute_b32 v9, v17, v3
	v_fmac_f32_e32 v35, v1, v36
	s_waitcnt lgkmcnt(1)
	v_cndmask_b32_e64 v0, v0, -v0, s[0:1]
	v_mul_f32_e32 v36, v0, v39
	v_fmac_f32_e32 v36, v2, v38
	s_waitcnt lgkmcnt(0)
	v_cndmask_b32_e64 v0, v9, -v9, s[0:1]
	v_mul_f32_e32 v37, v0, v41
	v_fmac_f32_e32 v37, v3, v40
	v_pk_mov_b32 v[0:1], v[34:35], v[34:35] op_sel:[0,1]
	v_pk_mov_b32 v[2:3], v[36:37], v[36:37] op_sel:[0,1]
	; wave barrier
.LBB81_12:                              ;   in Loop: Header=BB81_10 Depth=1
	s_or_b64 exec, exec, s[2:3]
	v_and_b32_e32 v9, 0x7f800000, v0
	v_cmp_ne_u32_e64 s[2:3], s11, v9
                                        ; implicit-def: $vgpr9
	s_and_saveexec_b64 s[6:7], s[2:3]
	s_xor_b64 s[2:3], exec, s[6:7]
; %bb.13:                               ;   in Loop: Header=BB81_10 Depth=1
	v_bfe_u32 v9, v0, 16, 1
	v_add3_u32 v9, v0, v9, s13
; %bb.14:                               ;   in Loop: Header=BB81_10 Depth=1
	s_andn2_saveexec_b64 s[6:7], s[2:3]
; %bb.15:                               ;   in Loop: Header=BB81_10 Depth=1
	v_or_b32_e32 v9, 0x10000, v0
	v_cmp_eq_u32_sdwa s[2:3], v0, v32 src0_sel:WORD_0 src1_sel:DWORD
	v_cndmask_b32_e64 v9, v9, v0, s[2:3]
; %bb.16:                               ;   in Loop: Header=BB81_10 Depth=1
	s_or_b64 exec, exec, s[6:7]
	v_and_b32_e32 v0, 0x7f800000, v1
	v_cmp_ne_u32_e64 s[2:3], s11, v0
                                        ; implicit-def: $vgpr33
	s_and_saveexec_b64 s[6:7], s[2:3]
	s_xor_b64 s[2:3], exec, s[6:7]
; %bb.17:                               ;   in Loop: Header=BB81_10 Depth=1
	v_bfe_u32 v0, v1, 16, 1
	v_add3_u32 v33, v1, v0, s13
; %bb.18:                               ;   in Loop: Header=BB81_10 Depth=1
	s_andn2_saveexec_b64 s[6:7], s[2:3]
; %bb.19:                               ;   in Loop: Header=BB81_10 Depth=1
	v_or_b32_e32 v0, 0x10000, v1
	v_cmp_eq_u32_sdwa s[2:3], v1, v32 src0_sel:WORD_0 src1_sel:DWORD
	v_cndmask_b32_e64 v33, v0, v1, s[2:3]
; %bb.20:                               ;   in Loop: Header=BB81_10 Depth=1
	s_or_b64 exec, exec, s[6:7]
	v_and_b32_e32 v0, 0x7f800000, v2
	v_cmp_ne_u32_e64 s[2:3], s11, v0
                                        ; implicit-def: $vgpr34
	s_and_saveexec_b64 s[6:7], s[2:3]
	s_xor_b64 s[2:3], exec, s[6:7]
; %bb.21:                               ;   in Loop: Header=BB81_10 Depth=1
	v_bfe_u32 v0, v2, 16, 1
	v_add3_u32 v34, v2, v0, s13
; %bb.22:                               ;   in Loop: Header=BB81_10 Depth=1
	s_andn2_saveexec_b64 s[6:7], s[2:3]
; %bb.23:                               ;   in Loop: Header=BB81_10 Depth=1
	v_or_b32_e32 v0, 0x10000, v2
	v_cmp_eq_u32_sdwa s[2:3], v2, v32 src0_sel:WORD_0 src1_sel:DWORD
	v_cndmask_b32_e64 v34, v0, v2, s[2:3]
; %bb.24:                               ;   in Loop: Header=BB81_10 Depth=1
	s_or_b64 exec, exec, s[6:7]
	v_and_b32_e32 v0, 0x7f800000, v3
	v_cmp_ne_u32_e64 s[2:3], s11, v0
                                        ; implicit-def: $vgpr35
	s_and_saveexec_b64 s[6:7], s[2:3]
	s_xor_b64 s[2:3], exec, s[6:7]
; %bb.25:                               ;   in Loop: Header=BB81_10 Depth=1
	v_bfe_u32 v0, v3, 16, 1
	v_add3_u32 v35, v3, v0, s13
                                        ; implicit-def: $vgpr0_vgpr1_vgpr2_vgpr3
; %bb.26:                               ;   in Loop: Header=BB81_10 Depth=1
	s_andn2_saveexec_b64 s[6:7], s[2:3]
	s_cbranch_execz .LBB81_9
; %bb.27:                               ;   in Loop: Header=BB81_10 Depth=1
	v_or_b32_e32 v0, 0x10000, v3
	v_cmp_eq_u32_sdwa s[2:3], v3, v32 src0_sel:WORD_0 src1_sel:DWORD
	v_cndmask_b32_e64 v35, v0, v3, s[2:3]
	s_branch .LBB81_9
.LBB81_28:
	s_endpgm
	.section	.rodata,"a",@progbits
	.p2align	6, 0x0
	.amdhsa_kernel _ZN12tensorrt_llm7kernels32fusedQKNormRopeKernelNTokenHeadsIN3c108BFloat16EfLi128ELb0ELi2EEEvPviiifPKvS6_S6_PKlii
		.amdhsa_group_segment_fixed_size 0
		.amdhsa_private_segment_fixed_size 0
		.amdhsa_kernarg_size 320
		.amdhsa_user_sgpr_count 6
		.amdhsa_user_sgpr_private_segment_buffer 1
		.amdhsa_user_sgpr_dispatch_ptr 0
		.amdhsa_user_sgpr_queue_ptr 0
		.amdhsa_user_sgpr_kernarg_segment_ptr 1
		.amdhsa_user_sgpr_dispatch_id 0
		.amdhsa_user_sgpr_flat_scratch_init 0
		.amdhsa_user_sgpr_kernarg_preload_length 0
		.amdhsa_user_sgpr_kernarg_preload_offset 0
		.amdhsa_user_sgpr_private_segment_size 0
		.amdhsa_uses_dynamic_stack 0
		.amdhsa_system_sgpr_private_segment_wavefront_offset 0
		.amdhsa_system_sgpr_workgroup_id_x 1
		.amdhsa_system_sgpr_workgroup_id_y 0
		.amdhsa_system_sgpr_workgroup_id_z 0
		.amdhsa_system_sgpr_workgroup_info 0
		.amdhsa_system_vgpr_workitem_id 0
		.amdhsa_next_free_vgpr 42
		.amdhsa_next_free_sgpr 24
		.amdhsa_accum_offset 44
		.amdhsa_reserve_vcc 1
		.amdhsa_reserve_flat_scratch 0
		.amdhsa_float_round_mode_32 0
		.amdhsa_float_round_mode_16_64 0
		.amdhsa_float_denorm_mode_32 3
		.amdhsa_float_denorm_mode_16_64 3
		.amdhsa_dx10_clamp 1
		.amdhsa_ieee_mode 1
		.amdhsa_fp16_overflow 0
		.amdhsa_tg_split 0
		.amdhsa_exception_fp_ieee_invalid_op 0
		.amdhsa_exception_fp_denorm_src 0
		.amdhsa_exception_fp_ieee_div_zero 0
		.amdhsa_exception_fp_ieee_overflow 0
		.amdhsa_exception_fp_ieee_underflow 0
		.amdhsa_exception_fp_ieee_inexact 0
		.amdhsa_exception_int_div_zero 0
	.end_amdhsa_kernel
	.section	.text._ZN12tensorrt_llm7kernels32fusedQKNormRopeKernelNTokenHeadsIN3c108BFloat16EfLi128ELb0ELi2EEEvPviiifPKvS6_S6_PKlii,"axG",@progbits,_ZN12tensorrt_llm7kernels32fusedQKNormRopeKernelNTokenHeadsIN3c108BFloat16EfLi128ELb0ELi2EEEvPviiifPKvS6_S6_PKlii,comdat
.Lfunc_end81:
	.size	_ZN12tensorrt_llm7kernels32fusedQKNormRopeKernelNTokenHeadsIN3c108BFloat16EfLi128ELb0ELi2EEEvPviiifPKvS6_S6_PKlii, .Lfunc_end81-_ZN12tensorrt_llm7kernels32fusedQKNormRopeKernelNTokenHeadsIN3c108BFloat16EfLi128ELb0ELi2EEEvPviiifPKvS6_S6_PKlii
                                        ; -- End function
	.section	.AMDGPU.csdata,"",@progbits
; Kernel info:
; codeLenInByte = 2304
; NumSgprs: 28
; NumVgprs: 42
; NumAgprs: 0
; TotalNumVgprs: 42
; ScratchSize: 0
; MemoryBound: 0
; FloatMode: 240
; IeeeMode: 1
; LDSByteSize: 0 bytes/workgroup (compile time only)
; SGPRBlocks: 3
; VGPRBlocks: 5
; NumSGPRsForWavesPerEU: 28
; NumVGPRsForWavesPerEU: 42
; AccumOffset: 44
; Occupancy: 8
; WaveLimiterHint : 0
; COMPUTE_PGM_RSRC2:SCRATCH_EN: 0
; COMPUTE_PGM_RSRC2:USER_SGPR: 6
; COMPUTE_PGM_RSRC2:TRAP_HANDLER: 0
; COMPUTE_PGM_RSRC2:TGID_X_EN: 1
; COMPUTE_PGM_RSRC2:TGID_Y_EN: 0
; COMPUTE_PGM_RSRC2:TGID_Z_EN: 0
; COMPUTE_PGM_RSRC2:TIDIG_COMP_CNT: 0
; COMPUTE_PGM_RSRC3_GFX90A:ACCUM_OFFSET: 10
; COMPUTE_PGM_RSRC3_GFX90A:TG_SPLIT: 0
	.section	.text._ZN12tensorrt_llm7kernels32fusedQKNormRopeKernelNTokenHeadsIN3c108BFloat16EfLi256ELb1ELi2EEEvPviiifPKvS6_S6_PKlii,"axG",@progbits,_ZN12tensorrt_llm7kernels32fusedQKNormRopeKernelNTokenHeadsIN3c108BFloat16EfLi256ELb1ELi2EEEvPviiifPKvS6_S6_PKlii,comdat
	.protected	_ZN12tensorrt_llm7kernels32fusedQKNormRopeKernelNTokenHeadsIN3c108BFloat16EfLi256ELb1ELi2EEEvPviiifPKvS6_S6_PKlii ; -- Begin function _ZN12tensorrt_llm7kernels32fusedQKNormRopeKernelNTokenHeadsIN3c108BFloat16EfLi256ELb1ELi2EEEvPviiifPKvS6_S6_PKlii
	.globl	_ZN12tensorrt_llm7kernels32fusedQKNormRopeKernelNTokenHeadsIN3c108BFloat16EfLi256ELb1ELi2EEEvPviiifPKvS6_S6_PKlii
	.p2align	8
	.type	_ZN12tensorrt_llm7kernels32fusedQKNormRopeKernelNTokenHeadsIN3c108BFloat16EfLi256ELb1ELi2EEEvPviiifPKvS6_S6_PKlii,@function
_ZN12tensorrt_llm7kernels32fusedQKNormRopeKernelNTokenHeadsIN3c108BFloat16EfLi256ELb1ELi2EEEvPviiifPKvS6_S6_PKlii: ; @_ZN12tensorrt_llm7kernels32fusedQKNormRopeKernelNTokenHeadsIN3c108BFloat16EfLi256ELb1ELi2EEEvPviiifPKvS6_S6_PKlii
; %bb.0:
	s_load_dwordx4 s[12:15], s[4:5], 0x8
	s_load_dwordx2 s[2:3], s[4:5], 0x38
	s_load_dword s1, s[4:5], 0x4c
	v_lshrrev_b32_e32 v1, 5, v0
	s_waitcnt lgkmcnt(0)
	s_add_i32 s0, s13, s12
	s_add_i32 s7, s0, 1
	s_lshr_b32 s8, s7, 31
	s_add_i32 s7, s7, s8
	s_ashr_i32 s20, s7, 1
	s_abs_i32 s7, s20
	v_cvt_f32_u32_e32 v2, s7
	s_bfe_u32 s1, s1, 0xb0005
	s_mul_i32 s6, s6, s1
	v_rcp_iflag_f32_e32 v3, v2
	v_add_u32_e32 v2, s6, v1
	s_sub_i32 s6, 0, s7
	v_sub_u32_e32 v4, 0, v2
	v_mul_f32_e32 v3, 0x4f7ffffe, v3
	v_cvt_u32_f32_e32 v3, v3
	v_max_i32_e32 v4, v2, v4
	v_xor_b32_e32 v5, s20, v2
	v_ashrrev_i32_e32 v5, 31, v5
	v_mul_lo_u32 v6, s6, v3
	v_mul_hi_u32 v6, v3, v6
	v_add_u32_e32 v3, v3, v6
	v_mul_hi_u32 v3, v4, v3
	v_mul_lo_u32 v6, v3, s7
	v_sub_u32_e32 v4, v4, v6
	v_add_u32_e32 v6, 1, v3
	v_cmp_le_u32_e32 vcc, s7, v4
	v_cndmask_b32_e32 v3, v3, v6, vcc
	v_subrev_u32_e32 v6, s7, v4
	v_cndmask_b32_e32 v4, v4, v6, vcc
	v_add_u32_e32 v6, 1, v3
	v_cmp_le_u32_e32 vcc, s7, v4
	v_cndmask_b32_e32 v3, v3, v6, vcc
	v_xor_b32_e32 v3, v3, v5
	v_sub_u32_e32 v8, v3, v5
	v_cmp_gt_i32_e32 vcc, s2, v8
	s_and_saveexec_b64 s[6:7], vcc
	s_cbranch_execz .LBB82_44
; %bb.1:
	v_mul_lo_u32 v3, v8, s20
	v_sub_u32_e32 v3, v2, v3
	s_load_dwordx2 s[16:17], s[4:5], 0x0
	v_lshlrev_b32_e32 v18, 1, v3
	v_add_u32_e32 v3, 2, v18
	v_sub_u32_e32 v4, s0, v18
	v_cmp_lt_i32_e32 vcc, s0, v3
	v_and_b32_e32 v10, 31, v0
	v_cndmask_b32_e32 v19, 2, v4, vcc
	s_lshl_b32 s18, s3, 2
	s_mul_i32 s2, s18, s1
	v_lshlrev_b32_e32 v13, 10, v1
	v_cmp_lt_i32_e64 s[0:1], 0, v19
	v_lshlrev_b32_e32 v12, 4, v10
	v_lshlrev_b32_e32 v11, 9, v2
	s_and_saveexec_b64 s[6:7], s[0:1]
	s_cbranch_execz .LBB82_4
; %bb.2:
	s_add_i32 s8, s2, 0
	v_add3_u32 v4, s8, v13, v12
	s_add_i32 s8, s14, s13
	s_add_i32 s8, s8, s12
	s_lshl_b32 s9, s20, 1
	s_sub_i32 s8, s8, s9
	v_mul_lo_u32 v2, s8, v8
	v_lshl_add_u32 v2, v2, 8, v11
	s_mov_b32 s10, 0
	v_lshl_or_b32 v2, v10, 3, v2
	s_mov_b64 s[8:9], 0
	s_waitcnt lgkmcnt(0)
	v_mov_b32_e32 v5, s17
.LBB82_3:                               ; =>This Inner Loop Header: Depth=1
	v_ashrrev_i32_e32 v3, 31, v2
	v_lshlrev_b64 v[6:7], 1, v[2:3]
	v_add_co_u32_e32 v6, vcc, s16, v6
	v_addc_co_u32_e32 v7, vcc, v5, v7, vcc
	global_load_dwordx4 v[14:17], v[6:7], off
	s_add_i32 s10, s10, 1
	v_cmp_ge_i32_e32 vcc, s10, v19
	v_add_u32_e32 v2, 0x100, v2
	s_or_b64 s[8:9], vcc, s[8:9]
	s_waitcnt vmcnt(0)
	ds_write_b128 v4, v[14:17]
	v_add_u32_e32 v4, 0x200, v4
	s_andn2_b64 exec, exec, s[8:9]
	s_cbranch_execnz .LBB82_3
.LBB82_4:
	s_or_b64 exec, exec, s[6:7]
	s_add_i32 s18, s18, 15
	s_load_dwordx8 s[4:11], s[4:5], 0x18
	s_ashr_i32 s19, s18, 31
	s_lshr_b32 s19, s19, 28
	s_add_i32 s18, s18, s19
	s_ashr_i32 s21, s18, 4
	v_mul_lo_u32 v1, v1, s3
	v_cmp_gt_i32_e32 vcc, s21, v10
	v_lshlrev_b32_e32 v14, 2, v1
	s_and_saveexec_b64 s[18:19], vcc
	s_cbranch_execz .LBB82_7
; %bb.5:
	v_ashrrev_i32_e32 v9, 31, v8
	v_lshlrev_b64 v[2:3], 3, v[8:9]
	s_waitcnt lgkmcnt(0)
	v_mov_b32_e32 v1, s11
	v_add_co_u32_e32 v2, vcc, s10, v2
	v_addc_co_u32_e32 v3, vcc, v1, v3, vcc
	global_load_dwordx2 v[4:5], v[2:3], off
	s_ashr_i32 s22, s3, 31
	v_and_b32_e32 v0, 31, v0
	v_lshlrev_b32_e32 v6, 4, v0
	v_mov_b32_e32 v3, s9
	v_add3_u32 v2, v14, v12, 0
	s_mov_b64 s[10:11], 0
	s_waitcnt vmcnt(0)
	v_mul_lo_u32 v5, v5, s3
	v_mul_lo_u32 v7, v4, s22
	v_mad_u64_u32 v[0:1], s[22:23], v4, s3, 0
	v_add3_u32 v1, v1, v7, v5
	v_lshlrev_b64 v[0:1], 2, v[0:1]
	v_add_co_u32_e32 v0, vcc, v0, v6
	v_addc_co_u32_e32 v1, vcc, 0, v1, vcc
	v_add_co_u32_e32 v0, vcc, s8, v0
	v_addc_co_u32_e32 v1, vcc, v3, v1, vcc
	v_mov_b32_e32 v3, v10
.LBB82_6:                               ; =>This Inner Loop Header: Depth=1
	global_load_dwordx4 v[4:7], v[0:1], off
	v_add_co_u32_e32 v0, vcc, 0x200, v0
	v_add_u32_e32 v3, 32, v3
	v_addc_co_u32_e32 v1, vcc, 0, v1, vcc
	v_cmp_le_i32_e32 vcc, s21, v3
	s_or_b64 s[10:11], vcc, s[10:11]
	s_waitcnt vmcnt(0)
	ds_write_b128 v2, v[4:7]
	v_add_u32_e32 v2, 0x200, v2
	s_andn2_b64 exec, exec, s[10:11]
	s_cbranch_execnz .LBB82_6
.LBB82_7:
	s_or_b64 exec, exec, s[18:19]
	s_and_b64 exec, exec, s[0:1]
	s_cbranch_execz .LBB82_44
; %bb.8:
	s_waitcnt lgkmcnt(0)
	global_load_dwordx4 v[0:3], v12, s[4:5]
	global_load_dwordx4 v[4:7], v12, s[6:7]
	v_mbcnt_lo_u32_b32 v9, -1, 0
	v_add_u32_e32 v13, s2, v13
	v_mbcnt_hi_u32_b32 v9, -1, v9
	v_add3_u32 v20, 0, v14, v12
	v_add3_u32 v22, v13, v12, 0
	v_and_b32_e32 v12, 0x60, v9
	v_xor_b32_e32 v13, 16, v9
	v_add_u32_e32 v12, 32, v12
	v_xor_b32_e32 v14, 8, v9
	v_cmp_lt_i32_e32 vcc, v13, v12
	s_add_i32 s11, s14, s13
	v_xor_b32_e32 v15, 4, v9
	v_cndmask_b32_e32 v13, v9, v13, vcc
	v_cmp_lt_i32_e32 vcc, v14, v12
	s_lshr_b32 s0, s3, 31
	s_ashr_i32 s1, s3, 31
	s_lshl_b32 s13, s20, 1
	s_add_i32 s11, s11, s12
	v_xor_b32_e32 v16, 2, v9
	v_cndmask_b32_e32 v14, v9, v14, vcc
	v_cmp_lt_i32_e32 vcc, v15, v12
	s_add_i32 s0, s3, s0
	s_lshr_b32 s1, s1, 29
	v_xor_b32_e32 v17, 1, v9
	s_sub_i32 s2, s11, s13
	v_cndmask_b32_e32 v15, v9, v15, vcc
	v_cmp_lt_i32_e32 vcc, v16, v12
	s_lshl_b32 s0, s0, 1
	s_add_i32 s1, s3, s1
	v_mul_lo_u32 v8, s2, v8
	v_cndmask_b32_e32 v16, v9, v16, vcc
	v_cmp_lt_i32_e32 vcc, v17, v12
	s_and_b32 s0, s0, -4
	s_ashr_i32 s1, s1, 3
	v_cndmask_b32_e32 v9, v9, v17, vcc
	v_lshl_add_u32 v8, v8, 8, v11
	s_mov_b32 s6, 0
	s_mov_b64 s[4:5], 0
	v_mov_b32_e32 v21, s15
	s_mov_b32 s7, 0x800000
	s_mov_b32 s8, 0x7f800000
	s_movk_i32 s9, 0x7fff
	s_mov_b32 s10, 0x7060302
	v_cmp_gt_i32_e32 vcc, s1, v10
	v_add_u32_e32 v23, s0, v20
	v_lshlrev_b32_e32 v24, 2, v13
	v_lshlrev_b32_e32 v25, 2, v14
	;; [unrolled: 1-line block ×5, first 2 shown]
	v_lshl_or_b32 v8, v10, 3, v8
	v_mov_b32_e32 v37, 0
	s_waitcnt vmcnt(1)
	v_lshrrev_b32_e32 v29, 16, v0
	s_waitcnt vmcnt(0)
	v_lshrrev_b32_e32 v30, 16, v4
	v_lshrrev_b32_e32 v31, 16, v1
	;; [unrolled: 1-line block ×7, first 2 shown]
	s_branch .LBB82_10
.LBB82_9:                               ;   in Loop: Header=BB82_10 Depth=1
	s_or_b64 exec, exec, s[2:3]
	v_ashrrev_i32_e32 v9, 31, v8
	v_lshlrev_b64 v[40:41], 1, v[8:9]
	v_mov_b32_e32 v9, s17
	v_add_co_u32_e64 v40, s[0:1], s16, v40
	v_addc_co_u32_e64 v41, s[0:1], v9, v41, s[0:1]
	s_add_i32 s6, s6, 1
	v_cmp_ge_i32_e64 s[0:1], s6, v19
	v_perm_b32 v13, v10, v13, s10
	v_perm_b32 v12, v12, v15, s10
	;; [unrolled: 1-line block ×4, first 2 shown]
	v_add_u32_e32 v8, 0x100, v8
	s_or_b64 s[4:5], s[0:1], s[4:5]
	v_add_u32_e32 v22, 0x200, v22
	global_store_dwordx4 v[40:41], v[10:13], off
	s_andn2_b64 exec, exec, s[4:5]
	s_cbranch_execz .LBB82_44
.LBB82_10:                              ; =>This Inner Loop Header: Depth=1
	ds_read_b128 v[10:13], v22
	s_waitcnt lgkmcnt(0)
	v_and_b32_e32 v15, 0xffff0000, v10
	v_lshlrev_b32_e32 v14, 16, v10
	v_pk_mul_f32 v[40:41], v[14:15], v[14:15]
	v_and_b32_e32 v43, 0xffff0000, v11
	v_lshlrev_b32_e32 v42, 16, v11
	v_pk_mul_f32 v[10:11], v[42:43], v[42:43]
	v_add_f32_e32 v9, v40, v41
	v_and_b32_e32 v39, 0xffff0000, v13
	v_lshlrev_b32_e32 v38, 16, v13
	v_and_b32_e32 v13, 0xffff0000, v12
	v_lshlrev_b32_e32 v12, 16, v12
	v_add_f32_e32 v9, v9, v10
	v_pk_mul_f32 v[44:45], v[12:13], v[12:13]
	v_add_f32_e32 v9, v9, v11
	v_add_f32_e32 v9, v9, v44
	v_pk_mul_f32 v[16:17], v[38:39], v[38:39]
	v_add_f32_e32 v9, v9, v45
	v_add_f32_e32 v9, v9, v16
	;; [unrolled: 1-line block ×3, first 2 shown]
	ds_bpermute_b32 v10, v24, v9
	v_mov_b32_e32 v16, v21
	v_add_u32_e32 v11, s6, v18
	v_cmp_gt_i32_e64 s[0:1], s12, v11
	v_cndmask_b32_e64 v11, v30, v29, s[0:1]
	s_waitcnt lgkmcnt(0)
	v_add_f32_e32 v9, v9, v10
	ds_bpermute_b32 v10, v25, v9
	v_cndmask_b32_e64 v17, v4, v0, s[0:1]
	v_lshlrev_b32_e32 v11, 16, v11
	v_cndmask_b32_e64 v40, v32, v31, s[0:1]
	v_cndmask_b32_e64 v41, v5, v1, s[0:1]
	s_waitcnt lgkmcnt(0)
	v_add_f32_e32 v9, v9, v10
	ds_bpermute_b32 v10, v26, v9
	v_cndmask_b32_e64 v45, v34, v33, s[0:1]
	v_cndmask_b32_e64 v46, v6, v2, s[0:1]
	s_waitcnt lgkmcnt(0)
	v_add_f32_e32 v9, v9, v10
	ds_bpermute_b32 v10, v27, v9
	s_waitcnt lgkmcnt(0)
	v_add_f32_e32 v9, v9, v10
	ds_bpermute_b32 v44, v28, v9
	v_lshlrev_b32_e32 v10, 16, v17
	v_lshlrev_b32_e32 v17, 16, v40
	;; [unrolled: 1-line block ×3, first 2 shown]
	s_waitcnt lgkmcnt(0)
	v_add_f32_e32 v9, v9, v44
	v_fmac_f32_e32 v16, 0x3b800000, v9
	v_mul_f32_e32 v9, 0x4b800000, v16
	v_cmp_gt_f32_e64 s[2:3], s7, v16
	v_cndmask_b32_e64 v9, v16, v9, s[2:3]
	v_rsq_f32_e32 v9, v9
	v_lshlrev_b32_e32 v16, 16, v41
	v_lshlrev_b32_e32 v41, 16, v45
	v_mul_f32_e32 v44, 0x45800000, v9
	v_cndmask_b32_e64 v44, v9, v44, s[2:3]
	v_pk_mul_f32 v[10:11], v[44:45], v[10:11] op_sel_hi:[0,1]
	v_pk_mul_f32 v[46:47], v[44:45], v[16:17] op_sel_hi:[0,1]
	v_pk_mul_f32 v[16:17], v[10:11], v[14:15]
	v_pk_mul_f32 v[10:11], v[44:45], v[40:41] op_sel_hi:[0,1]
	v_pk_mul_f32 v[12:13], v[10:11], v[12:13]
	v_cndmask_b32_e64 v9, v36, v35, s[0:1]
	v_cndmask_b32_e64 v10, v7, v3, s[0:1]
	v_lshlrev_b32_e32 v11, 16, v9
	v_lshlrev_b32_e32 v10, 16, v10
	v_pk_mul_f32 v[10:11], v[44:45], v[10:11] op_sel_hi:[0,1]
	v_pk_mul_f32 v[14:15], v[46:47], v[42:43]
	v_pk_mul_f32 v[10:11], v[10:11], v[38:39]
	s_and_saveexec_b64 s[0:1], vcc
	s_cbranch_execz .LBB82_12
; %bb.11:                               ;   in Loop: Header=BB82_10 Depth=1
	ds_read2_b32 v[38:39], v23 offset1:1
	ds_read2_b32 v[40:41], v20 offset1:1
	ds_read2_b32 v[42:43], v23 offset0:2 offset1:3
	ds_read2_b32 v[44:45], v20 offset0:2 offset1:3
	s_waitcnt lgkmcnt(3)
	v_pk_mul_f32 v[46:47], v[16:17], v[38:39] op_sel_hi:[1,0]
	v_pk_mul_f32 v[38:39], v[14:15], v[38:39] op_sel:[0,1]
	s_waitcnt lgkmcnt(2)
	v_pk_fma_f32 v[50:51], v[14:15], v[40:41], v[38:39] op_sel:[0,1,1] op_sel_hi:[1,1,0] neg_lo:[0,0,1] neg_hi:[0,0,1]
	v_pk_fma_f32 v[14:15], v[14:15], v[40:41], v[38:39] op_sel:[0,1,1] op_sel_hi:[1,1,0]
	s_waitcnt lgkmcnt(1)
	v_pk_mul_f32 v[38:39], v[12:13], v[42:43] op_sel_hi:[1,0]
	v_pk_mul_f32 v[48:49], v[16:17], v[40:41] op_sel_hi:[1,0]
	v_pk_fma_f32 v[16:17], v[16:17], v[40:41], v[46:47] op_sel:[0,0,1] op_sel_hi:[1,0,0]
	s_waitcnt lgkmcnt(0)
	v_pk_fma_f32 v[40:41], v[12:13], v[44:45], v[38:39] op_sel:[0,0,1] op_sel_hi:[1,0,0] neg_lo:[0,0,1] neg_hi:[0,0,1]
	v_pk_fma_f32 v[12:13], v[12:13], v[44:45], v[38:39] op_sel:[0,0,1] op_sel_hi:[1,0,0]
	v_mov_b32_e32 v44, v43
	v_pk_mul_f32 v[38:39], v[10:11], v[44:45]
	v_mul_f32_e32 v9, v11, v43
	v_mov_b32_e32 v12, v39
	v_fma_f32 v9, v10, v45, -v9
	v_pk_fma_f32 v[38:39], v[10:11], v[44:45], v[12:13]
	v_sub_f32_e32 v16, v48, v47
	v_mov_b32_e32 v14, v50
	v_mov_b32_e32 v12, v40
	;; [unrolled: 1-line block ×4, first 2 shown]
.LBB82_12:                              ;   in Loop: Header=BB82_10 Depth=1
	s_or_b64 exec, exec, s[0:1]
	v_and_b32_e32 v9, 0x7f800000, v16
	v_cmp_ne_u32_e64 s[0:1], s8, v9
                                        ; implicit-def: $vgpr38
	s_and_saveexec_b64 s[2:3], s[0:1]
	s_xor_b64 s[0:1], exec, s[2:3]
; %bb.13:                               ;   in Loop: Header=BB82_10 Depth=1
	v_bfe_u32 v9, v16, 16, 1
	v_add3_u32 v38, v16, v9, s9
; %bb.14:                               ;   in Loop: Header=BB82_10 Depth=1
	s_andn2_saveexec_b64 s[2:3], s[0:1]
; %bb.15:                               ;   in Loop: Header=BB82_10 Depth=1
	v_or_b32_e32 v9, 0x10000, v16
	v_cmp_eq_u32_sdwa s[0:1], v16, v37 src0_sel:WORD_0 src1_sel:DWORD
	v_cndmask_b32_e64 v38, v9, v16, s[0:1]
; %bb.16:                               ;   in Loop: Header=BB82_10 Depth=1
	s_or_b64 exec, exec, s[2:3]
	v_and_b32_e32 v9, 0x7f800000, v17
	v_cmp_ne_u32_e64 s[0:1], s8, v9
                                        ; implicit-def: $vgpr16
	s_and_saveexec_b64 s[2:3], s[0:1]
	s_xor_b64 s[0:1], exec, s[2:3]
; %bb.17:                               ;   in Loop: Header=BB82_10 Depth=1
	v_bfe_u32 v9, v17, 16, 1
	v_add3_u32 v16, v17, v9, s9
                                        ; implicit-def: $vgpr17
; %bb.18:                               ;   in Loop: Header=BB82_10 Depth=1
	s_andn2_saveexec_b64 s[2:3], s[0:1]
; %bb.19:                               ;   in Loop: Header=BB82_10 Depth=1
	v_or_b32_e32 v9, 0x10000, v17
	v_cmp_eq_u32_sdwa s[0:1], v17, v37 src0_sel:WORD_0 src1_sel:DWORD
	v_cndmask_b32_e64 v16, v9, v17, s[0:1]
; %bb.20:                               ;   in Loop: Header=BB82_10 Depth=1
	s_or_b64 exec, exec, s[2:3]
	v_and_b32_e32 v9, 0x7f800000, v14
	v_cmp_ne_u32_e64 s[0:1], s8, v9
                                        ; implicit-def: $vgpr17
	s_and_saveexec_b64 s[2:3], s[0:1]
	s_xor_b64 s[0:1], exec, s[2:3]
; %bb.21:                               ;   in Loop: Header=BB82_10 Depth=1
	v_bfe_u32 v9, v14, 16, 1
	v_add3_u32 v17, v14, v9, s9
; %bb.22:                               ;   in Loop: Header=BB82_10 Depth=1
	s_andn2_saveexec_b64 s[2:3], s[0:1]
; %bb.23:                               ;   in Loop: Header=BB82_10 Depth=1
	v_or_b32_e32 v9, 0x10000, v14
	v_cmp_eq_u32_sdwa s[0:1], v14, v37 src0_sel:WORD_0 src1_sel:DWORD
	v_cndmask_b32_e64 v17, v9, v14, s[0:1]
; %bb.24:                               ;   in Loop: Header=BB82_10 Depth=1
	s_or_b64 exec, exec, s[2:3]
	v_and_b32_e32 v9, 0x7f800000, v15
	v_cmp_ne_u32_e64 s[0:1], s8, v9
                                        ; implicit-def: $vgpr14
	s_and_saveexec_b64 s[2:3], s[0:1]
	s_xor_b64 s[0:1], exec, s[2:3]
; %bb.25:                               ;   in Loop: Header=BB82_10 Depth=1
	v_bfe_u32 v9, v15, 16, 1
	v_add3_u32 v14, v15, v9, s9
                                        ; implicit-def: $vgpr15
; %bb.26:                               ;   in Loop: Header=BB82_10 Depth=1
	s_andn2_saveexec_b64 s[2:3], s[0:1]
; %bb.27:                               ;   in Loop: Header=BB82_10 Depth=1
	v_or_b32_e32 v9, 0x10000, v15
	v_cmp_eq_u32_sdwa s[0:1], v15, v37 src0_sel:WORD_0 src1_sel:DWORD
	v_cndmask_b32_e64 v14, v9, v15, s[0:1]
; %bb.28:                               ;   in Loop: Header=BB82_10 Depth=1
	s_or_b64 exec, exec, s[2:3]
	v_and_b32_e32 v9, 0x7f800000, v12
	v_cmp_ne_u32_e64 s[0:1], s8, v9
                                        ; implicit-def: $vgpr15
	s_and_saveexec_b64 s[2:3], s[0:1]
	s_xor_b64 s[0:1], exec, s[2:3]
; %bb.29:                               ;   in Loop: Header=BB82_10 Depth=1
	v_bfe_u32 v9, v12, 16, 1
	v_add3_u32 v15, v12, v9, s9
; %bb.30:                               ;   in Loop: Header=BB82_10 Depth=1
	s_andn2_saveexec_b64 s[2:3], s[0:1]
; %bb.31:                               ;   in Loop: Header=BB82_10 Depth=1
	v_or_b32_e32 v9, 0x10000, v12
	v_cmp_eq_u32_sdwa s[0:1], v12, v37 src0_sel:WORD_0 src1_sel:DWORD
	v_cndmask_b32_e64 v15, v9, v12, s[0:1]
; %bb.32:                               ;   in Loop: Header=BB82_10 Depth=1
	s_or_b64 exec, exec, s[2:3]
	v_and_b32_e32 v9, 0x7f800000, v13
	v_cmp_ne_u32_e64 s[0:1], s8, v9
                                        ; implicit-def: $vgpr12
	s_and_saveexec_b64 s[2:3], s[0:1]
	s_xor_b64 s[0:1], exec, s[2:3]
; %bb.33:                               ;   in Loop: Header=BB82_10 Depth=1
	v_bfe_u32 v9, v13, 16, 1
	v_add3_u32 v12, v13, v9, s9
                                        ; implicit-def: $vgpr13
; %bb.34:                               ;   in Loop: Header=BB82_10 Depth=1
	s_andn2_saveexec_b64 s[2:3], s[0:1]
; %bb.35:                               ;   in Loop: Header=BB82_10 Depth=1
	v_or_b32_e32 v9, 0x10000, v13
	v_cmp_eq_u32_sdwa s[0:1], v13, v37 src0_sel:WORD_0 src1_sel:DWORD
	v_cndmask_b32_e64 v12, v9, v13, s[0:1]
; %bb.36:                               ;   in Loop: Header=BB82_10 Depth=1
	s_or_b64 exec, exec, s[2:3]
	v_and_b32_e32 v9, 0x7f800000, v10
	v_cmp_ne_u32_e64 s[0:1], s8, v9
                                        ; implicit-def: $vgpr13
	s_and_saveexec_b64 s[2:3], s[0:1]
	s_xor_b64 s[0:1], exec, s[2:3]
; %bb.37:                               ;   in Loop: Header=BB82_10 Depth=1
	v_bfe_u32 v9, v10, 16, 1
	v_add3_u32 v13, v10, v9, s9
; %bb.38:                               ;   in Loop: Header=BB82_10 Depth=1
	s_andn2_saveexec_b64 s[2:3], s[0:1]
; %bb.39:                               ;   in Loop: Header=BB82_10 Depth=1
	v_or_b32_e32 v9, 0x10000, v10
	v_cmp_eq_u32_sdwa s[0:1], v10, v37 src0_sel:WORD_0 src1_sel:DWORD
	v_cndmask_b32_e64 v13, v9, v10, s[0:1]
; %bb.40:                               ;   in Loop: Header=BB82_10 Depth=1
	s_or_b64 exec, exec, s[2:3]
	v_and_b32_e32 v9, 0x7f800000, v11
	v_cmp_ne_u32_e64 s[0:1], s8, v9
                                        ; implicit-def: $vgpr10
	s_and_saveexec_b64 s[2:3], s[0:1]
	s_xor_b64 s[0:1], exec, s[2:3]
; %bb.41:                               ;   in Loop: Header=BB82_10 Depth=1
	v_bfe_u32 v9, v11, 16, 1
	v_add3_u32 v10, v11, v9, s9
                                        ; implicit-def: $vgpr11
; %bb.42:                               ;   in Loop: Header=BB82_10 Depth=1
	s_andn2_saveexec_b64 s[2:3], s[0:1]
	s_cbranch_execz .LBB82_9
; %bb.43:                               ;   in Loop: Header=BB82_10 Depth=1
	v_or_b32_e32 v9, 0x10000, v11
	v_cmp_eq_u32_sdwa s[0:1], v11, v37 src0_sel:WORD_0 src1_sel:DWORD
	v_cndmask_b32_e64 v10, v9, v11, s[0:1]
	s_branch .LBB82_9
.LBB82_44:
	s_endpgm
	.section	.rodata,"a",@progbits
	.p2align	6, 0x0
	.amdhsa_kernel _ZN12tensorrt_llm7kernels32fusedQKNormRopeKernelNTokenHeadsIN3c108BFloat16EfLi256ELb1ELi2EEEvPviiifPKvS6_S6_PKlii
		.amdhsa_group_segment_fixed_size 0
		.amdhsa_private_segment_fixed_size 0
		.amdhsa_kernarg_size 320
		.amdhsa_user_sgpr_count 6
		.amdhsa_user_sgpr_private_segment_buffer 1
		.amdhsa_user_sgpr_dispatch_ptr 0
		.amdhsa_user_sgpr_queue_ptr 0
		.amdhsa_user_sgpr_kernarg_segment_ptr 1
		.amdhsa_user_sgpr_dispatch_id 0
		.amdhsa_user_sgpr_flat_scratch_init 0
		.amdhsa_user_sgpr_kernarg_preload_length 0
		.amdhsa_user_sgpr_kernarg_preload_offset 0
		.amdhsa_user_sgpr_private_segment_size 0
		.amdhsa_uses_dynamic_stack 0
		.amdhsa_system_sgpr_private_segment_wavefront_offset 0
		.amdhsa_system_sgpr_workgroup_id_x 1
		.amdhsa_system_sgpr_workgroup_id_y 0
		.amdhsa_system_sgpr_workgroup_id_z 0
		.amdhsa_system_sgpr_workgroup_info 0
		.amdhsa_system_vgpr_workitem_id 0
		.amdhsa_next_free_vgpr 52
		.amdhsa_next_free_sgpr 24
		.amdhsa_accum_offset 52
		.amdhsa_reserve_vcc 1
		.amdhsa_reserve_flat_scratch 0
		.amdhsa_float_round_mode_32 0
		.amdhsa_float_round_mode_16_64 0
		.amdhsa_float_denorm_mode_32 3
		.amdhsa_float_denorm_mode_16_64 3
		.amdhsa_dx10_clamp 1
		.amdhsa_ieee_mode 1
		.amdhsa_fp16_overflow 0
		.amdhsa_tg_split 0
		.amdhsa_exception_fp_ieee_invalid_op 0
		.amdhsa_exception_fp_denorm_src 0
		.amdhsa_exception_fp_ieee_div_zero 0
		.amdhsa_exception_fp_ieee_overflow 0
		.amdhsa_exception_fp_ieee_underflow 0
		.amdhsa_exception_fp_ieee_inexact 0
		.amdhsa_exception_int_div_zero 0
	.end_amdhsa_kernel
	.section	.text._ZN12tensorrt_llm7kernels32fusedQKNormRopeKernelNTokenHeadsIN3c108BFloat16EfLi256ELb1ELi2EEEvPviiifPKvS6_S6_PKlii,"axG",@progbits,_ZN12tensorrt_llm7kernels32fusedQKNormRopeKernelNTokenHeadsIN3c108BFloat16EfLi256ELb1ELi2EEEvPviiifPKvS6_S6_PKlii,comdat
.Lfunc_end82:
	.size	_ZN12tensorrt_llm7kernels32fusedQKNormRopeKernelNTokenHeadsIN3c108BFloat16EfLi256ELb1ELi2EEEvPviiifPKvS6_S6_PKlii, .Lfunc_end82-_ZN12tensorrt_llm7kernels32fusedQKNormRopeKernelNTokenHeadsIN3c108BFloat16EfLi256ELb1ELi2EEEvPviiifPKvS6_S6_PKlii
                                        ; -- End function
	.section	.AMDGPU.csdata,"",@progbits
; Kernel info:
; codeLenInByte = 2316
; NumSgprs: 28
; NumVgprs: 52
; NumAgprs: 0
; TotalNumVgprs: 52
; ScratchSize: 0
; MemoryBound: 0
; FloatMode: 240
; IeeeMode: 1
; LDSByteSize: 0 bytes/workgroup (compile time only)
; SGPRBlocks: 3
; VGPRBlocks: 6
; NumSGPRsForWavesPerEU: 28
; NumVGPRsForWavesPerEU: 52
; AccumOffset: 52
; Occupancy: 8
; WaveLimiterHint : 0
; COMPUTE_PGM_RSRC2:SCRATCH_EN: 0
; COMPUTE_PGM_RSRC2:USER_SGPR: 6
; COMPUTE_PGM_RSRC2:TRAP_HANDLER: 0
; COMPUTE_PGM_RSRC2:TGID_X_EN: 1
; COMPUTE_PGM_RSRC2:TGID_Y_EN: 0
; COMPUTE_PGM_RSRC2:TGID_Z_EN: 0
; COMPUTE_PGM_RSRC2:TIDIG_COMP_CNT: 0
; COMPUTE_PGM_RSRC3_GFX90A:ACCUM_OFFSET: 12
; COMPUTE_PGM_RSRC3_GFX90A:TG_SPLIT: 0
	.section	.text._ZN12tensorrt_llm7kernels32fusedQKNormRopeKernelNTokenHeadsIN3c108BFloat16EfLi256ELb0ELi2EEEvPviiifPKvS6_S6_PKlii,"axG",@progbits,_ZN12tensorrt_llm7kernels32fusedQKNormRopeKernelNTokenHeadsIN3c108BFloat16EfLi256ELb0ELi2EEEvPviiifPKvS6_S6_PKlii,comdat
	.protected	_ZN12tensorrt_llm7kernels32fusedQKNormRopeKernelNTokenHeadsIN3c108BFloat16EfLi256ELb0ELi2EEEvPviiifPKvS6_S6_PKlii ; -- Begin function _ZN12tensorrt_llm7kernels32fusedQKNormRopeKernelNTokenHeadsIN3c108BFloat16EfLi256ELb0ELi2EEEvPviiifPKvS6_S6_PKlii
	.globl	_ZN12tensorrt_llm7kernels32fusedQKNormRopeKernelNTokenHeadsIN3c108BFloat16EfLi256ELb0ELi2EEEvPviiifPKvS6_S6_PKlii
	.p2align	8
	.type	_ZN12tensorrt_llm7kernels32fusedQKNormRopeKernelNTokenHeadsIN3c108BFloat16EfLi256ELb0ELi2EEEvPviiifPKvS6_S6_PKlii,@function
_ZN12tensorrt_llm7kernels32fusedQKNormRopeKernelNTokenHeadsIN3c108BFloat16EfLi256ELb0ELi2EEEvPviiifPKvS6_S6_PKlii: ; @_ZN12tensorrt_llm7kernels32fusedQKNormRopeKernelNTokenHeadsIN3c108BFloat16EfLi256ELb0ELi2EEEvPviiifPKvS6_S6_PKlii
; %bb.0:
	s_load_dwordx4 s[12:15], s[4:5], 0x8
	s_load_dwordx2 s[2:3], s[4:5], 0x38
	s_load_dword s1, s[4:5], 0x4c
	v_lshrrev_b32_e32 v1, 5, v0
	s_waitcnt lgkmcnt(0)
	s_add_i32 s0, s13, s12
	s_add_i32 s7, s0, 1
	s_lshr_b32 s8, s7, 31
	s_add_i32 s7, s7, s8
	s_ashr_i32 s20, s7, 1
	s_abs_i32 s7, s20
	v_cvt_f32_u32_e32 v2, s7
	s_bfe_u32 s1, s1, 0xb0005
	s_mul_i32 s6, s6, s1
	v_add_u32_e32 v3, s6, v1
	v_rcp_iflag_f32_e32 v2, v2
	s_sub_i32 s6, 0, s7
	v_sub_u32_e32 v4, 0, v3
	v_max_i32_e32 v4, v3, v4
	v_mul_f32_e32 v2, 0x4f7ffffe, v2
	v_cvt_u32_f32_e32 v2, v2
	v_xor_b32_e32 v5, s20, v3
	v_ashrrev_i32_e32 v5, 31, v5
	v_mul_lo_u32 v6, s6, v2
	v_mul_hi_u32 v6, v2, v6
	v_add_u32_e32 v2, v2, v6
	v_mul_hi_u32 v2, v4, v2
	v_mul_lo_u32 v6, v2, s7
	v_sub_u32_e32 v4, v4, v6
	v_add_u32_e32 v6, 1, v2
	v_cmp_le_u32_e32 vcc, s7, v4
	v_cndmask_b32_e32 v2, v2, v6, vcc
	v_subrev_u32_e32 v6, s7, v4
	v_cndmask_b32_e32 v4, v4, v6, vcc
	v_add_u32_e32 v6, 1, v2
	v_cmp_le_u32_e32 vcc, s7, v4
	v_cndmask_b32_e32 v2, v2, v6, vcc
	v_xor_b32_e32 v2, v2, v5
	v_sub_u32_e32 v2, v2, v5
	v_cmp_gt_i32_e32 vcc, s2, v2
	s_and_saveexec_b64 s[6:7], vcc
	s_cbranch_execz .LBB83_44
; %bb.1:
	v_mul_lo_u32 v4, v2, s20
	v_sub_u32_e32 v4, v3, v4
	s_load_dwordx2 s[16:17], s[4:5], 0x0
	v_lshlrev_b32_e32 v18, 1, v4
	v_add_u32_e32 v4, 2, v18
	v_sub_u32_e32 v5, s0, v18
	v_cmp_lt_i32_e32 vcc, s0, v4
	v_and_b32_e32 v6, 31, v0
	v_cndmask_b32_e32 v19, 2, v5, vcc
	s_lshl_b32 s2, s3, 2
	s_mul_i32 s21, s2, s1
	v_lshlrev_b32_e32 v7, 10, v1
	v_cmp_lt_i32_e64 s[0:1], 0, v19
	v_lshlrev_b32_e32 v17, 4, v6
	v_lshlrev_b32_e32 v16, 9, v3
	s_and_saveexec_b64 s[6:7], s[0:1]
	s_cbranch_execz .LBB83_4
; %bb.2:
	s_add_i32 s8, s21, 0
	v_add3_u32 v3, s8, v7, v17
	s_add_i32 s8, s14, s13
	s_add_i32 s8, s8, s12
	s_lshl_b32 s9, s20, 1
	s_sub_i32 s8, s8, s9
	v_mul_lo_u32 v4, s8, v2
	v_lshl_add_u32 v4, v4, 8, v16
	s_mov_b32 s10, 0
	v_lshl_or_b32 v4, v6, 3, v4
	s_mov_b64 s[8:9], 0
	s_waitcnt lgkmcnt(0)
	v_mov_b32_e32 v8, s17
.LBB83_3:                               ; =>This Inner Loop Header: Depth=1
	v_ashrrev_i32_e32 v5, 31, v4
	v_lshlrev_b64 v[10:11], 1, v[4:5]
	v_add_co_u32_e32 v10, vcc, s16, v10
	v_addc_co_u32_e32 v11, vcc, v8, v11, vcc
	global_load_dwordx4 v[10:13], v[10:11], off
	s_add_i32 s10, s10, 1
	v_cmp_ge_i32_e32 vcc, s10, v19
	v_add_u32_e32 v4, 0x100, v4
	s_or_b64 s[8:9], vcc, s[8:9]
	s_waitcnt vmcnt(0)
	ds_write_b128 v3, v[10:13]
	v_add_u32_e32 v3, 0x200, v3
	s_andn2_b64 exec, exec, s[8:9]
	s_cbranch_execnz .LBB83_3
.LBB83_4:
	s_or_b64 exec, exec, s[6:7]
	s_add_i32 s2, s2, 15
	s_load_dwordx8 s[4:11], s[4:5], 0x18
	s_ashr_i32 s18, s2, 31
	s_lshr_b32 s18, s18, 28
	s_add_i32 s2, s2, s18
	s_ashr_i32 s2, s2, 4
	v_cmp_gt_i32_e32 vcc, s2, v6
	v_mul_lo_u32 v4, v1, s3
	s_and_saveexec_b64 s[18:19], vcc
	s_cbranch_execz .LBB83_7
; %bb.5:
	v_ashrrev_i32_e32 v3, 31, v2
	v_lshlrev_b64 v[8:9], 3, v[2:3]
	s_waitcnt lgkmcnt(0)
	v_mov_b32_e32 v1, s11
	v_add_co_u32_e32 v8, vcc, s10, v8
	v_addc_co_u32_e32 v9, vcc, v1, v9, vcc
	global_load_dwordx2 v[8:9], v[8:9], off
	s_ashr_i32 s22, s3, 31
	v_lshlrev_b32_e32 v1, 2, v4
	v_and_b32_e32 v0, 31, v0
	v_add3_u32 v3, v1, v17, 0
	v_lshlrev_b32_e32 v10, 4, v0
	v_mov_b32_e32 v5, s9
	s_mov_b64 s[10:11], 0
	s_waitcnt vmcnt(0)
	v_mul_lo_u32 v9, v9, s3
	v_mul_lo_u32 v11, v8, s22
	v_mad_u64_u32 v[0:1], s[22:23], v8, s3, 0
	v_add3_u32 v1, v1, v11, v9
	v_lshlrev_b64 v[0:1], 2, v[0:1]
	v_add_co_u32_e32 v0, vcc, v0, v10
	v_addc_co_u32_e32 v1, vcc, 0, v1, vcc
	v_add_co_u32_e32 v0, vcc, s8, v0
	v_addc_co_u32_e32 v1, vcc, v5, v1, vcc
	v_mov_b32_e32 v5, v6
.LBB83_6:                               ; =>This Inner Loop Header: Depth=1
	global_load_dwordx4 v[8:11], v[0:1], off
	v_add_co_u32_e32 v0, vcc, 0x200, v0
	v_add_u32_e32 v5, 32, v5
	v_addc_co_u32_e32 v1, vcc, 0, v1, vcc
	v_cmp_le_i32_e32 vcc, s2, v5
	s_or_b64 s[10:11], vcc, s[10:11]
	s_waitcnt vmcnt(0)
	ds_write_b128 v3, v[8:11]
	v_add_u32_e32 v3, 0x200, v3
	s_andn2_b64 exec, exec, s[10:11]
	s_cbranch_execnz .LBB83_6
.LBB83_7:
	s_or_b64 exec, exec, s[18:19]
	s_and_b64 exec, exec, s[0:1]
	s_cbranch_execz .LBB83_44
; %bb.8:
	s_waitcnt lgkmcnt(0)
	global_load_dwordx4 v[8:11], v17, s[4:5]
	global_load_dwordx4 v[12:15], v17, s[6:7]
	v_mbcnt_lo_u32_b32 v1, -1, 0
	s_abs_i32 s4, s3
	v_mbcnt_hi_u32_b32 v1, -1, v1
	v_cvt_f32_u32_e32 v22, s4
	v_and_b32_e32 v20, 0x60, v1
	v_xor_b32_e32 v21, 16, v1
	v_add_u32_e32 v20, 32, v20
	v_xor_b32_e32 v23, 8, v1
	v_cmp_lt_i32_e32 vcc, v21, v20
	v_xor_b32_e32 v24, 4, v1
	v_cndmask_b32_e32 v21, v1, v21, vcc
	v_cmp_lt_i32_e32 vcc, v23, v20
	v_rcp_iflag_f32_e32 v29, v22
	v_xor_b32_e32 v25, 2, v1
	v_cndmask_b32_e32 v23, v1, v23, vcc
	v_cmp_lt_i32_e32 vcc, v24, v20
	s_ashr_i32 s1, s3, 31
	v_xor_b32_e32 v26, 1, v1
	v_cndmask_b32_e32 v24, v1, v24, vcc
	v_cmp_lt_i32_e32 vcc, v25, v20
	s_lshr_b32 s2, s1, 29
	s_lshr_b32 s1, s1, 28
	v_cndmask_b32_e32 v25, v1, v25, vcc
	v_cmp_lt_i32_e32 vcc, v26, v20
	s_add_i32 s1, s3, s1
	v_cndmask_b32_e32 v26, v1, v26, vcc
	v_lshlrev_b32_e32 v20, 2, v21
	v_lshlrev_b32_e32 v21, 2, v23
	;; [unrolled: 1-line block ×3, first 2 shown]
	v_mul_f32_e32 v25, 0x4f7ffffe, v29
	s_add_i32 s2, s3, s2
	v_and_b32_e32 v27, 64, v1
	s_ashr_i32 s1, s1, 4
	v_lshlrev_b32_e32 v22, 2, v24
	v_lshlrev_b32_e32 v24, 2, v26
	v_cvt_u32_f32_e32 v26, v25
	s_lshr_b32 s0, s3, 31
	s_ashr_i32 s2, s2, 3
	v_add_u32_e32 v27, 64, v27
	v_xor_b32_e32 v28, s1, v1
	s_add_i32 s0, s3, s0
	v_cmp_gt_i32_e32 vcc, s2, v6
	v_cmp_lt_i32_e64 s[2:3], v28, v27
	s_sub_i32 s5, 0, s4
	v_cndmask_b32_e64 v1, v1, v28, s[2:3]
	v_lshlrev_b32_e32 v25, 2, v1
	v_mul_lo_u32 v1, s5, v26
	v_mul_hi_u32 v1, v26, v1
	v_add_u32_e32 v1, v26, v1
	v_mul_hi_u32 v26, v17, v1
	v_mul_lo_u32 v26, v26, s4
	v_or_b32_e32 v3, 2, v17
	v_sub_u32_e32 v26, v17, v26
	v_subrev_u32_e32 v27, s4, v26
	v_cmp_le_u32_e64 s[2:3], s4, v26
	v_mul_hi_u32 v36, v3, v1
	v_cndmask_b32_e64 v26, v26, v27, s[2:3]
	v_mul_lo_u32 v36, v36, s4
	v_subrev_u32_e32 v27, s4, v26
	v_cmp_le_u32_e64 s[2:3], s4, v26
	v_sub_u32_e32 v3, v3, v36
	v_cndmask_b32_e64 v34, v26, v27, s[2:3]
	v_subrev_u32_e32 v36, s4, v3
	v_cmp_le_u32_e64 s[2:3], s4, v3
	v_cndmask_b32_e64 v3, v3, v36, s[2:3]
	v_subrev_u32_e32 v36, s4, v3
	v_cmp_le_u32_e64 s[2:3], s4, v3
	s_lshl_b32 s0, s0, 1
	v_cndmask_b32_e64 v3, v3, v36, s[2:3]
	v_lshl_add_u32 v0, v4, 2, 0
	s_and_b32 s0, s0, -4
	v_lshlrev_b32_e32 v3, 1, v3
	v_or_b32_e32 v4, 4, v17
	v_add_u32_e32 v49, s0, v0
	v_and_b32_e32 v3, -4, v3
	v_add_u32_e32 v36, v0, v3
	v_add_u32_e32 v37, v49, v3
	v_mul_hi_u32 v3, v4, v1
	v_mul_lo_u32 v3, v3, s4
	v_sub_u32_e32 v3, v4, v3
	v_subrev_u32_e32 v4, s4, v3
	v_cmp_le_u32_e64 s[2:3], s4, v3
	v_cndmask_b32_e64 v3, v3, v4, s[2:3]
	v_subrev_u32_e32 v4, s4, v3
	v_cmp_le_u32_e64 s[2:3], s4, v3
	v_cndmask_b32_e64 v3, v3, v4, s[2:3]
	v_lshlrev_b32_e32 v3, 1, v3
	v_or_b32_e32 v5, 6, v17
	v_and_b32_e32 v3, -4, v3
	v_add_u32_e32 v38, v0, v3
	v_add_u32_e32 v39, v49, v3
	v_mul_hi_u32 v3, v5, v1
	v_mul_lo_u32 v3, v3, s4
	v_sub_u32_e32 v3, v5, v3
	v_subrev_u32_e32 v4, s4, v3
	v_cmp_le_u32_e64 s[2:3], s4, v3
	v_cndmask_b32_e64 v3, v3, v4, s[2:3]
	v_subrev_u32_e32 v4, s4, v3
	v_cmp_le_u32_e64 s[2:3], s4, v3
	v_cndmask_b32_e64 v3, v3, v4, s[2:3]
	v_lshlrev_b32_e32 v3, 1, v3
	v_or_b32_e32 v42, 8, v17
	;; [unrolled: 14-line block ×4, first 2 shown]
	v_and_b32_e32 v3, -4, v3
	v_add_u32_e32 v44, v0, v3
	v_add_u32_e32 v45, v49, v3
	v_mul_hi_u32 v3, v46, v1
	v_mul_lo_u32 v3, v3, s4
	v_sub_u32_e32 v3, v46, v3
	v_subrev_u32_e32 v4, s4, v3
	v_cmp_le_u32_e64 s[2:3], s4, v3
	v_cndmask_b32_e64 v3, v3, v4, s[2:3]
	v_or_b32_e32 v48, 14, v17
	v_subrev_u32_e32 v4, s4, v3
	v_cmp_le_u32_e64 s[2:3], s4, v3
	v_cndmask_b32_e64 v3, v3, v4, s[2:3]
	v_mul_hi_u32 v1, v48, v1
	v_lshlrev_b32_e32 v3, 1, v3
	v_mul_lo_u32 v1, v1, s4
	v_and_b32_e32 v3, -4, v3
	v_sub_u32_e32 v1, v48, v1
	v_add_u32_e32 v46, v0, v3
	v_add_u32_e32 v47, v49, v3
	v_subrev_u32_e32 v3, s4, v1
	v_cmp_le_u32_e64 s[2:3], s4, v1
	v_cndmask_b32_e64 v1, v1, v3, s[2:3]
	v_subrev_u32_e32 v3, s4, v1
	v_cmp_le_u32_e64 s[2:3], s4, v1
	v_cndmask_b32_e64 v1, v1, v3, s[2:3]
	s_add_i32 s2, s14, s13
	v_lshlrev_b32_e32 v34, 1, v34
	v_lshlrev_b32_e32 v1, 1, v1
	s_add_i32 s2, s2, s12
	s_lshl_b32 s3, s20, 1
	v_and_b32_e32 v35, -4, v34
	v_and_b32_e32 v1, -4, v1
	s_sub_i32 s2, s2, s3
	v_add_u32_e32 v34, v0, v35
	v_add_u32_e32 v48, v0, v1
	v_mul_lo_u32 v0, s2, v2
	v_lshl_add_u32 v0, v0, 8, v16
	v_lshl_or_b32 v16, v6, 3, v0
	v_add_u32_e32 v0, s21, v7
	s_mov_b32 s8, 0
	v_cmp_gt_i32_e64 s[0:1], s1, v6
	s_waitcnt vmcnt(1)
	v_lshrrev_b32_e32 v26, 16, v8
	v_lshrrev_b32_e32 v27, 16, v9
	;; [unrolled: 1-line block ×4, first 2 shown]
	s_waitcnt vmcnt(0)
	v_lshrrev_b32_e32 v30, 16, v12
	v_lshrrev_b32_e32 v31, 16, v13
	;; [unrolled: 1-line block ×4, first 2 shown]
	v_add_u32_e32 v35, v49, v35
	v_add_u32_e32 v49, v49, v1
	v_add3_u32 v50, v0, v17, 0
	s_mov_b64 s[6:7], 0
	s_mov_b32 s9, 0x800000
	s_mov_b32 s10, 0x7f800000
	s_movk_i32 s11, 0x7fff
	s_mov_b32 s13, 0x7060302
	v_mov_b32_e32 v51, 0
	s_branch .LBB83_10
.LBB83_9:                               ;   in Loop: Header=BB83_10 Depth=1
	s_or_b64 exec, exec, s[4:5]
	v_ashrrev_i32_e32 v17, 31, v16
	v_lshlrev_b64 v[0:1], 1, v[16:17]
	v_mov_b32_e32 v2, s17
	v_add_co_u32_e64 v4, s[2:3], s16, v0
	v_addc_co_u32_e64 v5, s[2:3], v2, v1, s[2:3]
	s_add_i32 s8, s8, 1
	v_cmp_ge_i32_e64 s[2:3], s8, v19
	v_perm_b32 v3, v59, v58, s13
	v_perm_b32 v2, v57, v56, s13
	;; [unrolled: 1-line block ×4, first 2 shown]
	v_add_u32_e32 v16, 0x100, v16
	s_or_b64 s[6:7], s[2:3], s[6:7]
	v_add_u32_e32 v50, 0x200, v50
	global_store_dwordx4 v[4:5], v[0:3], off
	s_andn2_b64 exec, exec, s[6:7]
	s_cbranch_execz .LBB83_44
.LBB83_10:                              ; =>This Inner Loop Header: Depth=1
	ds_read_b128 v[0:3], v50
	s_waitcnt lgkmcnt(0)
	v_and_b32_e32 v54, 0xffff0000, v0
	v_lshlrev_b32_e32 v17, 16, v0
	v_and_b32_e32 v5, 0xffff0000, v1
	v_lshlrev_b32_e32 v4, 16, v1
	v_mul_f32_e32 v6, v54, v54
	v_pk_mul_f32 v[0:1], v[4:5], v[4:5]
	v_fmac_f32_e32 v6, v17, v17
	v_add_f32_e32 v0, v6, v0
	v_and_b32_e32 v7, 0xffff0000, v2
	v_lshlrev_b32_e32 v6, 16, v2
	v_add_f32_e32 v52, v0, v1
	v_pk_mul_f32 v[0:1], v[6:7], v[6:7]
	v_add_f32_e32 v0, v52, v0
	v_and_b32_e32 v53, 0xffff0000, v3
	v_lshlrev_b32_e32 v52, 16, v3
	v_add_f32_e32 v2, v0, v1
	v_pk_mul_f32 v[0:1], v[52:53], v[52:53]
	v_add_f32_e32 v0, v2, v0
	v_add_f32_e32 v0, v0, v1
	ds_bpermute_b32 v1, v20, v0
	v_mov_b32_e32 v3, s15
	v_add_u32_e32 v2, s8, v18
	v_cmp_gt_i32_e64 s[2:3], s12, v2
	v_cndmask_b32_e64 v56, v13, v9, s[2:3]
	s_waitcnt lgkmcnt(0)
	v_add_f32_e32 v0, v0, v1
	ds_bpermute_b32 v1, v21, v0
	v_cndmask_b32_e64 v2, v12, v8, s[2:3]
	v_cndmask_b32_e64 v55, v30, v26, s[2:3]
	;; [unrolled: 1-line block ×3, first 2 shown]
	v_lshlrev_b32_e32 v2, 16, v2
	s_waitcnt lgkmcnt(0)
	v_add_f32_e32 v0, v0, v1
	ds_bpermute_b32 v1, v22, v0
	s_waitcnt lgkmcnt(0)
	v_add_f32_e32 v0, v0, v1
	ds_bpermute_b32 v1, v23, v0
	;; [unrolled: 3-line block ×3, first 2 shown]
	s_waitcnt lgkmcnt(0)
	v_add_f32_e32 v0, v0, v1
	v_fmac_f32_e32 v3, 0x3b800000, v0
	v_mul_f32_e32 v0, 0x4b800000, v3
	v_cmp_gt_f32_e64 s[4:5], s9, v3
	v_cndmask_b32_e64 v0, v3, v0, s[4:5]
	v_rsq_f32_e32 v0, v0
	v_lshlrev_b32_e32 v3, 16, v56
	v_lshlrev_b32_e32 v1, 16, v55
	;; [unrolled: 1-line block ×3, first 2 shown]
	v_mul_f32_e32 v56, 0x45800000, v0
	v_cndmask_b32_e64 v56, v0, v56, s[4:5]
	v_mul_f32_e32 v0, v56, v2
	v_mul_f32_e32 v2, v56, v3
	v_mul_f32_e32 v3, v56, v55
	v_mul_f32_e32 v2, v2, v4
	v_mul_f32_e32 v3, v3, v5
	v_cndmask_b32_e64 v4, v14, v10, s[2:3]
	v_cndmask_b32_e64 v5, v32, v28, s[2:3]
	v_lshlrev_b32_e32 v4, 16, v4
	v_lshlrev_b32_e32 v5, 16, v5
	v_mul_f32_e32 v4, v56, v4
	v_mul_f32_e32 v5, v56, v5
	;; [unrolled: 1-line block ×4, first 2 shown]
	v_cndmask_b32_e64 v6, v15, v11, s[2:3]
	v_cndmask_b32_e64 v7, v33, v29, s[2:3]
	v_lshlrev_b32_e32 v6, 16, v6
	v_lshlrev_b32_e32 v7, 16, v7
	v_mul_f32_e32 v1, v56, v1
	v_mul_f32_e32 v6, v56, v6
	;; [unrolled: 1-line block ×7, first 2 shown]
	s_and_saveexec_b64 s[2:3], vcc
	s_cbranch_execz .LBB83_12
; %bb.11:                               ;   in Loop: Header=BB83_10 Depth=1
	ds_bpermute_b32 v17, v25, v0
	ds_bpermute_b32 v53, v25, v1
	; wave barrier
	ds_read_b32 v54, v34
	ds_read_b32 v52, v35
	;; [unrolled: 1-line block ×8, first 2 shown]
	s_waitcnt lgkmcnt(9)
	v_cndmask_b32_e64 v17, v17, -v17, s[0:1]
	s_waitcnt lgkmcnt(6)
	v_mul_f32_e32 v52, v17, v52
	v_cndmask_b32_e64 v17, v53, -v53, s[0:1]
	v_fmac_f32_e32 v52, v0, v54
	ds_bpermute_b32 v0, v25, v2
	s_waitcnt lgkmcnt(5)
	v_mul_f32_e32 v53, v17, v56
	v_fmac_f32_e32 v53, v1, v55
	ds_bpermute_b32 v1, v25, v3
	s_waitcnt lgkmcnt(1)
	v_cndmask_b32_e64 v0, v0, -v0, s[0:1]
	v_mul_f32_e32 v54, v0, v58
	ds_bpermute_b32 v0, v25, v4
	s_waitcnt lgkmcnt(1)
	v_cndmask_b32_e64 v1, v1, -v1, s[0:1]
	v_mul_f32_e32 v55, v1, v60
	ds_bpermute_b32 v1, v25, v5
	v_fmac_f32_e32 v54, v2, v57
	s_waitcnt lgkmcnt(1)
	v_cndmask_b32_e64 v0, v0, -v0, s[0:1]
	v_fmac_f32_e32 v55, v3, v59
	ds_read_b32 v2, v42
	ds_read_b32 v3, v43
	;; [unrolled: 1-line block ×8, first 2 shown]
	s_waitcnt lgkmcnt(6)
	v_mul_f32_e32 v56, v0, v3
	ds_bpermute_b32 v0, v25, v6
	v_cndmask_b32_e64 v1, v1, -v1, s[0:1]
	s_waitcnt lgkmcnt(5)
	v_mul_f32_e32 v57, v1, v57
	ds_bpermute_b32 v1, v25, v7
	v_fmac_f32_e32 v56, v4, v2
	s_waitcnt lgkmcnt(1)
	v_cndmask_b32_e64 v0, v0, -v0, s[0:1]
	v_mul_f32_e32 v58, v0, v58
	v_fmac_f32_e32 v58, v6, v59
	s_waitcnt lgkmcnt(0)
	v_cndmask_b32_e64 v0, v1, -v1, s[0:1]
	v_mul_f32_e32 v59, v0, v61
	v_fmac_f32_e32 v57, v5, v17
	v_fmac_f32_e32 v59, v7, v60
	v_pk_mov_b32 v[0:1], v[52:53], v[52:53] op_sel:[0,1]
	v_pk_mov_b32 v[2:3], v[54:55], v[54:55] op_sel:[0,1]
	;; [unrolled: 1-line block ×4, first 2 shown]
	; wave barrier
.LBB83_12:                              ;   in Loop: Header=BB83_10 Depth=1
	s_or_b64 exec, exec, s[2:3]
	v_and_b32_e32 v17, 0x7f800000, v0
	v_cmp_ne_u32_e64 s[2:3], s10, v17
                                        ; implicit-def: $vgpr52
	s_and_saveexec_b64 s[4:5], s[2:3]
	s_xor_b64 s[2:3], exec, s[4:5]
; %bb.13:                               ;   in Loop: Header=BB83_10 Depth=1
	v_bfe_u32 v17, v0, 16, 1
	v_add3_u32 v52, v0, v17, s11
; %bb.14:                               ;   in Loop: Header=BB83_10 Depth=1
	s_andn2_saveexec_b64 s[4:5], s[2:3]
; %bb.15:                               ;   in Loop: Header=BB83_10 Depth=1
	v_or_b32_e32 v17, 0x10000, v0
	v_cmp_eq_u32_sdwa s[2:3], v0, v51 src0_sel:WORD_0 src1_sel:DWORD
	v_cndmask_b32_e64 v52, v17, v0, s[2:3]
; %bb.16:                               ;   in Loop: Header=BB83_10 Depth=1
	s_or_b64 exec, exec, s[4:5]
	v_and_b32_e32 v0, 0x7f800000, v1
	v_cmp_ne_u32_e64 s[2:3], s10, v0
                                        ; implicit-def: $vgpr53
	s_and_saveexec_b64 s[4:5], s[2:3]
	s_xor_b64 s[2:3], exec, s[4:5]
; %bb.17:                               ;   in Loop: Header=BB83_10 Depth=1
	v_bfe_u32 v0, v1, 16, 1
	v_add3_u32 v53, v1, v0, s11
; %bb.18:                               ;   in Loop: Header=BB83_10 Depth=1
	s_andn2_saveexec_b64 s[4:5], s[2:3]
; %bb.19:                               ;   in Loop: Header=BB83_10 Depth=1
	v_or_b32_e32 v0, 0x10000, v1
	v_cmp_eq_u32_sdwa s[2:3], v1, v51 src0_sel:WORD_0 src1_sel:DWORD
	v_cndmask_b32_e64 v53, v0, v1, s[2:3]
; %bb.20:                               ;   in Loop: Header=BB83_10 Depth=1
	s_or_b64 exec, exec, s[4:5]
	v_and_b32_e32 v0, 0x7f800000, v2
	v_cmp_ne_u32_e64 s[2:3], s10, v0
                                        ; implicit-def: $vgpr54
	s_and_saveexec_b64 s[4:5], s[2:3]
	s_xor_b64 s[2:3], exec, s[4:5]
; %bb.21:                               ;   in Loop: Header=BB83_10 Depth=1
	v_bfe_u32 v0, v2, 16, 1
	v_add3_u32 v54, v2, v0, s11
; %bb.22:                               ;   in Loop: Header=BB83_10 Depth=1
	s_andn2_saveexec_b64 s[4:5], s[2:3]
; %bb.23:                               ;   in Loop: Header=BB83_10 Depth=1
	v_or_b32_e32 v0, 0x10000, v2
	v_cmp_eq_u32_sdwa s[2:3], v2, v51 src0_sel:WORD_0 src1_sel:DWORD
	v_cndmask_b32_e64 v54, v0, v2, s[2:3]
; %bb.24:                               ;   in Loop: Header=BB83_10 Depth=1
	s_or_b64 exec, exec, s[4:5]
	v_and_b32_e32 v0, 0x7f800000, v3
	v_cmp_ne_u32_e64 s[2:3], s10, v0
                                        ; implicit-def: $vgpr55
	s_and_saveexec_b64 s[4:5], s[2:3]
	s_xor_b64 s[2:3], exec, s[4:5]
; %bb.25:                               ;   in Loop: Header=BB83_10 Depth=1
	v_bfe_u32 v0, v3, 16, 1
	v_add3_u32 v55, v3, v0, s11
; %bb.26:                               ;   in Loop: Header=BB83_10 Depth=1
	s_andn2_saveexec_b64 s[4:5], s[2:3]
; %bb.27:                               ;   in Loop: Header=BB83_10 Depth=1
	v_or_b32_e32 v0, 0x10000, v3
	v_cmp_eq_u32_sdwa s[2:3], v3, v51 src0_sel:WORD_0 src1_sel:DWORD
	v_cndmask_b32_e64 v55, v0, v3, s[2:3]
; %bb.28:                               ;   in Loop: Header=BB83_10 Depth=1
	s_or_b64 exec, exec, s[4:5]
	v_and_b32_e32 v0, 0x7f800000, v4
	v_cmp_ne_u32_e64 s[2:3], s10, v0
                                        ; implicit-def: $vgpr56
	s_and_saveexec_b64 s[4:5], s[2:3]
	s_xor_b64 s[2:3], exec, s[4:5]
; %bb.29:                               ;   in Loop: Header=BB83_10 Depth=1
	v_bfe_u32 v0, v4, 16, 1
	v_add3_u32 v56, v4, v0, s11
; %bb.30:                               ;   in Loop: Header=BB83_10 Depth=1
	s_andn2_saveexec_b64 s[4:5], s[2:3]
; %bb.31:                               ;   in Loop: Header=BB83_10 Depth=1
	v_or_b32_e32 v0, 0x10000, v4
	v_cmp_eq_u32_sdwa s[2:3], v4, v51 src0_sel:WORD_0 src1_sel:DWORD
	v_cndmask_b32_e64 v56, v0, v4, s[2:3]
; %bb.32:                               ;   in Loop: Header=BB83_10 Depth=1
	s_or_b64 exec, exec, s[4:5]
	v_and_b32_e32 v0, 0x7f800000, v5
	v_cmp_ne_u32_e64 s[2:3], s10, v0
                                        ; implicit-def: $vgpr57
	s_and_saveexec_b64 s[4:5], s[2:3]
	s_xor_b64 s[2:3], exec, s[4:5]
; %bb.33:                               ;   in Loop: Header=BB83_10 Depth=1
	v_bfe_u32 v0, v5, 16, 1
	v_add3_u32 v57, v5, v0, s11
; %bb.34:                               ;   in Loop: Header=BB83_10 Depth=1
	s_andn2_saveexec_b64 s[4:5], s[2:3]
; %bb.35:                               ;   in Loop: Header=BB83_10 Depth=1
	v_or_b32_e32 v0, 0x10000, v5
	v_cmp_eq_u32_sdwa s[2:3], v5, v51 src0_sel:WORD_0 src1_sel:DWORD
	v_cndmask_b32_e64 v57, v0, v5, s[2:3]
; %bb.36:                               ;   in Loop: Header=BB83_10 Depth=1
	s_or_b64 exec, exec, s[4:5]
	v_and_b32_e32 v0, 0x7f800000, v6
	v_cmp_ne_u32_e64 s[2:3], s10, v0
                                        ; implicit-def: $vgpr58
	s_and_saveexec_b64 s[4:5], s[2:3]
	s_xor_b64 s[2:3], exec, s[4:5]
; %bb.37:                               ;   in Loop: Header=BB83_10 Depth=1
	v_bfe_u32 v0, v6, 16, 1
	v_add3_u32 v58, v6, v0, s11
; %bb.38:                               ;   in Loop: Header=BB83_10 Depth=1
	s_andn2_saveexec_b64 s[4:5], s[2:3]
; %bb.39:                               ;   in Loop: Header=BB83_10 Depth=1
	v_or_b32_e32 v0, 0x10000, v6
	v_cmp_eq_u32_sdwa s[2:3], v6, v51 src0_sel:WORD_0 src1_sel:DWORD
	v_cndmask_b32_e64 v58, v0, v6, s[2:3]
; %bb.40:                               ;   in Loop: Header=BB83_10 Depth=1
	s_or_b64 exec, exec, s[4:5]
	v_and_b32_e32 v0, 0x7f800000, v7
	v_cmp_ne_u32_e64 s[2:3], s10, v0
                                        ; implicit-def: $vgpr59
	s_and_saveexec_b64 s[4:5], s[2:3]
	s_xor_b64 s[2:3], exec, s[4:5]
; %bb.41:                               ;   in Loop: Header=BB83_10 Depth=1
	v_bfe_u32 v0, v7, 16, 1
	v_add3_u32 v59, v7, v0, s11
                                        ; implicit-def: $vgpr0_vgpr1_vgpr2_vgpr3_vgpr4_vgpr5_vgpr6_vgpr7
; %bb.42:                               ;   in Loop: Header=BB83_10 Depth=1
	s_andn2_saveexec_b64 s[4:5], s[2:3]
	s_cbranch_execz .LBB83_9
; %bb.43:                               ;   in Loop: Header=BB83_10 Depth=1
	v_or_b32_e32 v0, 0x10000, v7
	v_cmp_eq_u32_sdwa s[2:3], v7, v51 src0_sel:WORD_0 src1_sel:DWORD
	v_cndmask_b32_e64 v59, v0, v7, s[2:3]
	s_branch .LBB83_9
.LBB83_44:
	s_endpgm
	.section	.rodata,"a",@progbits
	.p2align	6, 0x0
	.amdhsa_kernel _ZN12tensorrt_llm7kernels32fusedQKNormRopeKernelNTokenHeadsIN3c108BFloat16EfLi256ELb0ELi2EEEvPviiifPKvS6_S6_PKlii
		.amdhsa_group_segment_fixed_size 0
		.amdhsa_private_segment_fixed_size 0
		.amdhsa_kernarg_size 320
		.amdhsa_user_sgpr_count 6
		.amdhsa_user_sgpr_private_segment_buffer 1
		.amdhsa_user_sgpr_dispatch_ptr 0
		.amdhsa_user_sgpr_queue_ptr 0
		.amdhsa_user_sgpr_kernarg_segment_ptr 1
		.amdhsa_user_sgpr_dispatch_id 0
		.amdhsa_user_sgpr_flat_scratch_init 0
		.amdhsa_user_sgpr_kernarg_preload_length 0
		.amdhsa_user_sgpr_kernarg_preload_offset 0
		.amdhsa_user_sgpr_private_segment_size 0
		.amdhsa_uses_dynamic_stack 0
		.amdhsa_system_sgpr_private_segment_wavefront_offset 0
		.amdhsa_system_sgpr_workgroup_id_x 1
		.amdhsa_system_sgpr_workgroup_id_y 0
		.amdhsa_system_sgpr_workgroup_id_z 0
		.amdhsa_system_sgpr_workgroup_info 0
		.amdhsa_system_vgpr_workitem_id 0
		.amdhsa_next_free_vgpr 62
		.amdhsa_next_free_sgpr 24
		.amdhsa_accum_offset 64
		.amdhsa_reserve_vcc 1
		.amdhsa_reserve_flat_scratch 0
		.amdhsa_float_round_mode_32 0
		.amdhsa_float_round_mode_16_64 0
		.amdhsa_float_denorm_mode_32 3
		.amdhsa_float_denorm_mode_16_64 3
		.amdhsa_dx10_clamp 1
		.amdhsa_ieee_mode 1
		.amdhsa_fp16_overflow 0
		.amdhsa_tg_split 0
		.amdhsa_exception_fp_ieee_invalid_op 0
		.amdhsa_exception_fp_denorm_src 0
		.amdhsa_exception_fp_ieee_div_zero 0
		.amdhsa_exception_fp_ieee_overflow 0
		.amdhsa_exception_fp_ieee_underflow 0
		.amdhsa_exception_fp_ieee_inexact 0
		.amdhsa_exception_int_div_zero 0
	.end_amdhsa_kernel
	.section	.text._ZN12tensorrt_llm7kernels32fusedQKNormRopeKernelNTokenHeadsIN3c108BFloat16EfLi256ELb0ELi2EEEvPviiifPKvS6_S6_PKlii,"axG",@progbits,_ZN12tensorrt_llm7kernels32fusedQKNormRopeKernelNTokenHeadsIN3c108BFloat16EfLi256ELb0ELi2EEEvPviiifPKvS6_S6_PKlii,comdat
.Lfunc_end83:
	.size	_ZN12tensorrt_llm7kernels32fusedQKNormRopeKernelNTokenHeadsIN3c108BFloat16EfLi256ELb0ELi2EEEvPviiifPKvS6_S6_PKlii, .Lfunc_end83-_ZN12tensorrt_llm7kernels32fusedQKNormRopeKernelNTokenHeadsIN3c108BFloat16EfLi256ELb0ELi2EEEvPviiifPKvS6_S6_PKlii
                                        ; -- End function
	.section	.AMDGPU.csdata,"",@progbits
; Kernel info:
; codeLenInByte = 3260
; NumSgprs: 28
; NumVgprs: 62
; NumAgprs: 0
; TotalNumVgprs: 62
; ScratchSize: 0
; MemoryBound: 0
; FloatMode: 240
; IeeeMode: 1
; LDSByteSize: 0 bytes/workgroup (compile time only)
; SGPRBlocks: 3
; VGPRBlocks: 7
; NumSGPRsForWavesPerEU: 28
; NumVGPRsForWavesPerEU: 62
; AccumOffset: 64
; Occupancy: 8
; WaveLimiterHint : 0
; COMPUTE_PGM_RSRC2:SCRATCH_EN: 0
; COMPUTE_PGM_RSRC2:USER_SGPR: 6
; COMPUTE_PGM_RSRC2:TRAP_HANDLER: 0
; COMPUTE_PGM_RSRC2:TGID_X_EN: 1
; COMPUTE_PGM_RSRC2:TGID_Y_EN: 0
; COMPUTE_PGM_RSRC2:TGID_Z_EN: 0
; COMPUTE_PGM_RSRC2:TIDIG_COMP_CNT: 0
; COMPUTE_PGM_RSRC3_GFX90A:ACCUM_OFFSET: 15
; COMPUTE_PGM_RSRC3_GFX90A:TG_SPLIT: 0
	.section	.text._ZN12tensorrt_llm7kernels32fusedQKNormRopeKernelNTokenHeadsIN3c108BFloat16EfLi64ELb1ELi4EEEvPviiifPKvS6_S6_PKlii,"axG",@progbits,_ZN12tensorrt_llm7kernels32fusedQKNormRopeKernelNTokenHeadsIN3c108BFloat16EfLi64ELb1ELi4EEEvPviiifPKvS6_S6_PKlii,comdat
	.protected	_ZN12tensorrt_llm7kernels32fusedQKNormRopeKernelNTokenHeadsIN3c108BFloat16EfLi64ELb1ELi4EEEvPviiifPKvS6_S6_PKlii ; -- Begin function _ZN12tensorrt_llm7kernels32fusedQKNormRopeKernelNTokenHeadsIN3c108BFloat16EfLi64ELb1ELi4EEEvPviiifPKvS6_S6_PKlii
	.globl	_ZN12tensorrt_llm7kernels32fusedQKNormRopeKernelNTokenHeadsIN3c108BFloat16EfLi64ELb1ELi4EEEvPviiifPKvS6_S6_PKlii
	.p2align	8
	.type	_ZN12tensorrt_llm7kernels32fusedQKNormRopeKernelNTokenHeadsIN3c108BFloat16EfLi64ELb1ELi4EEEvPviiifPKvS6_S6_PKlii,@function
_ZN12tensorrt_llm7kernels32fusedQKNormRopeKernelNTokenHeadsIN3c108BFloat16EfLi64ELb1ELi4EEEvPviiifPKvS6_S6_PKlii: ; @_ZN12tensorrt_llm7kernels32fusedQKNormRopeKernelNTokenHeadsIN3c108BFloat16EfLi64ELb1ELi4EEEvPviiifPKvS6_S6_PKlii
; %bb.0:
	s_load_dwordx4 s[12:15], s[4:5], 0x8
	s_load_dwordx2 s[2:3], s[4:5], 0x38
	s_load_dword s0, s[4:5], 0x4c
	v_lshrrev_b32_e32 v12, 5, v0
	s_waitcnt lgkmcnt(0)
	s_add_i32 s21, s13, s12
	s_add_i32 s1, s21, 3
	s_ashr_i32 s7, s1, 31
	s_lshr_b32 s7, s7, 30
	s_add_i32 s1, s1, s7
	s_ashr_i32 s20, s1, 2
	s_abs_i32 s1, s20
	v_cvt_f32_u32_e32 v1, s1
	s_bfe_u32 s0, s0, 0xb0005
	s_mul_i32 s6, s6, s0
	v_add_u32_e32 v9, s6, v12
	v_rcp_iflag_f32_e32 v1, v1
	s_sub_i32 s6, 0, s1
	v_sub_u32_e32 v2, 0, v9
	v_max_i32_e32 v2, v9, v2
	v_mul_f32_e32 v1, 0x4f7ffffe, v1
	v_cvt_u32_f32_e32 v1, v1
	v_xor_b32_e32 v3, s20, v9
	v_ashrrev_i32_e32 v3, 31, v3
	v_mul_lo_u32 v4, s6, v1
	v_mul_hi_u32 v4, v1, v4
	v_add_u32_e32 v1, v1, v4
	v_mul_hi_u32 v1, v2, v1
	v_mul_lo_u32 v4, v1, s1
	v_sub_u32_e32 v2, v2, v4
	v_add_u32_e32 v4, 1, v1
	v_cmp_le_u32_e32 vcc, s1, v2
	v_cndmask_b32_e32 v1, v1, v4, vcc
	v_subrev_u32_e32 v4, s1, v2
	v_cndmask_b32_e32 v2, v2, v4, vcc
	v_add_u32_e32 v4, 1, v1
	v_cmp_le_u32_e32 vcc, s1, v2
	v_cndmask_b32_e32 v1, v1, v4, vcc
	v_xor_b32_e32 v1, v1, v3
	v_sub_u32_e32 v2, v1, v3
	v_cmp_gt_i32_e32 vcc, s2, v2
	s_and_saveexec_b64 s[6:7], vcc
	s_cbranch_execz .LBB84_25
; %bb.1:
	v_and_b32_e32 v8, 31, v0
	v_mul_lo_u32 v0, v2, s20
	v_sub_u32_e32 v0, v9, v0
	s_load_dwordx2 s[16:17], s[4:5], 0x0
	v_lshlrev_b32_e32 v0, 2, v0
	v_add_u32_e32 v1, 4, v0
	v_sub_u32_e32 v3, s21, v0
	v_cmp_lt_i32_e32 vcc, s21, v1
	v_cndmask_b32_e32 v7, 4, v3, vcc
	s_lshl_b32 s18, s3, 2
	s_mul_i32 s2, s18, s0
	v_lshlrev_b32_e32 v11, 9, v12
	v_cmp_lt_i32_e64 s[0:1], 0, v7
	v_lshlrev_b32_e32 v10, 2, v8
	s_and_saveexec_b64 s[6:7], s[0:1]
	s_cbranch_execz .LBB84_9
; %bb.2:
	s_mov_b32 s19, 1
	v_lshlrev_b32_e32 v4, 1, v8
	v_cmp_ne_u32_e32 vcc, 1, v7
	s_mov_b64 s[10:11], -1
	v_mov_b32_e32 v1, 0
	s_and_saveexec_b64 s[8:9], vcc
	s_cbranch_execz .LBB84_6
; %bb.3:
	s_add_i32 s21, s21, s14
	s_add_i32 s10, s2, 0
	v_mul_lo_u32 v6, v2, s21
	s_mov_b32 s22, 0
	v_add3_u32 v13, s10, v11, v10
	v_mov_b32_e32 v1, v0
	s_mov_b32 s21, s12
	s_mov_b32 s23, s12
	v_mov_b32_e32 v3, v6
	v_mov_b32_e32 v5, v4
	v_and_b32_e32 v14, 0x7ffffffe, v7
	s_mov_b64 s[10:11], 0
	v_mov_b32_e32 v15, s12
	v_mov_b32_e32 v16, s12
	s_waitcnt lgkmcnt(0)
	v_mov_b32_e32 v17, s17
.LBB84_4:                               ; =>This Inner Loop Header: Depth=1
	v_add_u32_e32 v19, s19, v1
	v_add_u32_e32 v18, s22, v0
	v_cmp_le_i32_e32 vcc, s23, v19
	v_cndmask_b32_e32 v20, 0, v15, vcc
	v_cmp_le_i32_e32 vcc, s21, v18
	v_cndmask_b32_e32 v21, 0, v16, vcc
	v_sub_u32_e32 v18, v18, v21
	v_sub_u32_e32 v19, v19, v20
	v_add3_u32 v18, v6, v21, v18
	v_add3_u32 v19, v3, v20, v19
	v_lshl_or_b32 v18, v18, 6, v4
	v_lshl_or_b32 v20, v19, 6, v5
	v_ashrrev_i32_e32 v19, 31, v18
	v_lshlrev_b64 v[18:19], 1, v[18:19]
	v_ashrrev_i32_e32 v21, 31, v20
	v_add_co_u32_e32 v18, vcc, s16, v18
	v_lshlrev_b64 v[20:21], 1, v[20:21]
	v_addc_co_u32_e32 v19, vcc, v17, v19, vcc
	v_add_co_u32_e32 v20, vcc, s16, v20
	v_addc_co_u32_e32 v21, vcc, v17, v21, vcc
	global_load_dword v22, v[18:19], off
	global_load_dword v23, v[20:21], off
	v_add_u32_e32 v14, -2, v14
	v_lshl_add_u32 v18, s22, 7, v13
	v_lshl_add_u32 v19, s19, 7, v13
	s_add_i32 s22, s22, 2
	s_add_i32 s19, s19, 2
	v_cmp_eq_u32_e32 vcc, 0, v14
	s_or_b64 s[10:11], vcc, s[10:11]
	s_waitcnt vmcnt(1)
	ds_write_b32 v18, v22
	s_waitcnt vmcnt(0)
	ds_write_b32 v19, v23
	s_andn2_b64 exec, exec, s[10:11]
	s_cbranch_execnz .LBB84_4
; %bb.5:
	s_or_b64 exec, exec, s[10:11]
	v_and_b32_e32 v1, 0x7ffffffe, v7
	v_cmp_ne_u32_e32 vcc, v7, v1
	s_orn2_b64 s[10:11], vcc, exec
.LBB84_6:
	s_or_b64 exec, exec, s[8:9]
	s_and_b64 exec, exec, s[10:11]
	s_cbranch_execz .LBB84_9
; %bb.7:
	s_add_i32 s8, s14, s13
	s_add_i32 s8, s8, s12
	s_lshl_b32 s9, s20, 2
	s_sub_i32 s8, s8, s9
	v_mul_lo_u32 v3, s8, v2
	v_lshlrev_b32_e32 v5, 2, v9
	v_add3_u32 v3, v1, v3, v5
	v_lshl_or_b32 v4, v3, 6, v4
	v_lshlrev_b32_e32 v3, 7, v1
	v_add3_u32 v3, s2, v11, v3
	v_add3_u32 v3, v3, v10, 0
	s_mov_b64 s[8:9], 0
	s_waitcnt lgkmcnt(0)
	v_mov_b32_e32 v6, s17
.LBB84_8:                               ; =>This Inner Loop Header: Depth=1
	v_ashrrev_i32_e32 v5, 31, v4
	v_lshlrev_b64 v[14:15], 1, v[4:5]
	v_add_co_u32_e32 v14, vcc, s16, v14
	v_addc_co_u32_e32 v15, vcc, v6, v15, vcc
	global_load_dword v5, v[14:15], off
	v_add_u32_e32 v1, 1, v1
	v_cmp_ge_i32_e32 vcc, v1, v7
	v_add_u32_e32 v4, 64, v4
	s_or_b64 s[8:9], vcc, s[8:9]
	s_waitcnt vmcnt(0)
	ds_write_b32 v3, v5
	v_add_u32_e32 v3, 0x80, v3
	s_andn2_b64 exec, exec, s[8:9]
	s_cbranch_execnz .LBB84_8
.LBB84_9:
	s_or_b64 exec, exec, s[6:7]
	s_add_i32 s18, s18, 15
	s_load_dwordx8 s[4:11], s[4:5], 0x18
	s_ashr_i32 s19, s18, 31
	s_lshr_b32 s19, s19, 28
	s_add_i32 s18, s18, s19
	s_ashr_i32 s21, s18, 4
	v_mul_lo_u32 v1, v12, s3
	v_cmp_gt_i32_e32 vcc, s21, v8
	v_lshlrev_b32_e32 v12, 2, v1
	s_and_saveexec_b64 s[18:19], vcc
	s_cbranch_execz .LBB84_12
; %bb.10:
	v_ashrrev_i32_e32 v3, 31, v2
	v_lshlrev_b64 v[4:5], 3, v[2:3]
	s_waitcnt lgkmcnt(0)
	v_mov_b32_e32 v1, s11
	v_add_co_u32_e32 v4, vcc, s10, v4
	v_addc_co_u32_e32 v5, vcc, v1, v5, vcc
	global_load_dwordx2 v[4:5], v[4:5], off
	s_ashr_i32 s22, s3, 31
	v_lshlrev_b32_e32 v3, 4, v8
	v_add3_u32 v1, v12, v3, 0
	v_mov_b32_e32 v6, s9
	s_mov_b64 s[10:11], 0
	s_waitcnt vmcnt(0)
	v_mul_lo_u32 v13, v5, s3
	v_mul_lo_u32 v14, v4, s22
	v_mad_u64_u32 v[4:5], s[22:23], v4, s3, 0
	v_add3_u32 v5, v5, v14, v13
	v_lshlrev_b64 v[4:5], 2, v[4:5]
	v_add_co_u32_e32 v3, vcc, v4, v3
	v_addc_co_u32_e32 v5, vcc, 0, v5, vcc
	v_add_co_u32_e32 v4, vcc, s8, v3
	v_addc_co_u32_e32 v5, vcc, v6, v5, vcc
	v_mov_b32_e32 v3, v8
.LBB84_11:                              ; =>This Inner Loop Header: Depth=1
	global_load_dwordx4 v[14:17], v[4:5], off
	v_add_co_u32_e32 v4, vcc, 0x200, v4
	v_add_u32_e32 v3, 32, v3
	v_addc_co_u32_e32 v5, vcc, 0, v5, vcc
	v_cmp_le_i32_e32 vcc, s21, v3
	s_or_b64 s[10:11], vcc, s[10:11]
	s_waitcnt vmcnt(0)
	ds_write_b128 v1, v[14:17]
	v_add_u32_e32 v1, 0x200, v1
	s_andn2_b64 exec, exec, s[10:11]
	s_cbranch_execnz .LBB84_11
.LBB84_12:
	s_or_b64 exec, exec, s[18:19]
	s_and_b64 exec, exec, s[0:1]
	s_cbranch_execz .LBB84_25
; %bb.13:
	s_waitcnt lgkmcnt(0)
	global_load_dword v1, v10, s[4:5]
	global_load_dword v6, v10, s[6:7]
	v_mbcnt_lo_u32_b32 v3, -1, 0
	s_lshr_b32 s0, s3, 31
	s_add_i32 s1, s14, s13
	v_add_u32_e32 v5, s2, v11
	v_mbcnt_hi_u32_b32 v3, -1, v3
	v_add3_u32 v12, 0, v12, v10
	s_lshl_b32 s11, s20, 2
	s_add_i32 s0, s3, s0
	s_add_i32 s1, s1, s12
	v_add3_u32 v10, v5, v10, 0
	v_and_b32_e32 v5, 0x60, v3
	s_ashr_i32 s0, s0, 1
	v_xor_b32_e32 v14, 16, v3
	s_sub_i32 s1, s1, s11
	v_add_u32_e32 v5, 32, v5
	v_xor_b32_e32 v15, 8, v3
	v_cmp_gt_i32_e32 vcc, s0, v8
	v_lshl_add_u32 v13, s0, 2, v12
	v_mul_lo_u32 v2, s1, v2
	v_cmp_lt_i32_e64 s[0:1], v14, v5
	v_xor_b32_e32 v16, 4, v3
	v_cndmask_b32_e64 v14, v3, v14, s[0:1]
	v_cmp_lt_i32_e64 s[0:1], v15, v5
	v_xor_b32_e32 v17, 2, v3
	v_cndmask_b32_e64 v15, v3, v15, s[0:1]
	;; [unrolled: 3-line block ×3, first 2 shown]
	v_cmp_lt_i32_e64 s[0:1], v17, v5
	v_lshlrev_b32_e32 v4, 8, v9
	v_cndmask_b32_e64 v17, v3, v17, s[0:1]
	v_cmp_lt_i32_e64 s[0:1], v18, v5
	v_cndmask_b32_e64 v3, v3, v18, s[0:1]
	v_lshl_add_u32 v2, v2, 6, v4
	s_mov_b32 s6, 0
	s_mov_b64 s[4:5], 0
	s_mov_b32 s7, 0xffff0000
	v_mov_b32_e32 v9, s15
	s_mov_b32 s8, 0x800000
	s_mov_b32 s9, 0x7f800000
	s_movk_i32 s10, 0x7fff
	v_mov_b32_e32 v11, s17
	v_lshlrev_b32_e32 v14, 2, v14
	v_lshlrev_b32_e32 v15, 2, v15
	;; [unrolled: 1-line block ×5, first 2 shown]
	v_lshl_or_b32 v2, v8, 1, v2
	v_mov_b32_e32 v20, 0
	s_waitcnt vmcnt(1)
	v_lshrrev_b32_e32 v8, 16, v1
	s_waitcnt vmcnt(0)
	v_lshrrev_b32_e32 v19, 16, v6
	s_branch .LBB84_15
.LBB84_14:                              ;   in Loop: Header=BB84_15 Depth=1
	s_or_b64 exec, exec, s[2:3]
	v_lshrrev_b32_e32 v3, 16, v3
	v_and_or_b32 v21, v21, s7, v3
	v_ashrrev_i32_e32 v3, 31, v2
	v_lshlrev_b64 v[4:5], 1, v[2:3]
	v_add_co_u32_e64 v4, s[0:1], s16, v4
	v_addc_co_u32_e64 v5, s[0:1], v11, v5, s[0:1]
	s_add_i32 s6, s6, 1
	v_cmp_ge_i32_e64 s[0:1], s6, v7
	v_add_u32_e32 v2, 64, v2
	s_or_b64 s[4:5], s[0:1], s[4:5]
	v_add_u32_e32 v10, 0x80, v10
	global_store_dword v[4:5], v21, off
	s_andn2_b64 exec, exec, s[4:5]
	s_cbranch_execz .LBB84_25
.LBB84_15:                              ; =>This Inner Loop Header: Depth=1
	ds_read_b32 v3, v10
	s_waitcnt lgkmcnt(0)
	v_and_b32_e32 v5, 0xffff0000, v3
	v_lshlrev_b32_e32 v4, 16, v3
	v_pk_mul_f32 v[22:23], v[4:5], v[4:5]
	v_add_f32_e32 v3, v23, v22
	ds_bpermute_b32 v21, v14, v3
	v_mov_b32_e32 v23, v9
	v_add_u32_e32 v22, s6, v0
	v_cmp_gt_i32_e64 s[2:3], s12, v22
	v_cndmask_b32_e64 v22, v6, v1, s[2:3]
	s_waitcnt lgkmcnt(0)
	v_add_f32_e32 v3, v3, v21
	ds_bpermute_b32 v21, v15, v3
	v_lshlrev_b32_e32 v22, 16, v22
	s_waitcnt lgkmcnt(0)
	v_add_f32_e32 v3, v3, v21
	ds_bpermute_b32 v21, v16, v3
	s_waitcnt lgkmcnt(0)
	v_add_f32_e32 v3, v3, v21
	ds_bpermute_b32 v21, v17, v3
	s_waitcnt lgkmcnt(0)
	v_add_f32_e32 v3, v3, v21
	ds_bpermute_b32 v21, v18, v3
	s_waitcnt lgkmcnt(0)
	v_add_f32_e32 v3, v3, v21
	v_fmac_f32_e32 v23, 0x3c800000, v3
	v_mul_f32_e32 v3, 0x4b800000, v23
	v_cmp_gt_f32_e64 s[0:1], s8, v23
	v_cndmask_b32_e64 v3, v23, v3, s[0:1]
	v_rsq_f32_e32 v3, v3
	v_cndmask_b32_e64 v21, v19, v8, s[2:3]
	v_lshlrev_b32_e32 v23, 16, v21
	v_mul_f32_e32 v21, 0x45800000, v3
	v_cndmask_b32_e64 v24, v3, v21, s[0:1]
	v_pk_mul_f32 v[22:23], v[24:25], v[22:23] op_sel_hi:[0,1]
	v_pk_mul_f32 v[4:5], v[22:23], v[4:5]
	s_and_saveexec_b64 s[0:1], vcc
	s_cbranch_execz .LBB84_17
; %bb.16:                               ;   in Loop: Header=BB84_15 Depth=1
	ds_read_b32 v22, v13
	ds_read_b32 v23, v12
	s_waitcnt lgkmcnt(1)
	v_mul_f32_e32 v3, v5, v22
	s_waitcnt lgkmcnt(0)
	v_pk_mul_f32 v[24:25], v[4:5], v[22:23]
	v_fma_f32 v26, v4, v23, -v3
	v_mov_b32_e32 v3, v24
	v_pk_fma_f32 v[4:5], v[4:5], v[22:23], v[2:3]
	v_mov_b32_e32 v27, v5
	v_pk_mov_b32 v[4:5], v[26:27], v[26:27] op_sel:[0,1]
.LBB84_17:                              ;   in Loop: Header=BB84_15 Depth=1
	s_or_b64 exec, exec, s[0:1]
	v_and_b32_e32 v3, 0x7f800000, v4
	v_cmp_ne_u32_e64 s[0:1], s9, v3
                                        ; implicit-def: $vgpr3
	s_and_saveexec_b64 s[2:3], s[0:1]
	s_xor_b64 s[0:1], exec, s[2:3]
; %bb.18:                               ;   in Loop: Header=BB84_15 Depth=1
	v_bfe_u32 v3, v4, 16, 1
	v_add3_u32 v3, v4, v3, s10
; %bb.19:                               ;   in Loop: Header=BB84_15 Depth=1
	s_andn2_saveexec_b64 s[2:3], s[0:1]
; %bb.20:                               ;   in Loop: Header=BB84_15 Depth=1
	v_or_b32_e32 v3, 0x10000, v4
	v_cmp_eq_u32_sdwa s[0:1], v4, v20 src0_sel:WORD_0 src1_sel:DWORD
	v_cndmask_b32_e64 v3, v3, v4, s[0:1]
; %bb.21:                               ;   in Loop: Header=BB84_15 Depth=1
	s_or_b64 exec, exec, s[2:3]
	v_and_b32_e32 v4, 0x7f800000, v5
	v_cmp_ne_u32_e64 s[0:1], s9, v4
                                        ; implicit-def: $vgpr21
	s_and_saveexec_b64 s[2:3], s[0:1]
	s_xor_b64 s[0:1], exec, s[2:3]
; %bb.22:                               ;   in Loop: Header=BB84_15 Depth=1
	v_bfe_u32 v4, v5, 16, 1
	v_add3_u32 v21, v5, v4, s10
                                        ; implicit-def: $vgpr4_vgpr5
; %bb.23:                               ;   in Loop: Header=BB84_15 Depth=1
	s_andn2_saveexec_b64 s[2:3], s[0:1]
	s_cbranch_execz .LBB84_14
; %bb.24:                               ;   in Loop: Header=BB84_15 Depth=1
	v_or_b32_e32 v4, 0x10000, v5
	v_cmp_eq_u32_sdwa s[0:1], v5, v20 src0_sel:WORD_0 src1_sel:DWORD
	v_cndmask_b32_e64 v21, v4, v5, s[0:1]
	s_branch .LBB84_14
.LBB84_25:
	s_endpgm
	.section	.rodata,"a",@progbits
	.p2align	6, 0x0
	.amdhsa_kernel _ZN12tensorrt_llm7kernels32fusedQKNormRopeKernelNTokenHeadsIN3c108BFloat16EfLi64ELb1ELi4EEEvPviiifPKvS6_S6_PKlii
		.amdhsa_group_segment_fixed_size 0
		.amdhsa_private_segment_fixed_size 0
		.amdhsa_kernarg_size 320
		.amdhsa_user_sgpr_count 6
		.amdhsa_user_sgpr_private_segment_buffer 1
		.amdhsa_user_sgpr_dispatch_ptr 0
		.amdhsa_user_sgpr_queue_ptr 0
		.amdhsa_user_sgpr_kernarg_segment_ptr 1
		.amdhsa_user_sgpr_dispatch_id 0
		.amdhsa_user_sgpr_flat_scratch_init 0
		.amdhsa_user_sgpr_kernarg_preload_length 0
		.amdhsa_user_sgpr_kernarg_preload_offset 0
		.amdhsa_user_sgpr_private_segment_size 0
		.amdhsa_uses_dynamic_stack 0
		.amdhsa_system_sgpr_private_segment_wavefront_offset 0
		.amdhsa_system_sgpr_workgroup_id_x 1
		.amdhsa_system_sgpr_workgroup_id_y 0
		.amdhsa_system_sgpr_workgroup_id_z 0
		.amdhsa_system_sgpr_workgroup_info 0
		.amdhsa_system_vgpr_workitem_id 0
		.amdhsa_next_free_vgpr 28
		.amdhsa_next_free_sgpr 24
		.amdhsa_accum_offset 28
		.amdhsa_reserve_vcc 1
		.amdhsa_reserve_flat_scratch 0
		.amdhsa_float_round_mode_32 0
		.amdhsa_float_round_mode_16_64 0
		.amdhsa_float_denorm_mode_32 3
		.amdhsa_float_denorm_mode_16_64 3
		.amdhsa_dx10_clamp 1
		.amdhsa_ieee_mode 1
		.amdhsa_fp16_overflow 0
		.amdhsa_tg_split 0
		.amdhsa_exception_fp_ieee_invalid_op 0
		.amdhsa_exception_fp_denorm_src 0
		.amdhsa_exception_fp_ieee_div_zero 0
		.amdhsa_exception_fp_ieee_overflow 0
		.amdhsa_exception_fp_ieee_underflow 0
		.amdhsa_exception_fp_ieee_inexact 0
		.amdhsa_exception_int_div_zero 0
	.end_amdhsa_kernel
	.section	.text._ZN12tensorrt_llm7kernels32fusedQKNormRopeKernelNTokenHeadsIN3c108BFloat16EfLi64ELb1ELi4EEEvPviiifPKvS6_S6_PKlii,"axG",@progbits,_ZN12tensorrt_llm7kernels32fusedQKNormRopeKernelNTokenHeadsIN3c108BFloat16EfLi64ELb1ELi4EEEvPviiifPKvS6_S6_PKlii,comdat
.Lfunc_end84:
	.size	_ZN12tensorrt_llm7kernels32fusedQKNormRopeKernelNTokenHeadsIN3c108BFloat16EfLi64ELb1ELi4EEEvPviiifPKvS6_S6_PKlii, .Lfunc_end84-_ZN12tensorrt_llm7kernels32fusedQKNormRopeKernelNTokenHeadsIN3c108BFloat16EfLi64ELb1ELi4EEEvPviiifPKvS6_S6_PKlii
                                        ; -- End function
	.section	.AMDGPU.csdata,"",@progbits
; Kernel info:
; codeLenInByte = 1876
; NumSgprs: 28
; NumVgprs: 28
; NumAgprs: 0
; TotalNumVgprs: 28
; ScratchSize: 0
; MemoryBound: 0
; FloatMode: 240
; IeeeMode: 1
; LDSByteSize: 0 bytes/workgroup (compile time only)
; SGPRBlocks: 3
; VGPRBlocks: 3
; NumSGPRsForWavesPerEU: 28
; NumVGPRsForWavesPerEU: 28
; AccumOffset: 28
; Occupancy: 8
; WaveLimiterHint : 0
; COMPUTE_PGM_RSRC2:SCRATCH_EN: 0
; COMPUTE_PGM_RSRC2:USER_SGPR: 6
; COMPUTE_PGM_RSRC2:TRAP_HANDLER: 0
; COMPUTE_PGM_RSRC2:TGID_X_EN: 1
; COMPUTE_PGM_RSRC2:TGID_Y_EN: 0
; COMPUTE_PGM_RSRC2:TGID_Z_EN: 0
; COMPUTE_PGM_RSRC2:TIDIG_COMP_CNT: 0
; COMPUTE_PGM_RSRC3_GFX90A:ACCUM_OFFSET: 6
; COMPUTE_PGM_RSRC3_GFX90A:TG_SPLIT: 0
	.section	.text._ZN12tensorrt_llm7kernels32fusedQKNormRopeKernelNTokenHeadsIN3c108BFloat16EfLi64ELb0ELi4EEEvPviiifPKvS6_S6_PKlii,"axG",@progbits,_ZN12tensorrt_llm7kernels32fusedQKNormRopeKernelNTokenHeadsIN3c108BFloat16EfLi64ELb0ELi4EEEvPviiifPKvS6_S6_PKlii,comdat
	.protected	_ZN12tensorrt_llm7kernels32fusedQKNormRopeKernelNTokenHeadsIN3c108BFloat16EfLi64ELb0ELi4EEEvPviiifPKvS6_S6_PKlii ; -- Begin function _ZN12tensorrt_llm7kernels32fusedQKNormRopeKernelNTokenHeadsIN3c108BFloat16EfLi64ELb0ELi4EEEvPviiifPKvS6_S6_PKlii
	.globl	_ZN12tensorrt_llm7kernels32fusedQKNormRopeKernelNTokenHeadsIN3c108BFloat16EfLi64ELb0ELi4EEEvPviiifPKvS6_S6_PKlii
	.p2align	8
	.type	_ZN12tensorrt_llm7kernels32fusedQKNormRopeKernelNTokenHeadsIN3c108BFloat16EfLi64ELb0ELi4EEEvPviiifPKvS6_S6_PKlii,@function
_ZN12tensorrt_llm7kernels32fusedQKNormRopeKernelNTokenHeadsIN3c108BFloat16EfLi64ELb0ELi4EEEvPviiifPKvS6_S6_PKlii: ; @_ZN12tensorrt_llm7kernels32fusedQKNormRopeKernelNTokenHeadsIN3c108BFloat16EfLi64ELb0ELi4EEEvPviiifPKvS6_S6_PKlii
; %bb.0:
	s_load_dwordx4 s[12:15], s[4:5], 0x8
	s_load_dwordx2 s[2:3], s[4:5], 0x38
	s_load_dword s0, s[4:5], 0x4c
	v_lshrrev_b32_e32 v12, 5, v0
	s_waitcnt lgkmcnt(0)
	s_add_i32 s19, s13, s12
	s_add_i32 s1, s19, 3
	s_ashr_i32 s7, s1, 31
	s_lshr_b32 s7, s7, 30
	s_add_i32 s1, s1, s7
	s_ashr_i32 s20, s1, 2
	s_abs_i32 s1, s20
	v_cvt_f32_u32_e32 v1, s1
	s_bfe_u32 s0, s0, 0xb0005
	s_mul_i32 s6, s6, s0
	v_add_u32_e32 v8, s6, v12
	v_rcp_iflag_f32_e32 v1, v1
	s_sub_i32 s6, 0, s1
	v_sub_u32_e32 v2, 0, v8
	v_max_i32_e32 v2, v8, v2
	v_mul_f32_e32 v1, 0x4f7ffffe, v1
	v_cvt_u32_f32_e32 v1, v1
	v_xor_b32_e32 v3, s20, v8
	v_ashrrev_i32_e32 v3, 31, v3
	v_mul_lo_u32 v4, s6, v1
	v_mul_hi_u32 v4, v1, v4
	v_add_u32_e32 v1, v1, v4
	v_mul_hi_u32 v1, v2, v1
	v_mul_lo_u32 v4, v1, s1
	v_sub_u32_e32 v2, v2, v4
	v_add_u32_e32 v4, 1, v1
	v_cmp_le_u32_e32 vcc, s1, v2
	v_cndmask_b32_e32 v1, v1, v4, vcc
	v_subrev_u32_e32 v4, s1, v2
	v_cndmask_b32_e32 v2, v2, v4, vcc
	v_add_u32_e32 v4, 1, v1
	v_cmp_le_u32_e32 vcc, s1, v2
	v_cndmask_b32_e32 v1, v1, v4, vcc
	v_xor_b32_e32 v1, v1, v3
	v_sub_u32_e32 v2, v1, v3
	v_cmp_gt_i32_e32 vcc, s2, v2
	s_and_saveexec_b64 s[6:7], vcc
	s_cbranch_execz .LBB85_25
; %bb.1:
	v_and_b32_e32 v9, 31, v0
	v_mul_lo_u32 v0, v2, s20
	v_sub_u32_e32 v0, v8, v0
	s_load_dwordx2 s[16:17], s[4:5], 0x0
	v_lshlrev_b32_e32 v0, 2, v0
	v_add_u32_e32 v1, 4, v0
	v_sub_u32_e32 v3, s19, v0
	v_cmp_lt_i32_e32 vcc, s19, v1
	v_cndmask_b32_e32 v7, 4, v3, vcc
	s_lshl_b32 s2, s3, 2
	s_mul_i32 s21, s2, s0
	v_lshlrev_b32_e32 v10, 9, v12
	v_cmp_lt_i32_e64 s[0:1], 0, v7
	v_lshlrev_b32_e32 v11, 2, v9
	s_and_saveexec_b64 s[6:7], s[0:1]
	s_cbranch_execz .LBB85_9
; %bb.2:
	s_mov_b32 s18, 1
	v_lshlrev_b32_e32 v4, 1, v9
	v_cmp_ne_u32_e32 vcc, 1, v7
	s_mov_b64 s[10:11], -1
	v_mov_b32_e32 v1, 0
	s_and_saveexec_b64 s[8:9], vcc
	s_cbranch_execz .LBB85_6
; %bb.3:
	s_add_i32 s19, s19, s14
	s_add_i32 s10, s21, 0
	v_mul_lo_u32 v6, v2, s19
	s_mov_b32 s22, 0
	v_add3_u32 v13, s10, v10, v11
	v_mov_b32_e32 v1, v0
	s_mov_b32 s19, s12
	s_mov_b32 s23, s12
	v_mov_b32_e32 v3, v6
	v_mov_b32_e32 v5, v4
	v_and_b32_e32 v14, 0x7ffffffe, v7
	s_mov_b64 s[10:11], 0
	v_mov_b32_e32 v15, s12
	v_mov_b32_e32 v16, s12
	s_waitcnt lgkmcnt(0)
	v_mov_b32_e32 v17, s17
.LBB85_4:                               ; =>This Inner Loop Header: Depth=1
	v_add_u32_e32 v19, s18, v1
	v_add_u32_e32 v18, s22, v0
	v_cmp_le_i32_e32 vcc, s23, v19
	v_cndmask_b32_e32 v20, 0, v15, vcc
	v_cmp_le_i32_e32 vcc, s19, v18
	v_cndmask_b32_e32 v21, 0, v16, vcc
	v_sub_u32_e32 v18, v18, v21
	v_sub_u32_e32 v19, v19, v20
	v_add3_u32 v18, v6, v21, v18
	v_add3_u32 v19, v3, v20, v19
	v_lshl_or_b32 v18, v18, 6, v4
	v_lshl_or_b32 v20, v19, 6, v5
	v_ashrrev_i32_e32 v19, 31, v18
	v_lshlrev_b64 v[18:19], 1, v[18:19]
	v_ashrrev_i32_e32 v21, 31, v20
	v_add_co_u32_e32 v18, vcc, s16, v18
	v_lshlrev_b64 v[20:21], 1, v[20:21]
	v_addc_co_u32_e32 v19, vcc, v17, v19, vcc
	v_add_co_u32_e32 v20, vcc, s16, v20
	v_addc_co_u32_e32 v21, vcc, v17, v21, vcc
	global_load_dword v22, v[18:19], off
	global_load_dword v23, v[20:21], off
	v_add_u32_e32 v14, -2, v14
	v_lshl_add_u32 v18, s22, 7, v13
	v_lshl_add_u32 v19, s18, 7, v13
	s_add_i32 s22, s22, 2
	s_add_i32 s18, s18, 2
	v_cmp_eq_u32_e32 vcc, 0, v14
	s_or_b64 s[10:11], vcc, s[10:11]
	s_waitcnt vmcnt(1)
	ds_write_b32 v18, v22
	s_waitcnt vmcnt(0)
	ds_write_b32 v19, v23
	s_andn2_b64 exec, exec, s[10:11]
	s_cbranch_execnz .LBB85_4
; %bb.5:
	s_or_b64 exec, exec, s[10:11]
	v_and_b32_e32 v1, 0x7ffffffe, v7
	v_cmp_ne_u32_e32 vcc, v7, v1
	s_orn2_b64 s[10:11], vcc, exec
.LBB85_6:
	s_or_b64 exec, exec, s[8:9]
	s_and_b64 exec, exec, s[10:11]
	s_cbranch_execz .LBB85_9
; %bb.7:
	s_add_i32 s8, s14, s13
	s_add_i32 s8, s8, s12
	s_lshl_b32 s9, s20, 2
	s_sub_i32 s8, s8, s9
	v_mul_lo_u32 v3, s8, v2
	v_lshlrev_b32_e32 v5, 2, v8
	v_add3_u32 v3, v1, v3, v5
	v_lshl_or_b32 v4, v3, 6, v4
	v_lshlrev_b32_e32 v3, 7, v1
	v_add3_u32 v3, s21, v10, v3
	v_add3_u32 v3, v3, v11, 0
	s_mov_b64 s[8:9], 0
	s_waitcnt lgkmcnt(0)
	v_mov_b32_e32 v6, s17
.LBB85_8:                               ; =>This Inner Loop Header: Depth=1
	v_ashrrev_i32_e32 v5, 31, v4
	v_lshlrev_b64 v[14:15], 1, v[4:5]
	v_add_co_u32_e32 v14, vcc, s16, v14
	v_addc_co_u32_e32 v15, vcc, v6, v15, vcc
	global_load_dword v5, v[14:15], off
	v_add_u32_e32 v1, 1, v1
	v_cmp_ge_i32_e32 vcc, v1, v7
	v_add_u32_e32 v4, 64, v4
	s_or_b64 s[8:9], vcc, s[8:9]
	s_waitcnt vmcnt(0)
	ds_write_b32 v3, v5
	v_add_u32_e32 v3, 0x80, v3
	s_andn2_b64 exec, exec, s[8:9]
	s_cbranch_execnz .LBB85_8
.LBB85_9:
	s_or_b64 exec, exec, s[6:7]
	s_add_i32 s2, s2, 15
	s_load_dwordx8 s[4:11], s[4:5], 0x18
	s_ashr_i32 s18, s2, 31
	s_lshr_b32 s18, s18, 28
	s_add_i32 s2, s2, s18
	s_ashr_i32 s2, s2, 4
	v_cmp_gt_i32_e32 vcc, s2, v9
	v_mul_lo_u32 v12, v12, s3
	s_and_saveexec_b64 s[18:19], vcc
	s_cbranch_execz .LBB85_12
; %bb.10:
	v_ashrrev_i32_e32 v3, 31, v2
	v_lshlrev_b64 v[4:5], 3, v[2:3]
	s_waitcnt lgkmcnt(0)
	v_mov_b32_e32 v1, s11
	v_add_co_u32_e32 v4, vcc, s10, v4
	v_addc_co_u32_e32 v5, vcc, v1, v5, vcc
	global_load_dwordx2 v[4:5], v[4:5], off
	s_ashr_i32 s22, s3, 31
	v_lshlrev_b32_e32 v1, 2, v12
	v_lshlrev_b32_e32 v3, 4, v9
	v_add3_u32 v1, v1, v3, 0
	v_mov_b32_e32 v6, s9
	s_mov_b64 s[10:11], 0
	s_waitcnt vmcnt(0)
	v_mul_lo_u32 v13, v5, s3
	v_mul_lo_u32 v14, v4, s22
	v_mad_u64_u32 v[4:5], s[22:23], v4, s3, 0
	v_add3_u32 v5, v5, v14, v13
	v_lshlrev_b64 v[4:5], 2, v[4:5]
	v_add_co_u32_e32 v3, vcc, v4, v3
	v_addc_co_u32_e32 v5, vcc, 0, v5, vcc
	v_add_co_u32_e32 v4, vcc, s8, v3
	v_addc_co_u32_e32 v5, vcc, v6, v5, vcc
	v_mov_b32_e32 v3, v9
.LBB85_11:                              ; =>This Inner Loop Header: Depth=1
	global_load_dwordx4 v[14:17], v[4:5], off
	v_add_co_u32_e32 v4, vcc, 0x200, v4
	v_add_u32_e32 v3, 32, v3
	v_addc_co_u32_e32 v5, vcc, 0, v5, vcc
	v_cmp_le_i32_e32 vcc, s2, v3
	s_or_b64 s[10:11], vcc, s[10:11]
	s_waitcnt vmcnt(0)
	ds_write_b128 v1, v[14:17]
	v_add_u32_e32 v1, 0x200, v1
	s_andn2_b64 exec, exec, s[10:11]
	s_cbranch_execnz .LBB85_11
.LBB85_12:
	s_or_b64 exec, exec, s[18:19]
	s_and_b64 exec, exec, s[0:1]
	s_cbranch_execz .LBB85_25
; %bb.13:
	s_waitcnt lgkmcnt(0)
	global_load_dword v1, v11, s[4:5]
	global_load_dword v6, v11, s[6:7]
	v_mbcnt_lo_u32_b32 v4, -1, 0
	s_abs_i32 s4, s3
	s_lshr_b32 s0, s3, 31
	v_mbcnt_hi_u32_b32 v4, -1, v4
	v_cvt_f32_u32_e32 v14, s4
	v_lshl_add_u32 v3, v12, 2, 0
	s_add_i32 s0, s3, s0
	v_and_b32_e32 v12, 0x60, v4
	s_add_i32 s1, s14, s13
	s_ashr_i32 s0, s0, 1
	v_xor_b32_e32 v13, 16, v4
	v_add_u32_e32 v12, 32, v12
	s_add_i32 s6, s1, s12
	v_xor_b32_e32 v15, 8, v4
	v_lshl_add_u32 v21, s0, 2, v3
	v_cmp_gt_i32_e32 vcc, s0, v9
	s_lshr_b32 s2, s0, 1
	v_cmp_lt_i32_e64 s[0:1], v13, v12
	v_xor_b32_e32 v16, 4, v4
	v_cndmask_b32_e64 v13, v4, v13, s[0:1]
	v_cmp_lt_i32_e64 s[0:1], v15, v12
	v_rcp_iflag_f32_e32 v22, v14
	v_xor_b32_e32 v17, 2, v4
	v_cndmask_b32_e64 v15, v4, v15, s[0:1]
	v_cmp_lt_i32_e64 s[0:1], v16, v12
	v_xor_b32_e32 v18, 1, v4
	v_cndmask_b32_e64 v16, v4, v16, s[0:1]
	v_cmp_lt_i32_e64 s[0:1], v17, v12
	v_cndmask_b32_e64 v17, v4, v17, s[0:1]
	v_cmp_lt_i32_e64 s[0:1], v18, v12
	v_cndmask_b32_e64 v18, v4, v18, s[0:1]
	v_lshlrev_b32_e32 v12, 2, v13
	v_lshlrev_b32_e32 v13, 2, v15
	v_lshlrev_b32_e32 v15, 2, v17
	v_mul_f32_e32 v17, 0x4f7ffffe, v22
	v_and_b32_e32 v19, 64, v4
	v_lshlrev_b32_e32 v14, 2, v16
	v_lshlrev_b32_e32 v16, 2, v18
	v_cvt_u32_f32_e32 v18, v17
	v_add_u32_e32 v19, 64, v19
	v_xor_b32_e32 v20, s2, v4
	v_cmp_gt_u32_e64 s[0:1], s2, v9
	v_cmp_lt_i32_e64 s[2:3], v20, v19
	s_sub_i32 s5, 0, s4
	v_cndmask_b32_e64 v4, v4, v20, s[2:3]
	v_lshlrev_b32_e32 v17, 2, v4
	v_mul_lo_u32 v4, s5, v18
	v_mul_hi_u32 v4, v18, v4
	v_add_u32_e32 v4, v18, v4
	v_or_b32_e32 v5, 2, v11
	v_mul_hi_u32 v18, v11, v4
	v_mul_hi_u32 v4, v5, v4
	v_mul_lo_u32 v18, v18, s4
	v_mul_lo_u32 v4, v4, s4
	v_sub_u32_e32 v18, v11, v18
	v_sub_u32_e32 v4, v5, v4
	v_subrev_u32_e32 v5, s4, v18
	v_cmp_le_u32_e64 s[2:3], s4, v18
	v_subrev_u32_e32 v19, s4, v4
	v_cndmask_b32_e64 v5, v18, v5, s[2:3]
	v_cmp_le_u32_e64 s[2:3], s4, v4
	v_cndmask_b32_e64 v4, v4, v19, s[2:3]
	v_subrev_u32_e32 v18, s4, v5
	v_cmp_le_u32_e64 s[2:3], s4, v5
	v_subrev_u32_e32 v19, s4, v4
	v_cndmask_b32_e64 v5, v5, v18, s[2:3]
	v_cmp_le_u32_e64 s[2:3], s4, v4
	v_cndmask_b32_e64 v4, v4, v19, s[2:3]
	v_lshlrev_b32_e32 v5, 1, v5
	v_lshlrev_b32_e32 v4, 1, v4
	s_lshl_b32 s2, s20, 2
	v_and_b32_e32 v5, -4, v5
	v_and_b32_e32 v4, -4, v4
	s_sub_i32 s2, s6, s2
	v_add_u32_e32 v18, v3, v5
	v_add_u32_e32 v20, v3, v4
	v_mul_lo_u32 v2, s2, v2
	v_lshlrev_b32_e32 v3, 8, v8
	v_lshl_add_u32 v2, v2, 6, v3
	v_add_u32_e32 v3, s21, v10
	s_mov_b32 s8, 0
	v_add_u32_e32 v19, v21, v5
	v_add_u32_e32 v21, v21, v4
	s_waitcnt vmcnt(1)
	v_lshrrev_b32_e32 v22, 16, v1
	s_waitcnt vmcnt(0)
	v_lshrrev_b32_e32 v23, 16, v6
	v_lshl_or_b32 v2, v9, 1, v2
	v_add3_u32 v8, v3, v11, 0
	s_mov_b64 s[6:7], 0
	s_mov_b32 s9, 0xffff0000
	v_mov_b32_e32 v9, s15
	s_mov_b32 s10, 0x800000
	s_mov_b32 s11, 0x7f800000
	s_movk_i32 s13, 0x7fff
	v_mov_b32_e32 v10, 0
	s_branch .LBB85_15
.LBB85_14:                              ;   in Loop: Header=BB85_15 Depth=1
	s_or_b64 exec, exec, s[4:5]
	v_lshrrev_b32_e32 v3, 16, v3
	v_and_or_b32 v11, v11, s9, v3
	v_ashrrev_i32_e32 v3, 31, v2
	v_lshlrev_b64 v[4:5], 1, v[2:3]
	v_mov_b32_e32 v3, s17
	v_add_co_u32_e64 v4, s[2:3], s16, v4
	v_addc_co_u32_e64 v5, s[2:3], v3, v5, s[2:3]
	s_add_i32 s8, s8, 1
	v_cmp_ge_i32_e64 s[2:3], s8, v7
	v_add_u32_e32 v2, 64, v2
	s_or_b64 s[6:7], s[2:3], s[6:7]
	v_add_u32_e32 v8, 0x80, v8
	global_store_dword v[4:5], v11, off
	s_andn2_b64 exec, exec, s[6:7]
	s_cbranch_execz .LBB85_25
.LBB85_15:                              ; =>This Inner Loop Header: Depth=1
	ds_read_b32 v3, v8
	v_mov_b32_e32 v11, v9
	s_waitcnt lgkmcnt(0)
	v_and_b32_e32 v24, 0xffff0000, v3
	v_lshlrev_b32_e32 v25, 16, v3
	v_pk_mul_f32 v[4:5], v[24:25], v[24:25]
	v_add_f32_e32 v3, v4, v5
	ds_bpermute_b32 v4, v12, v3
	v_add_u32_e32 v5, s8, v0
	v_cmp_gt_i32_e64 s[2:3], s12, v5
	v_cndmask_b32_e64 v5, v6, v1, s[2:3]
	s_waitcnt lgkmcnt(0)
	v_add_f32_e32 v3, v3, v4
	ds_bpermute_b32 v4, v13, v3
	s_waitcnt lgkmcnt(0)
	v_add_f32_e32 v3, v3, v4
	ds_bpermute_b32 v4, v14, v3
	;; [unrolled: 3-line block ×4, first 2 shown]
	s_waitcnt lgkmcnt(0)
	v_add_f32_e32 v3, v3, v4
	v_fmac_f32_e32 v11, 0x3c800000, v3
	v_mul_f32_e32 v3, 0x4b800000, v11
	v_cmp_gt_f32_e64 s[4:5], s10, v11
	v_cndmask_b32_e64 v3, v11, v3, s[4:5]
	v_rsq_f32_e32 v3, v3
	v_lshlrev_b32_e32 v4, 16, v5
	v_cndmask_b32_e64 v5, v23, v22, s[2:3]
	v_lshlrev_b32_e32 v5, 16, v5
	v_mul_f32_e32 v11, 0x45800000, v3
	v_cndmask_b32_e64 v3, v3, v11, s[4:5]
	v_mul_f32_e32 v4, v3, v4
	v_mul_f32_e32 v3, v3, v5
	;; [unrolled: 1-line block ×4, first 2 shown]
	s_and_saveexec_b64 s[2:3], vcc
	s_cbranch_execz .LBB85_17
; %bb.16:                               ;   in Loop: Header=BB85_15 Depth=1
	ds_bpermute_b32 v3, v17, v4
	; wave barrier
	ds_read_b32 v11, v18
	ds_read_b32 v24, v19
	ds_bpermute_b32 v25, v17, v5
	ds_read_b32 v26, v20
	ds_read_b32 v27, v21
	s_waitcnt lgkmcnt(5)
	v_cndmask_b32_e64 v3, v3, -v3, s[0:1]
	s_waitcnt lgkmcnt(3)
	v_mul_f32_e32 v24, v3, v24
	s_waitcnt lgkmcnt(2)
	v_cndmask_b32_e64 v3, v25, -v25, s[0:1]
	s_waitcnt lgkmcnt(0)
	v_mul_f32_e32 v25, v3, v27
	v_fmac_f32_e32 v24, v4, v11
	v_fmac_f32_e32 v25, v5, v26
	v_pk_mov_b32 v[4:5], v[24:25], v[24:25] op_sel:[0,1]
	; wave barrier
.LBB85_17:                              ;   in Loop: Header=BB85_15 Depth=1
	s_or_b64 exec, exec, s[2:3]
	v_and_b32_e32 v3, 0x7f800000, v4
	v_cmp_ne_u32_e64 s[2:3], s11, v3
                                        ; implicit-def: $vgpr3
	s_and_saveexec_b64 s[4:5], s[2:3]
	s_xor_b64 s[2:3], exec, s[4:5]
; %bb.18:                               ;   in Loop: Header=BB85_15 Depth=1
	v_bfe_u32 v3, v4, 16, 1
	v_add3_u32 v3, v4, v3, s13
; %bb.19:                               ;   in Loop: Header=BB85_15 Depth=1
	s_andn2_saveexec_b64 s[4:5], s[2:3]
; %bb.20:                               ;   in Loop: Header=BB85_15 Depth=1
	v_or_b32_e32 v3, 0x10000, v4
	v_cmp_eq_u32_sdwa s[2:3], v4, v10 src0_sel:WORD_0 src1_sel:DWORD
	v_cndmask_b32_e64 v3, v3, v4, s[2:3]
; %bb.21:                               ;   in Loop: Header=BB85_15 Depth=1
	s_or_b64 exec, exec, s[4:5]
	v_and_b32_e32 v4, 0x7f800000, v5
	v_cmp_ne_u32_e64 s[2:3], s11, v4
                                        ; implicit-def: $vgpr11
	s_and_saveexec_b64 s[4:5], s[2:3]
	s_xor_b64 s[2:3], exec, s[4:5]
; %bb.22:                               ;   in Loop: Header=BB85_15 Depth=1
	v_bfe_u32 v4, v5, 16, 1
	v_add3_u32 v11, v5, v4, s13
                                        ; implicit-def: $vgpr4_vgpr5
; %bb.23:                               ;   in Loop: Header=BB85_15 Depth=1
	s_andn2_saveexec_b64 s[4:5], s[2:3]
	s_cbranch_execz .LBB85_14
; %bb.24:                               ;   in Loop: Header=BB85_15 Depth=1
	v_or_b32_e32 v4, 0x10000, v5
	v_cmp_eq_u32_sdwa s[2:3], v5, v10 src0_sel:WORD_0 src1_sel:DWORD
	v_cndmask_b32_e64 v11, v4, v5, s[2:3]
	s_branch .LBB85_14
.LBB85_25:
	s_endpgm
	.section	.rodata,"a",@progbits
	.p2align	6, 0x0
	.amdhsa_kernel _ZN12tensorrt_llm7kernels32fusedQKNormRopeKernelNTokenHeadsIN3c108BFloat16EfLi64ELb0ELi4EEEvPviiifPKvS6_S6_PKlii
		.amdhsa_group_segment_fixed_size 0
		.amdhsa_private_segment_fixed_size 0
		.amdhsa_kernarg_size 320
		.amdhsa_user_sgpr_count 6
		.amdhsa_user_sgpr_private_segment_buffer 1
		.amdhsa_user_sgpr_dispatch_ptr 0
		.amdhsa_user_sgpr_queue_ptr 0
		.amdhsa_user_sgpr_kernarg_segment_ptr 1
		.amdhsa_user_sgpr_dispatch_id 0
		.amdhsa_user_sgpr_flat_scratch_init 0
		.amdhsa_user_sgpr_kernarg_preload_length 0
		.amdhsa_user_sgpr_kernarg_preload_offset 0
		.amdhsa_user_sgpr_private_segment_size 0
		.amdhsa_uses_dynamic_stack 0
		.amdhsa_system_sgpr_private_segment_wavefront_offset 0
		.amdhsa_system_sgpr_workgroup_id_x 1
		.amdhsa_system_sgpr_workgroup_id_y 0
		.amdhsa_system_sgpr_workgroup_id_z 0
		.amdhsa_system_sgpr_workgroup_info 0
		.amdhsa_system_vgpr_workitem_id 0
		.amdhsa_next_free_vgpr 28
		.amdhsa_next_free_sgpr 24
		.amdhsa_accum_offset 28
		.amdhsa_reserve_vcc 1
		.amdhsa_reserve_flat_scratch 0
		.amdhsa_float_round_mode_32 0
		.amdhsa_float_round_mode_16_64 0
		.amdhsa_float_denorm_mode_32 3
		.amdhsa_float_denorm_mode_16_64 3
		.amdhsa_dx10_clamp 1
		.amdhsa_ieee_mode 1
		.amdhsa_fp16_overflow 0
		.amdhsa_tg_split 0
		.amdhsa_exception_fp_ieee_invalid_op 0
		.amdhsa_exception_fp_denorm_src 0
		.amdhsa_exception_fp_ieee_div_zero 0
		.amdhsa_exception_fp_ieee_overflow 0
		.amdhsa_exception_fp_ieee_underflow 0
		.amdhsa_exception_fp_ieee_inexact 0
		.amdhsa_exception_int_div_zero 0
	.end_amdhsa_kernel
	.section	.text._ZN12tensorrt_llm7kernels32fusedQKNormRopeKernelNTokenHeadsIN3c108BFloat16EfLi64ELb0ELi4EEEvPviiifPKvS6_S6_PKlii,"axG",@progbits,_ZN12tensorrt_llm7kernels32fusedQKNormRopeKernelNTokenHeadsIN3c108BFloat16EfLi64ELb0ELi4EEEvPviiifPKvS6_S6_PKlii,comdat
.Lfunc_end85:
	.size	_ZN12tensorrt_llm7kernels32fusedQKNormRopeKernelNTokenHeadsIN3c108BFloat16EfLi64ELb0ELi4EEEvPviiifPKvS6_S6_PKlii, .Lfunc_end85-_ZN12tensorrt_llm7kernels32fusedQKNormRopeKernelNTokenHeadsIN3c108BFloat16EfLi64ELb0ELi4EEEvPviiifPKvS6_S6_PKlii
                                        ; -- End function
	.section	.AMDGPU.csdata,"",@progbits
; Kernel info:
; codeLenInByte = 2160
; NumSgprs: 28
; NumVgprs: 28
; NumAgprs: 0
; TotalNumVgprs: 28
; ScratchSize: 0
; MemoryBound: 0
; FloatMode: 240
; IeeeMode: 1
; LDSByteSize: 0 bytes/workgroup (compile time only)
; SGPRBlocks: 3
; VGPRBlocks: 3
; NumSGPRsForWavesPerEU: 28
; NumVGPRsForWavesPerEU: 28
; AccumOffset: 28
; Occupancy: 8
; WaveLimiterHint : 0
; COMPUTE_PGM_RSRC2:SCRATCH_EN: 0
; COMPUTE_PGM_RSRC2:USER_SGPR: 6
; COMPUTE_PGM_RSRC2:TRAP_HANDLER: 0
; COMPUTE_PGM_RSRC2:TGID_X_EN: 1
; COMPUTE_PGM_RSRC2:TGID_Y_EN: 0
; COMPUTE_PGM_RSRC2:TGID_Z_EN: 0
; COMPUTE_PGM_RSRC2:TIDIG_COMP_CNT: 0
; COMPUTE_PGM_RSRC3_GFX90A:ACCUM_OFFSET: 6
; COMPUTE_PGM_RSRC3_GFX90A:TG_SPLIT: 0
	.section	.text._ZN12tensorrt_llm7kernels32fusedQKNormRopeKernelNTokenHeadsIN3c108BFloat16EfLi128ELb1ELi4EEEvPviiifPKvS6_S6_PKlii,"axG",@progbits,_ZN12tensorrt_llm7kernels32fusedQKNormRopeKernelNTokenHeadsIN3c108BFloat16EfLi128ELb1ELi4EEEvPviiifPKvS6_S6_PKlii,comdat
	.protected	_ZN12tensorrt_llm7kernels32fusedQKNormRopeKernelNTokenHeadsIN3c108BFloat16EfLi128ELb1ELi4EEEvPviiifPKvS6_S6_PKlii ; -- Begin function _ZN12tensorrt_llm7kernels32fusedQKNormRopeKernelNTokenHeadsIN3c108BFloat16EfLi128ELb1ELi4EEEvPviiifPKvS6_S6_PKlii
	.globl	_ZN12tensorrt_llm7kernels32fusedQKNormRopeKernelNTokenHeadsIN3c108BFloat16EfLi128ELb1ELi4EEEvPviiifPKvS6_S6_PKlii
	.p2align	8
	.type	_ZN12tensorrt_llm7kernels32fusedQKNormRopeKernelNTokenHeadsIN3c108BFloat16EfLi128ELb1ELi4EEEvPviiifPKvS6_S6_PKlii,@function
_ZN12tensorrt_llm7kernels32fusedQKNormRopeKernelNTokenHeadsIN3c108BFloat16EfLi128ELb1ELi4EEEvPviiifPKvS6_S6_PKlii: ; @_ZN12tensorrt_llm7kernels32fusedQKNormRopeKernelNTokenHeadsIN3c108BFloat16EfLi128ELb1ELi4EEEvPviiifPKvS6_S6_PKlii
; %bb.0:
	s_load_dwordx4 s[12:15], s[4:5], 0x8
	s_load_dwordx2 s[16:17], s[4:5], 0x38
	s_load_dword s1, s[4:5], 0x4c
	v_lshrrev_b32_e32 v2, 5, v0
	s_waitcnt lgkmcnt(0)
	s_add_i32 s0, s13, s12
	s_add_i32 s2, s0, 3
	s_ashr_i32 s3, s2, 31
	s_lshr_b32 s3, s3, 30
	s_add_i32 s2, s2, s3
	s_ashr_i32 s20, s2, 2
	s_abs_i32 s2, s20
	v_cvt_f32_u32_e32 v1, s2
	s_bfe_u32 s1, s1, 0xb0005
	s_mul_i32 s6, s6, s1
	s_sub_i32 s3, 0, s2
	v_rcp_iflag_f32_e32 v3, v1
	v_add_u32_e32 v1, s6, v2
	v_sub_u32_e32 v4, 0, v1
	v_max_i32_e32 v4, v1, v4
	v_mul_f32_e32 v3, 0x4f7ffffe, v3
	v_cvt_u32_f32_e32 v3, v3
	v_xor_b32_e32 v5, s20, v1
	v_ashrrev_i32_e32 v5, 31, v5
	v_mul_lo_u32 v6, s3, v3
	v_mul_hi_u32 v6, v3, v6
	v_add_u32_e32 v3, v3, v6
	v_mul_hi_u32 v3, v4, v3
	v_mul_lo_u32 v6, v3, s2
	v_sub_u32_e32 v4, v4, v6
	v_add_u32_e32 v6, 1, v3
	v_cmp_le_u32_e32 vcc, s2, v4
	v_cndmask_b32_e32 v3, v3, v6, vcc
	v_subrev_u32_e32 v6, s2, v4
	v_cndmask_b32_e32 v4, v4, v6, vcc
	v_add_u32_e32 v6, 1, v3
	v_cmp_le_u32_e32 vcc, s2, v4
	v_cndmask_b32_e32 v3, v3, v6, vcc
	v_xor_b32_e32 v3, v3, v5
	v_sub_u32_e32 v4, v3, v5
	v_cmp_gt_i32_e32 vcc, s16, v4
	s_and_saveexec_b64 s[2:3], vcc
	s_cbranch_execz .LBB86_28
; %bb.1:
	v_and_b32_e32 v6, 31, v0
	v_mul_lo_u32 v0, v4, s20
	v_sub_u32_e32 v0, v1, v0
	s_load_dwordx2 s[2:3], s[4:5], 0x0
	v_lshlrev_b32_e32 v10, 2, v0
	v_add_u32_e32 v0, 4, v10
	v_sub_u32_e32 v3, s0, v10
	v_cmp_lt_i32_e32 vcc, s0, v0
	v_cndmask_b32_e32 v11, 4, v3, vcc
	s_lshl_b32 s18, s17, 2
	s_mul_i32 s16, s18, s1
	v_lshlrev_b32_e32 v9, 10, v2
	v_cmp_lt_i32_e64 s[0:1], 0, v11
	v_lshlrev_b32_e32 v8, 3, v6
	v_lshlrev_b32_e32 v7, 9, v1
	s_and_saveexec_b64 s[6:7], s[0:1]
	s_cbranch_execz .LBB86_4
; %bb.2:
	s_add_i32 s8, s16, 0
	v_add3_u32 v3, s8, v9, v8
	s_add_i32 s8, s14, s13
	s_add_i32 s8, s8, s12
	s_lshl_b32 s9, s20, 2
	s_sub_i32 s8, s8, s9
	v_mul_lo_u32 v0, s8, v4
	v_lshl_add_u32 v0, v0, 7, v7
	s_mov_b32 s10, 0
	v_lshl_or_b32 v0, v6, 2, v0
	s_mov_b64 s[8:9], 0
	s_waitcnt lgkmcnt(0)
	v_mov_b32_e32 v5, s3
.LBB86_3:                               ; =>This Inner Loop Header: Depth=1
	v_ashrrev_i32_e32 v1, 31, v0
	v_lshlrev_b64 v[12:13], 1, v[0:1]
	v_add_co_u32_e32 v12, vcc, s2, v12
	v_addc_co_u32_e32 v13, vcc, v5, v13, vcc
	global_load_dwordx2 v[12:13], v[12:13], off
	s_add_i32 s10, s10, 1
	v_cmp_ge_i32_e32 vcc, s10, v11
	v_add_u32_e32 v0, 0x80, v0
	s_or_b64 s[8:9], vcc, s[8:9]
	s_waitcnt vmcnt(0)
	ds_write_b64 v3, v[12:13]
	v_add_u32_e32 v3, 0x100, v3
	s_andn2_b64 exec, exec, s[8:9]
	s_cbranch_execnz .LBB86_3
.LBB86_4:
	s_or_b64 exec, exec, s[6:7]
	s_add_i32 s18, s18, 15
	s_load_dwordx8 s[4:11], s[4:5], 0x18
	s_ashr_i32 s19, s18, 31
	s_lshr_b32 s19, s19, 28
	s_add_i32 s18, s18, s19
	s_ashr_i32 s21, s18, 4
	v_mul_lo_u32 v0, v2, s17
	v_cmp_gt_i32_e32 vcc, s21, v6
	v_lshlrev_b32_e32 v12, 2, v0
	s_and_saveexec_b64 s[18:19], vcc
	s_cbranch_execz .LBB86_7
; %bb.5:
	v_ashrrev_i32_e32 v5, 31, v4
	v_lshlrev_b64 v[0:1], 3, v[4:5]
	s_waitcnt lgkmcnt(0)
	v_mov_b32_e32 v2, s11
	v_add_co_u32_e32 v0, vcc, s10, v0
	v_addc_co_u32_e32 v1, vcc, v2, v1, vcc
	global_load_dwordx2 v[0:1], v[0:1], off
	s_ashr_i32 s22, s17, 31
	v_lshlrev_b32_e32 v3, 4, v6
	v_mov_b32_e32 v5, s9
	s_mov_b64 s[10:11], 0
	v_add3_u32 v2, v12, v3, 0
	s_waitcnt vmcnt(0)
	v_mul_lo_u32 v13, v1, s17
	v_mul_lo_u32 v14, v0, s22
	v_mad_u64_u32 v[0:1], s[22:23], v0, s17, 0
	v_add3_u32 v1, v1, v14, v13
	v_lshlrev_b64 v[0:1], 2, v[0:1]
	v_add_co_u32_e32 v0, vcc, v0, v3
	v_addc_co_u32_e32 v1, vcc, 0, v1, vcc
	v_add_co_u32_e32 v0, vcc, s8, v0
	v_addc_co_u32_e32 v1, vcc, v5, v1, vcc
	v_mov_b32_e32 v3, v6
.LBB86_6:                               ; =>This Inner Loop Header: Depth=1
	global_load_dwordx4 v[14:17], v[0:1], off
	v_add_co_u32_e32 v0, vcc, 0x200, v0
	v_add_u32_e32 v3, 32, v3
	v_addc_co_u32_e32 v1, vcc, 0, v1, vcc
	v_cmp_le_i32_e32 vcc, s21, v3
	s_or_b64 s[10:11], vcc, s[10:11]
	s_waitcnt vmcnt(0)
	ds_write_b128 v2, v[14:17]
	v_add_u32_e32 v2, 0x200, v2
	s_andn2_b64 exec, exec, s[10:11]
	s_cbranch_execnz .LBB86_6
.LBB86_7:
	s_or_b64 exec, exec, s[18:19]
	s_and_b64 exec, exec, s[0:1]
	s_cbranch_execz .LBB86_28
; %bb.8:
	s_waitcnt lgkmcnt(0)
	global_load_dwordx2 v[0:1], v8, s[4:5]
	global_load_dwordx2 v[2:3], v8, s[6:7]
	v_mbcnt_lo_u32_b32 v5, -1, 0
	v_add_u32_e32 v9, s16, v9
	v_mbcnt_hi_u32_b32 v5, -1, v5
	v_add3_u32 v12, 0, v12, v8
	v_add3_u32 v14, v9, v8, 0
	v_and_b32_e32 v8, 0x60, v5
	v_xor_b32_e32 v9, 16, v5
	v_add_u32_e32 v8, 32, v8
	v_xor_b32_e32 v15, 8, v5
	v_cmp_lt_i32_e32 vcc, v9, v8
	s_add_i32 s6, s14, s13
	v_xor_b32_e32 v16, 4, v5
	v_cndmask_b32_e32 v9, v5, v9, vcc
	v_cmp_lt_i32_e32 vcc, v15, v8
	s_lshr_b32 s0, s17, 31
	s_ashr_i32 s1, s17, 31
	s_lshl_b32 s7, s20, 2
	s_add_i32 s6, s6, s12
	v_xor_b32_e32 v17, 2, v5
	v_cndmask_b32_e32 v19, v5, v15, vcc
	v_cmp_lt_i32_e32 vcc, v16, v8
	s_add_i32 s0, s17, s0
	s_lshr_b32 s1, s1, 30
	v_xor_b32_e32 v18, 1, v5
	s_sub_i32 s6, s6, s7
	v_cndmask_b32_e32 v20, v5, v16, vcc
	v_cmp_lt_i32_e32 vcc, v17, v8
	s_lshl_b32 s0, s0, 1
	s_add_i32 s1, s17, s1
	v_mul_lo_u32 v4, s6, v4
	v_cndmask_b32_e32 v21, v5, v17, vcc
	v_cmp_lt_i32_e32 vcc, v18, v8
	s_and_b32 s0, s0, -4
	s_ashr_i32 s1, s1, 2
	v_cndmask_b32_e32 v5, v5, v18, vcc
	v_lshl_add_u32 v4, v4, 7, v7
	s_mov_b32 s8, 0
	s_mov_b64 s[4:5], 0
	s_mov_b32 s9, 0xffff0000
	v_mov_b32_e32 v13, s15
	s_mov_b32 s10, 0x800000
	s_mov_b32 s11, 0x7f800000
	s_movk_i32 s13, 0x7fff
	v_cmp_gt_i32_e32 vcc, s1, v6
	v_add_u32_e32 v15, s0, v12
	v_lshlrev_b32_e32 v16, 2, v9
	v_lshlrev_b32_e32 v17, 2, v19
	;; [unrolled: 1-line block ×5, first 2 shown]
	v_lshl_or_b32 v4, v6, 2, v4
	v_mov_b32_e32 v25, 0
	s_waitcnt vmcnt(1)
	v_lshrrev_b32_e32 v21, 16, v0
	s_waitcnt vmcnt(0)
	v_lshrrev_b32_e32 v22, 16, v2
	v_lshrrev_b32_e32 v23, 16, v1
	;; [unrolled: 1-line block ×3, first 2 shown]
	s_branch .LBB86_10
.LBB86_9:                               ;   in Loop: Header=BB86_10 Depth=1
	s_or_b64 exec, exec, s[6:7]
	v_lshrrev_b32_e32 v28, 16, v5
	v_ashrrev_i32_e32 v5, 31, v4
	v_lshlrev_b64 v[26:27], 1, v[4:5]
	v_mov_b32_e32 v5, s3
	v_add_co_u32_e64 v26, s[0:1], s2, v26
	v_addc_co_u32_e64 v27, s[0:1], v5, v27, s[0:1]
	s_add_i32 s8, s8, 1
	v_and_b32_e32 v5, 0xffff0000, v6
	v_cmp_ge_i32_e64 s[0:1], s8, v11
	v_or_b32_sdwa v7, v5, v9 dst_sel:DWORD dst_unused:UNUSED_PAD src0_sel:DWORD src1_sel:WORD_1
	v_and_or_b32 v6, v8, s9, v28
	v_add_u32_e32 v4, 0x80, v4
	s_or_b64 s[4:5], s[0:1], s[4:5]
	v_add_u32_e32 v14, 0x100, v14
	global_store_dwordx2 v[26:27], v[6:7], off
	s_andn2_b64 exec, exec, s[4:5]
	s_cbranch_execz .LBB86_28
.LBB86_10:                              ; =>This Inner Loop Header: Depth=1
	ds_read_b64 v[6:7], v14
	s_waitcnt lgkmcnt(0)
	v_alignbit_b32 v5, v7, v6, 16
	v_lshlrev_b32_e32 v8, 16, v6
	v_and_b32_e32 v9, 0xffff0000, v6
	v_and_b32_e32 v7, 0xffff0000, v7
	;; [unrolled: 1-line block ×3, first 2 shown]
	v_pk_mul_f32 v[26:27], v[8:9], v[8:9]
	v_pk_mul_f32 v[28:29], v[6:7], v[6:7]
	v_add_f32_e32 v5, v26, v27
	v_add_f32_e32 v5, v5, v28
	;; [unrolled: 1-line block ×3, first 2 shown]
	ds_bpermute_b32 v26, v16, v5
	v_add_u32_e32 v27, s8, v10
	v_mov_b32_e32 v28, v13
	v_cmp_gt_i32_e64 s[0:1], s12, v27
	v_cndmask_b32_e64 v27, v22, v21, s[0:1]
	s_waitcnt lgkmcnt(0)
	v_add_f32_e32 v5, v5, v26
	ds_bpermute_b32 v26, v17, v5
	v_cndmask_b32_e64 v29, v2, v0, s[0:1]
	v_cndmask_b32_e64 v30, v24, v23, s[0:1]
	;; [unrolled: 1-line block ×3, first 2 shown]
	v_lshlrev_b32_e32 v27, 16, v27
	s_waitcnt lgkmcnt(0)
	v_add_f32_e32 v5, v5, v26
	ds_bpermute_b32 v26, v18, v5
	s_waitcnt lgkmcnt(0)
	v_add_f32_e32 v5, v5, v26
	ds_bpermute_b32 v26, v19, v5
	;; [unrolled: 3-line block ×3, first 2 shown]
	s_waitcnt lgkmcnt(0)
	v_add_f32_e32 v5, v5, v26
	v_fmac_f32_e32 v28, 0x3c000000, v5
	v_mul_f32_e32 v5, 0x4b800000, v28
	v_cmp_gt_f32_e64 s[0:1], s10, v28
	v_cndmask_b32_e64 v5, v28, v5, s[0:1]
	v_rsq_f32_e32 v5, v5
	v_lshlrev_b32_e32 v26, 16, v29
	v_lshlrev_b32_e32 v29, 16, v30
	v_lshlrev_b32_e32 v28, 16, v31
	v_mul_f32_e32 v30, 0x45800000, v5
	v_cndmask_b32_e64 v30, v5, v30, s[0:1]
	v_pk_mul_f32 v[26:27], v[30:31], v[26:27] op_sel_hi:[0,1]
	v_pk_mul_f32 v[28:29], v[30:31], v[28:29] op_sel_hi:[0,1]
	v_pk_mul_f32 v[8:9], v[26:27], v[8:9]
	v_pk_mul_f32 v[6:7], v[28:29], v[6:7]
	s_and_saveexec_b64 s[0:1], vcc
	s_cbranch_execz .LBB86_12
; %bb.11:                               ;   in Loop: Header=BB86_10 Depth=1
	ds_read2_b32 v[26:27], v15 offset1:1
	ds_read2_b32 v[28:29], v12 offset1:1
	s_waitcnt lgkmcnt(1)
	v_pk_mul_f32 v[30:31], v[8:9], v[26:27] op_sel_hi:[1,0]
	s_waitcnt lgkmcnt(0)
	v_pk_mul_f32 v[32:33], v[8:9], v[28:29] op_sel_hi:[1,0]
	v_pk_fma_f32 v[8:9], v[8:9], v[28:29], v[30:31] op_sel:[0,0,1] op_sel_hi:[1,0,0]
	v_mov_b32_e32 v28, v27
	v_mul_f32_e32 v5, v7, v27
	v_pk_mul_f32 v[26:27], v[6:7], v[28:29]
	v_mov_b32_e32 v8, v27
	v_fma_f32 v5, v6, v29, -v5
	v_pk_fma_f32 v[26:27], v[6:7], v[28:29], v[8:9]
	v_sub_f32_e32 v8, v32, v31
	v_mov_b32_e32 v6, v5
	v_mov_b32_e32 v7, v26
.LBB86_12:                              ;   in Loop: Header=BB86_10 Depth=1
	s_or_b64 exec, exec, s[0:1]
	v_and_b32_e32 v5, 0x7f800000, v8
	v_cmp_ne_u32_e64 s[0:1], s11, v5
                                        ; implicit-def: $vgpr5
	s_and_saveexec_b64 s[6:7], s[0:1]
	s_xor_b64 s[0:1], exec, s[6:7]
; %bb.13:                               ;   in Loop: Header=BB86_10 Depth=1
	v_bfe_u32 v5, v8, 16, 1
	v_add3_u32 v5, v8, v5, s13
; %bb.14:                               ;   in Loop: Header=BB86_10 Depth=1
	s_andn2_saveexec_b64 s[6:7], s[0:1]
; %bb.15:                               ;   in Loop: Header=BB86_10 Depth=1
	v_or_b32_e32 v5, 0x10000, v8
	v_cmp_eq_u32_sdwa s[0:1], v8, v25 src0_sel:WORD_0 src1_sel:DWORD
	v_cndmask_b32_e64 v5, v5, v8, s[0:1]
; %bb.16:                               ;   in Loop: Header=BB86_10 Depth=1
	s_or_b64 exec, exec, s[6:7]
	v_and_b32_e32 v8, 0x7f800000, v9
	v_cmp_ne_u32_e64 s[0:1], s11, v8
                                        ; implicit-def: $vgpr8
	s_and_saveexec_b64 s[6:7], s[0:1]
	s_xor_b64 s[0:1], exec, s[6:7]
; %bb.17:                               ;   in Loop: Header=BB86_10 Depth=1
	v_bfe_u32 v8, v9, 16, 1
	v_add3_u32 v8, v9, v8, s13
                                        ; implicit-def: $vgpr9
; %bb.18:                               ;   in Loop: Header=BB86_10 Depth=1
	s_andn2_saveexec_b64 s[6:7], s[0:1]
; %bb.19:                               ;   in Loop: Header=BB86_10 Depth=1
	v_or_b32_e32 v8, 0x10000, v9
	v_cmp_eq_u32_sdwa s[0:1], v9, v25 src0_sel:WORD_0 src1_sel:DWORD
	v_cndmask_b32_e64 v8, v8, v9, s[0:1]
; %bb.20:                               ;   in Loop: Header=BB86_10 Depth=1
	s_or_b64 exec, exec, s[6:7]
	v_and_b32_e32 v9, 0x7f800000, v6
	v_cmp_ne_u32_e64 s[0:1], s11, v9
                                        ; implicit-def: $vgpr9
	s_and_saveexec_b64 s[6:7], s[0:1]
	s_xor_b64 s[0:1], exec, s[6:7]
; %bb.21:                               ;   in Loop: Header=BB86_10 Depth=1
	v_bfe_u32 v9, v6, 16, 1
	v_add3_u32 v9, v6, v9, s13
; %bb.22:                               ;   in Loop: Header=BB86_10 Depth=1
	s_andn2_saveexec_b64 s[6:7], s[0:1]
; %bb.23:                               ;   in Loop: Header=BB86_10 Depth=1
	v_or_b32_e32 v9, 0x10000, v6
	v_cmp_eq_u32_sdwa s[0:1], v6, v25 src0_sel:WORD_0 src1_sel:DWORD
	v_cndmask_b32_e64 v9, v9, v6, s[0:1]
; %bb.24:                               ;   in Loop: Header=BB86_10 Depth=1
	s_or_b64 exec, exec, s[6:7]
	v_and_b32_e32 v6, 0x7f800000, v7
	v_cmp_ne_u32_e64 s[0:1], s11, v6
                                        ; implicit-def: $vgpr6
	s_and_saveexec_b64 s[6:7], s[0:1]
	s_xor_b64 s[0:1], exec, s[6:7]
; %bb.25:                               ;   in Loop: Header=BB86_10 Depth=1
	v_bfe_u32 v6, v7, 16, 1
	v_add3_u32 v6, v7, v6, s13
                                        ; implicit-def: $vgpr7
; %bb.26:                               ;   in Loop: Header=BB86_10 Depth=1
	s_andn2_saveexec_b64 s[6:7], s[0:1]
	s_cbranch_execz .LBB86_9
; %bb.27:                               ;   in Loop: Header=BB86_10 Depth=1
	v_or_b32_e32 v6, 0x10000, v7
	v_cmp_eq_u32_sdwa s[0:1], v7, v25 src0_sel:WORD_0 src1_sel:DWORD
	v_cndmask_b32_e64 v6, v6, v7, s[0:1]
	s_branch .LBB86_9
.LBB86_28:
	s_endpgm
	.section	.rodata,"a",@progbits
	.p2align	6, 0x0
	.amdhsa_kernel _ZN12tensorrt_llm7kernels32fusedQKNormRopeKernelNTokenHeadsIN3c108BFloat16EfLi128ELb1ELi4EEEvPviiifPKvS6_S6_PKlii
		.amdhsa_group_segment_fixed_size 0
		.amdhsa_private_segment_fixed_size 0
		.amdhsa_kernarg_size 320
		.amdhsa_user_sgpr_count 6
		.amdhsa_user_sgpr_private_segment_buffer 1
		.amdhsa_user_sgpr_dispatch_ptr 0
		.amdhsa_user_sgpr_queue_ptr 0
		.amdhsa_user_sgpr_kernarg_segment_ptr 1
		.amdhsa_user_sgpr_dispatch_id 0
		.amdhsa_user_sgpr_flat_scratch_init 0
		.amdhsa_user_sgpr_kernarg_preload_length 0
		.amdhsa_user_sgpr_kernarg_preload_offset 0
		.amdhsa_user_sgpr_private_segment_size 0
		.amdhsa_uses_dynamic_stack 0
		.amdhsa_system_sgpr_private_segment_wavefront_offset 0
		.amdhsa_system_sgpr_workgroup_id_x 1
		.amdhsa_system_sgpr_workgroup_id_y 0
		.amdhsa_system_sgpr_workgroup_id_z 0
		.amdhsa_system_sgpr_workgroup_info 0
		.amdhsa_system_vgpr_workitem_id 0
		.amdhsa_next_free_vgpr 34
		.amdhsa_next_free_sgpr 24
		.amdhsa_accum_offset 36
		.amdhsa_reserve_vcc 1
		.amdhsa_reserve_flat_scratch 0
		.amdhsa_float_round_mode_32 0
		.amdhsa_float_round_mode_16_64 0
		.amdhsa_float_denorm_mode_32 3
		.amdhsa_float_denorm_mode_16_64 3
		.amdhsa_dx10_clamp 1
		.amdhsa_ieee_mode 1
		.amdhsa_fp16_overflow 0
		.amdhsa_tg_split 0
		.amdhsa_exception_fp_ieee_invalid_op 0
		.amdhsa_exception_fp_denorm_src 0
		.amdhsa_exception_fp_ieee_div_zero 0
		.amdhsa_exception_fp_ieee_overflow 0
		.amdhsa_exception_fp_ieee_underflow 0
		.amdhsa_exception_fp_ieee_inexact 0
		.amdhsa_exception_int_div_zero 0
	.end_amdhsa_kernel
	.section	.text._ZN12tensorrt_llm7kernels32fusedQKNormRopeKernelNTokenHeadsIN3c108BFloat16EfLi128ELb1ELi4EEEvPviiifPKvS6_S6_PKlii,"axG",@progbits,_ZN12tensorrt_llm7kernels32fusedQKNormRopeKernelNTokenHeadsIN3c108BFloat16EfLi128ELb1ELi4EEEvPviiifPKvS6_S6_PKlii,comdat
.Lfunc_end86:
	.size	_ZN12tensorrt_llm7kernels32fusedQKNormRopeKernelNTokenHeadsIN3c108BFloat16EfLi128ELb1ELi4EEEvPviiifPKvS6_S6_PKlii, .Lfunc_end86-_ZN12tensorrt_llm7kernels32fusedQKNormRopeKernelNTokenHeadsIN3c108BFloat16EfLi128ELb1ELi4EEEvPviiifPKvS6_S6_PKlii
                                        ; -- End function
	.section	.AMDGPU.csdata,"",@progbits
; Kernel info:
; codeLenInByte = 1804
; NumSgprs: 28
; NumVgprs: 34
; NumAgprs: 0
; TotalNumVgprs: 34
; ScratchSize: 0
; MemoryBound: 0
; FloatMode: 240
; IeeeMode: 1
; LDSByteSize: 0 bytes/workgroup (compile time only)
; SGPRBlocks: 3
; VGPRBlocks: 4
; NumSGPRsForWavesPerEU: 28
; NumVGPRsForWavesPerEU: 34
; AccumOffset: 36
; Occupancy: 8
; WaveLimiterHint : 0
; COMPUTE_PGM_RSRC2:SCRATCH_EN: 0
; COMPUTE_PGM_RSRC2:USER_SGPR: 6
; COMPUTE_PGM_RSRC2:TRAP_HANDLER: 0
; COMPUTE_PGM_RSRC2:TGID_X_EN: 1
; COMPUTE_PGM_RSRC2:TGID_Y_EN: 0
; COMPUTE_PGM_RSRC2:TGID_Z_EN: 0
; COMPUTE_PGM_RSRC2:TIDIG_COMP_CNT: 0
; COMPUTE_PGM_RSRC3_GFX90A:ACCUM_OFFSET: 8
; COMPUTE_PGM_RSRC3_GFX90A:TG_SPLIT: 0
	.section	.text._ZN12tensorrt_llm7kernels32fusedQKNormRopeKernelNTokenHeadsIN3c108BFloat16EfLi128ELb0ELi4EEEvPviiifPKvS6_S6_PKlii,"axG",@progbits,_ZN12tensorrt_llm7kernels32fusedQKNormRopeKernelNTokenHeadsIN3c108BFloat16EfLi128ELb0ELi4EEEvPviiifPKvS6_S6_PKlii,comdat
	.protected	_ZN12tensorrt_llm7kernels32fusedQKNormRopeKernelNTokenHeadsIN3c108BFloat16EfLi128ELb0ELi4EEEvPviiifPKvS6_S6_PKlii ; -- Begin function _ZN12tensorrt_llm7kernels32fusedQKNormRopeKernelNTokenHeadsIN3c108BFloat16EfLi128ELb0ELi4EEEvPviiifPKvS6_S6_PKlii
	.globl	_ZN12tensorrt_llm7kernels32fusedQKNormRopeKernelNTokenHeadsIN3c108BFloat16EfLi128ELb0ELi4EEEvPviiifPKvS6_S6_PKlii
	.p2align	8
	.type	_ZN12tensorrt_llm7kernels32fusedQKNormRopeKernelNTokenHeadsIN3c108BFloat16EfLi128ELb0ELi4EEEvPviiifPKvS6_S6_PKlii,@function
_ZN12tensorrt_llm7kernels32fusedQKNormRopeKernelNTokenHeadsIN3c108BFloat16EfLi128ELb0ELi4EEEvPviiifPKvS6_S6_PKlii: ; @_ZN12tensorrt_llm7kernels32fusedQKNormRopeKernelNTokenHeadsIN3c108BFloat16EfLi128ELb0ELi4EEEvPviiifPKvS6_S6_PKlii
; %bb.0:
	s_load_dwordx4 s[12:15], s[4:5], 0x8
	s_load_dwordx2 s[2:3], s[4:5], 0x38
	s_load_dword s1, s[4:5], 0x4c
	v_lshrrev_b32_e32 v3, 5, v0
	s_waitcnt lgkmcnt(0)
	s_add_i32 s0, s13, s12
	s_add_i32 s7, s0, 3
	s_ashr_i32 s8, s7, 31
	s_lshr_b32 s8, s8, 30
	s_add_i32 s7, s7, s8
	s_ashr_i32 s20, s7, 2
	s_abs_i32 s7, s20
	v_cvt_f32_u32_e32 v1, s7
	s_bfe_u32 s1, s1, 0xb0005
	s_mul_i32 s6, s6, s1
	v_rcp_iflag_f32_e32 v2, v1
	v_add_u32_e32 v1, s6, v3
	s_sub_i32 s6, 0, s7
	v_sub_u32_e32 v4, 0, v1
	v_mul_f32_e32 v2, 0x4f7ffffe, v2
	v_cvt_u32_f32_e32 v2, v2
	v_max_i32_e32 v4, v1, v4
	v_xor_b32_e32 v5, s20, v1
	v_ashrrev_i32_e32 v5, 31, v5
	v_mul_lo_u32 v6, s6, v2
	v_mul_hi_u32 v6, v2, v6
	v_add_u32_e32 v2, v2, v6
	v_mul_hi_u32 v2, v4, v2
	v_mul_lo_u32 v6, v2, s7
	v_sub_u32_e32 v4, v4, v6
	v_add_u32_e32 v6, 1, v2
	v_cmp_le_u32_e32 vcc, s7, v4
	v_cndmask_b32_e32 v2, v2, v6, vcc
	v_subrev_u32_e32 v6, s7, v4
	v_cndmask_b32_e32 v4, v4, v6, vcc
	v_add_u32_e32 v6, 1, v2
	v_cmp_le_u32_e32 vcc, s7, v4
	v_cndmask_b32_e32 v2, v2, v6, vcc
	v_xor_b32_e32 v2, v2, v5
	v_sub_u32_e32 v2, v2, v5
	v_cmp_gt_i32_e32 vcc, s2, v2
	s_and_saveexec_b64 s[6:7], vcc
	s_cbranch_execz .LBB87_28
; %bb.1:
	v_and_b32_e32 v8, 31, v0
	v_mul_lo_u32 v0, v2, s20
	v_sub_u32_e32 v0, v1, v0
	s_load_dwordx2 s[16:17], s[4:5], 0x0
	v_lshlrev_b32_e32 v10, 2, v0
	v_add_u32_e32 v0, 4, v10
	v_sub_u32_e32 v4, s0, v10
	v_cmp_lt_i32_e32 vcc, s0, v0
	v_cndmask_b32_e32 v11, 4, v4, vcc
	s_lshl_b32 s2, s3, 2
	s_mul_i32 s21, s2, s1
	v_lshlrev_b32_e32 v9, 10, v3
	v_cmp_lt_i32_e64 s[0:1], 0, v11
	v_lshlrev_b32_e32 v24, 3, v8
	v_lshlrev_b32_e32 v27, 9, v1
	s_and_saveexec_b64 s[6:7], s[0:1]
	s_cbranch_execz .LBB87_4
; %bb.2:
	s_add_i32 s8, s21, 0
	v_add3_u32 v4, s8, v9, v24
	s_add_i32 s8, s14, s13
	s_add_i32 s8, s8, s12
	s_lshl_b32 s9, s20, 2
	s_sub_i32 s8, s8, s9
	v_mul_lo_u32 v0, s8, v2
	v_lshl_add_u32 v0, v0, 7, v27
	s_mov_b32 s10, 0
	v_lshl_or_b32 v0, v8, 2, v0
	s_mov_b64 s[8:9], 0
	s_waitcnt lgkmcnt(0)
	v_mov_b32_e32 v5, s17
.LBB87_3:                               ; =>This Inner Loop Header: Depth=1
	v_ashrrev_i32_e32 v1, 31, v0
	v_lshlrev_b64 v[6:7], 1, v[0:1]
	v_add_co_u32_e32 v6, vcc, s16, v6
	v_addc_co_u32_e32 v7, vcc, v5, v7, vcc
	global_load_dwordx2 v[6:7], v[6:7], off
	s_add_i32 s10, s10, 1
	v_cmp_ge_i32_e32 vcc, s10, v11
	v_add_u32_e32 v0, 0x80, v0
	s_or_b64 s[8:9], vcc, s[8:9]
	s_waitcnt vmcnt(0)
	ds_write_b64 v4, v[6:7]
	v_add_u32_e32 v4, 0x100, v4
	s_andn2_b64 exec, exec, s[8:9]
	s_cbranch_execnz .LBB87_3
.LBB87_4:
	s_or_b64 exec, exec, s[6:7]
	s_add_i32 s2, s2, 15
	s_load_dwordx8 s[4:11], s[4:5], 0x18
	s_ashr_i32 s18, s2, 31
	s_lshr_b32 s18, s18, 28
	s_add_i32 s2, s2, s18
	s_ashr_i32 s2, s2, 4
	v_cmp_gt_i32_e32 vcc, s2, v8
	v_mul_lo_u32 v12, v3, s3
	s_and_saveexec_b64 s[18:19], vcc
	s_cbranch_execz .LBB87_7
; %bb.5:
	v_ashrrev_i32_e32 v3, 31, v2
	v_lshlrev_b64 v[0:1], 3, v[2:3]
	s_waitcnt lgkmcnt(0)
	v_mov_b32_e32 v3, s11
	v_add_co_u32_e32 v0, vcc, s10, v0
	v_addc_co_u32_e32 v1, vcc, v3, v1, vcc
	global_load_dwordx2 v[0:1], v[0:1], off
	s_ashr_i32 s22, s3, 31
	v_lshlrev_b32_e32 v4, 4, v8
	v_lshlrev_b32_e32 v3, 2, v12
	v_mov_b32_e32 v5, s9
	s_mov_b64 s[10:11], 0
	v_add3_u32 v3, v3, v4, 0
	s_waitcnt vmcnt(0)
	v_mul_lo_u32 v6, v1, s3
	v_mul_lo_u32 v7, v0, s22
	v_mad_u64_u32 v[0:1], s[22:23], v0, s3, 0
	v_add3_u32 v1, v1, v7, v6
	v_lshlrev_b64 v[0:1], 2, v[0:1]
	v_add_co_u32_e32 v0, vcc, v0, v4
	v_addc_co_u32_e32 v1, vcc, 0, v1, vcc
	v_add_co_u32_e32 v0, vcc, s8, v0
	v_addc_co_u32_e32 v1, vcc, v5, v1, vcc
	v_mov_b32_e32 v4, v8
.LBB87_6:                               ; =>This Inner Loop Header: Depth=1
	global_load_dwordx4 v[14:17], v[0:1], off
	v_add_co_u32_e32 v0, vcc, 0x200, v0
	v_add_u32_e32 v4, 32, v4
	v_addc_co_u32_e32 v1, vcc, 0, v1, vcc
	v_cmp_le_i32_e32 vcc, s2, v4
	s_or_b64 s[10:11], vcc, s[10:11]
	s_waitcnt vmcnt(0)
	ds_write_b128 v3, v[14:17]
	v_add_u32_e32 v3, 0x200, v3
	s_andn2_b64 exec, exec, s[10:11]
	s_cbranch_execnz .LBB87_6
.LBB87_7:
	s_or_b64 exec, exec, s[18:19]
	s_and_b64 exec, exec, s[0:1]
	s_cbranch_execz .LBB87_28
; %bb.8:
	s_waitcnt lgkmcnt(0)
	global_load_dwordx2 v[4:5], v24, s[4:5]
	global_load_dwordx2 v[6:7], v24, s[6:7]
	v_mbcnt_lo_u32_b32 v1, -1, 0
	s_abs_i32 s4, s3
	v_mbcnt_hi_u32_b32 v1, -1, v1
	v_cvt_f32_u32_e32 v14, s4
	v_lshl_add_u32 v0, v12, 2, 0
	v_and_b32_e32 v12, 0x60, v1
	v_xor_b32_e32 v13, 16, v1
	v_add_u32_e32 v12, 32, v12
	v_xor_b32_e32 v15, 8, v1
	v_cmp_lt_i32_e32 vcc, v13, v12
	v_xor_b32_e32 v16, 4, v1
	v_cndmask_b32_e32 v13, v1, v13, vcc
	v_cmp_lt_i32_e32 vcc, v15, v12
	v_rcp_iflag_f32_e32 v21, v14
	v_xor_b32_e32 v17, 2, v1
	v_cndmask_b32_e32 v15, v1, v15, vcc
	v_cmp_lt_i32_e32 vcc, v16, v12
	s_ashr_i32 s1, s3, 31
	v_xor_b32_e32 v18, 1, v1
	v_cndmask_b32_e32 v16, v1, v16, vcc
	v_cmp_lt_i32_e32 vcc, v17, v12
	s_lshr_b32 s2, s1, 30
	s_lshr_b32 s1, s1, 29
	v_cndmask_b32_e32 v17, v1, v17, vcc
	v_cmp_lt_i32_e32 vcc, v18, v12
	s_add_i32 s1, s3, s1
	v_cndmask_b32_e32 v18, v1, v18, vcc
	v_lshlrev_b32_e32 v12, 2, v13
	v_lshlrev_b32_e32 v13, 2, v15
	;; [unrolled: 1-line block ×3, first 2 shown]
	v_mul_f32_e32 v17, 0x4f7ffffe, v21
	s_add_i32 s2, s3, s2
	v_and_b32_e32 v19, 64, v1
	s_ashr_i32 s1, s1, 3
	v_lshlrev_b32_e32 v14, 2, v16
	v_lshlrev_b32_e32 v16, 2, v18
	v_cvt_u32_f32_e32 v18, v17
	s_lshr_b32 s0, s3, 31
	s_ashr_i32 s2, s2, 2
	v_add_u32_e32 v19, 64, v19
	v_xor_b32_e32 v20, s1, v1
	s_add_i32 s0, s3, s0
	v_cmp_gt_i32_e32 vcc, s2, v8
	v_cmp_lt_i32_e64 s[2:3], v20, v19
	s_sub_i32 s5, 0, s4
	v_cndmask_b32_e64 v1, v1, v20, s[2:3]
	v_lshlrev_b32_e32 v17, 2, v1
	v_mul_lo_u32 v1, s5, v18
	v_mul_hi_u32 v1, v18, v1
	v_add_u32_e32 v1, v18, v1
	v_or_b32_e32 v3, 2, v24
	v_mul_hi_u32 v18, v24, v1
	v_mul_hi_u32 v19, v3, v1
	v_mul_lo_u32 v18, v18, s4
	v_mul_lo_u32 v19, v19, s4
	v_sub_u32_e32 v18, v24, v18
	v_sub_u32_e32 v3, v3, v19
	v_subrev_u32_e32 v19, s4, v18
	v_cmp_le_u32_e64 s[2:3], s4, v18
	v_cndmask_b32_e64 v18, v18, v19, s[2:3]
	v_subrev_u32_e32 v19, s4, v18
	v_cmp_le_u32_e64 s[2:3], s4, v18
	v_subrev_u32_e32 v25, s4, v3
	v_cndmask_b32_e64 v18, v18, v19, s[2:3]
	v_cmp_le_u32_e64 s[2:3], s4, v3
	v_cndmask_b32_e64 v3, v3, v25, s[2:3]
	v_subrev_u32_e32 v25, s4, v3
	v_cmp_le_u32_e64 s[2:3], s4, v3
	s_lshl_b32 s0, s0, 1
	v_cndmask_b32_e64 v3, v3, v25, s[2:3]
	s_and_b32 s0, s0, -4
	v_lshlrev_b32_e32 v3, 1, v3
	v_or_b32_e32 v28, 4, v24
	v_add_u32_e32 v31, s0, v0
	v_and_b32_e32 v3, -4, v3
	v_add_u32_e32 v25, v0, v3
	v_add_u32_e32 v26, v31, v3
	v_mul_hi_u32 v3, v28, v1
	v_mul_lo_u32 v3, v3, s4
	v_sub_u32_e32 v3, v28, v3
	v_subrev_u32_e32 v28, s4, v3
	v_cmp_le_u32_e64 s[2:3], s4, v3
	v_cndmask_b32_e64 v3, v3, v28, s[2:3]
	v_or_b32_e32 v30, 6, v24
	v_subrev_u32_e32 v28, s4, v3
	v_cmp_le_u32_e64 s[2:3], s4, v3
	v_cndmask_b32_e64 v3, v3, v28, s[2:3]
	v_mul_hi_u32 v1, v30, v1
	v_lshlrev_b32_e32 v3, 1, v3
	v_mul_lo_u32 v1, v1, s4
	v_and_b32_e32 v3, -4, v3
	v_sub_u32_e32 v1, v30, v1
	v_add_u32_e32 v28, v0, v3
	v_add_u32_e32 v29, v31, v3
	v_subrev_u32_e32 v3, s4, v1
	v_cmp_le_u32_e64 s[2:3], s4, v1
	v_cndmask_b32_e64 v1, v1, v3, s[2:3]
	v_subrev_u32_e32 v3, s4, v1
	v_cmp_le_u32_e64 s[2:3], s4, v1
	v_cndmask_b32_e64 v1, v1, v3, s[2:3]
	s_add_i32 s2, s14, s13
	v_lshlrev_b32_e32 v18, 1, v18
	v_lshlrev_b32_e32 v1, 1, v1
	s_add_i32 s2, s2, s12
	s_lshl_b32 s3, s20, 2
	v_and_b32_e32 v19, -4, v18
	v_and_b32_e32 v1, -4, v1
	s_sub_i32 s2, s2, s3
	v_add_u32_e32 v18, v0, v19
	v_add_u32_e32 v30, v0, v1
	v_mul_lo_u32 v0, s2, v2
	v_lshl_add_u32 v0, v0, 7, v27
	v_cmp_gt_i32_e64 s[0:1], s1, v8
	v_lshl_or_b32 v8, v8, 2, v0
	v_add_u32_e32 v0, s21, v9
	s_mov_b32 s8, 0
	v_add_u32_e32 v19, v31, v19
	s_waitcnt vmcnt(1)
	v_lshrrev_b32_e32 v20, 16, v4
	v_lshrrev_b32_e32 v21, 16, v5
	s_waitcnt vmcnt(0)
	v_lshrrev_b32_e32 v22, 16, v6
	v_lshrrev_b32_e32 v23, 16, v7
	v_add_u32_e32 v31, v31, v1
	v_add3_u32 v24, v0, v24, 0
	s_mov_b64 s[4:5], 0
	s_mov_b32 s9, 0xffff0000
	s_mov_b32 s10, 0x800000
	;; [unrolled: 1-line block ×3, first 2 shown]
	s_movk_i32 s13, 0x7fff
	v_mov_b32_e32 v27, s15
	v_mov_b32_e32 v32, 0
	s_branch .LBB87_10
.LBB87_9:                               ;   in Loop: Header=BB87_10 Depth=1
	s_or_b64 exec, exec, s[6:7]
	v_lshrrev_b32_e32 v2, 16, v9
	v_ashrrev_i32_e32 v9, 31, v8
	v_lshlrev_b64 v[0:1], 1, v[8:9]
	v_mov_b32_e32 v3, s17
	v_add_co_u32_e64 v0, s[2:3], s16, v0
	v_addc_co_u32_e64 v1, s[2:3], v3, v1, s[2:3]
	s_add_i32 s8, s8, 1
	v_and_b32_e32 v3, 0xffff0000, v35
	v_cmp_ge_i32_e64 s[2:3], s8, v11
	v_or_b32_sdwa v3, v3, v34 dst_sel:DWORD dst_unused:UNUSED_PAD src0_sel:DWORD src1_sel:WORD_1
	v_and_or_b32 v2, v33, s9, v2
	v_add_u32_e32 v8, 0x80, v8
	s_or_b64 s[4:5], s[2:3], s[4:5]
	v_add_u32_e32 v24, 0x100, v24
	global_store_dwordx2 v[0:1], v[2:3], off
	s_andn2_b64 exec, exec, s[4:5]
	s_cbranch_execz .LBB87_28
.LBB87_10:                              ; =>This Inner Loop Header: Depth=1
	ds_read_b64 v[0:1], v24
	v_add_u32_e32 v34, s8, v10
	v_mov_b32_e32 v35, v27
	v_cmp_gt_i32_e64 s[2:3], s12, v34
	v_cndmask_b32_e64 v34, v6, v4, s[2:3]
	s_waitcnt lgkmcnt(0)
	v_and_b32_e32 v2, 0xffff0000, v0
	v_lshlrev_b32_e32 v3, 16, v0
	v_alignbit_b32 v0, v1, v0, 16
	v_and_b32_e32 v9, 0xffff0000, v1
	v_mul_f32_e32 v1, v2, v2
	v_and_b32_e32 v33, 0xffff0000, v0
	v_fmac_f32_e32 v1, v3, v3
	v_fmac_f32_e32 v1, v33, v33
	;; [unrolled: 1-line block ×3, first 2 shown]
	ds_bpermute_b32 v0, v12, v1
	v_cndmask_b32_e64 v36, v22, v20, s[2:3]
	v_cndmask_b32_e64 v37, v7, v5, s[2:3]
	;; [unrolled: 1-line block ×3, first 2 shown]
	v_lshlrev_b32_e32 v34, 16, v34
	s_waitcnt lgkmcnt(0)
	v_add_f32_e32 v0, v1, v0
	ds_bpermute_b32 v1, v13, v0
	s_waitcnt lgkmcnt(0)
	v_add_f32_e32 v0, v0, v1
	ds_bpermute_b32 v1, v14, v0
	;; [unrolled: 3-line block ×4, first 2 shown]
	s_waitcnt lgkmcnt(0)
	v_add_f32_e32 v0, v0, v1
	v_fmac_f32_e32 v35, 0x3c000000, v0
	v_mul_f32_e32 v0, 0x4b800000, v35
	v_cmp_gt_f32_e64 s[2:3], s10, v35
	v_cndmask_b32_e64 v0, v35, v0, s[2:3]
	v_rsq_f32_e32 v0, v0
	v_lshlrev_b32_e32 v35, 16, v37
	v_lshlrev_b32_e32 v1, 16, v36
	;; [unrolled: 1-line block ×3, first 2 shown]
	v_mul_f32_e32 v37, 0x45800000, v0
	v_cndmask_b32_e64 v0, v0, v37, s[2:3]
	v_mul_f32_e32 v34, v0, v34
	v_mul_f32_e32 v1, v0, v1
	;; [unrolled: 1-line block ×8, first 2 shown]
	s_and_saveexec_b64 s[2:3], vcc
	s_cbranch_execz .LBB87_12
; %bb.11:                               ;   in Loop: Header=BB87_10 Depth=1
	ds_bpermute_b32 v9, v17, v0
	ds_bpermute_b32 v33, v17, v1
	; wave barrier
	ds_read_b32 v35, v18
	ds_read_b32 v34, v19
	;; [unrolled: 1-line block ×8, first 2 shown]
	s_waitcnt lgkmcnt(9)
	v_cndmask_b32_e64 v9, v9, -v9, s[0:1]
	s_waitcnt lgkmcnt(6)
	v_mul_f32_e32 v34, v9, v34
	v_fmac_f32_e32 v34, v0, v35
	ds_bpermute_b32 v0, v17, v2
	v_cndmask_b32_e64 v9, v33, -v33, s[0:1]
	s_waitcnt lgkmcnt(5)
	v_mul_f32_e32 v35, v9, v37
	ds_bpermute_b32 v9, v17, v3
	v_fmac_f32_e32 v35, v1, v36
	s_waitcnt lgkmcnt(1)
	v_cndmask_b32_e64 v0, v0, -v0, s[0:1]
	v_mul_f32_e32 v36, v0, v39
	v_fmac_f32_e32 v36, v2, v38
	s_waitcnt lgkmcnt(0)
	v_cndmask_b32_e64 v0, v9, -v9, s[0:1]
	v_mul_f32_e32 v37, v0, v41
	v_fmac_f32_e32 v37, v3, v40
	v_pk_mov_b32 v[0:1], v[34:35], v[34:35] op_sel:[0,1]
	v_pk_mov_b32 v[2:3], v[36:37], v[36:37] op_sel:[0,1]
	; wave barrier
.LBB87_12:                              ;   in Loop: Header=BB87_10 Depth=1
	s_or_b64 exec, exec, s[2:3]
	v_and_b32_e32 v9, 0x7f800000, v0
	v_cmp_ne_u32_e64 s[2:3], s11, v9
                                        ; implicit-def: $vgpr9
	s_and_saveexec_b64 s[6:7], s[2:3]
	s_xor_b64 s[2:3], exec, s[6:7]
; %bb.13:                               ;   in Loop: Header=BB87_10 Depth=1
	v_bfe_u32 v9, v0, 16, 1
	v_add3_u32 v9, v0, v9, s13
; %bb.14:                               ;   in Loop: Header=BB87_10 Depth=1
	s_andn2_saveexec_b64 s[6:7], s[2:3]
; %bb.15:                               ;   in Loop: Header=BB87_10 Depth=1
	v_or_b32_e32 v9, 0x10000, v0
	v_cmp_eq_u32_sdwa s[2:3], v0, v32 src0_sel:WORD_0 src1_sel:DWORD
	v_cndmask_b32_e64 v9, v9, v0, s[2:3]
; %bb.16:                               ;   in Loop: Header=BB87_10 Depth=1
	s_or_b64 exec, exec, s[6:7]
	v_and_b32_e32 v0, 0x7f800000, v1
	v_cmp_ne_u32_e64 s[2:3], s11, v0
                                        ; implicit-def: $vgpr33
	s_and_saveexec_b64 s[6:7], s[2:3]
	s_xor_b64 s[2:3], exec, s[6:7]
; %bb.17:                               ;   in Loop: Header=BB87_10 Depth=1
	v_bfe_u32 v0, v1, 16, 1
	v_add3_u32 v33, v1, v0, s13
; %bb.18:                               ;   in Loop: Header=BB87_10 Depth=1
	s_andn2_saveexec_b64 s[6:7], s[2:3]
; %bb.19:                               ;   in Loop: Header=BB87_10 Depth=1
	v_or_b32_e32 v0, 0x10000, v1
	v_cmp_eq_u32_sdwa s[2:3], v1, v32 src0_sel:WORD_0 src1_sel:DWORD
	v_cndmask_b32_e64 v33, v0, v1, s[2:3]
; %bb.20:                               ;   in Loop: Header=BB87_10 Depth=1
	s_or_b64 exec, exec, s[6:7]
	v_and_b32_e32 v0, 0x7f800000, v2
	v_cmp_ne_u32_e64 s[2:3], s11, v0
                                        ; implicit-def: $vgpr34
	s_and_saveexec_b64 s[6:7], s[2:3]
	s_xor_b64 s[2:3], exec, s[6:7]
; %bb.21:                               ;   in Loop: Header=BB87_10 Depth=1
	v_bfe_u32 v0, v2, 16, 1
	v_add3_u32 v34, v2, v0, s13
; %bb.22:                               ;   in Loop: Header=BB87_10 Depth=1
	s_andn2_saveexec_b64 s[6:7], s[2:3]
; %bb.23:                               ;   in Loop: Header=BB87_10 Depth=1
	v_or_b32_e32 v0, 0x10000, v2
	v_cmp_eq_u32_sdwa s[2:3], v2, v32 src0_sel:WORD_0 src1_sel:DWORD
	v_cndmask_b32_e64 v34, v0, v2, s[2:3]
; %bb.24:                               ;   in Loop: Header=BB87_10 Depth=1
	s_or_b64 exec, exec, s[6:7]
	v_and_b32_e32 v0, 0x7f800000, v3
	v_cmp_ne_u32_e64 s[2:3], s11, v0
                                        ; implicit-def: $vgpr35
	s_and_saveexec_b64 s[6:7], s[2:3]
	s_xor_b64 s[2:3], exec, s[6:7]
; %bb.25:                               ;   in Loop: Header=BB87_10 Depth=1
	v_bfe_u32 v0, v3, 16, 1
	v_add3_u32 v35, v3, v0, s13
                                        ; implicit-def: $vgpr0_vgpr1_vgpr2_vgpr3
; %bb.26:                               ;   in Loop: Header=BB87_10 Depth=1
	s_andn2_saveexec_b64 s[6:7], s[2:3]
	s_cbranch_execz .LBB87_9
; %bb.27:                               ;   in Loop: Header=BB87_10 Depth=1
	v_or_b32_e32 v0, 0x10000, v3
	v_cmp_eq_u32_sdwa s[2:3], v3, v32 src0_sel:WORD_0 src1_sel:DWORD
	v_cndmask_b32_e64 v35, v0, v3, s[2:3]
	s_branch .LBB87_9
.LBB87_28:
	s_endpgm
	.section	.rodata,"a",@progbits
	.p2align	6, 0x0
	.amdhsa_kernel _ZN12tensorrt_llm7kernels32fusedQKNormRopeKernelNTokenHeadsIN3c108BFloat16EfLi128ELb0ELi4EEEvPviiifPKvS6_S6_PKlii
		.amdhsa_group_segment_fixed_size 0
		.amdhsa_private_segment_fixed_size 0
		.amdhsa_kernarg_size 320
		.amdhsa_user_sgpr_count 6
		.amdhsa_user_sgpr_private_segment_buffer 1
		.amdhsa_user_sgpr_dispatch_ptr 0
		.amdhsa_user_sgpr_queue_ptr 0
		.amdhsa_user_sgpr_kernarg_segment_ptr 1
		.amdhsa_user_sgpr_dispatch_id 0
		.amdhsa_user_sgpr_flat_scratch_init 0
		.amdhsa_user_sgpr_kernarg_preload_length 0
		.amdhsa_user_sgpr_kernarg_preload_offset 0
		.amdhsa_user_sgpr_private_segment_size 0
		.amdhsa_uses_dynamic_stack 0
		.amdhsa_system_sgpr_private_segment_wavefront_offset 0
		.amdhsa_system_sgpr_workgroup_id_x 1
		.amdhsa_system_sgpr_workgroup_id_y 0
		.amdhsa_system_sgpr_workgroup_id_z 0
		.amdhsa_system_sgpr_workgroup_info 0
		.amdhsa_system_vgpr_workitem_id 0
		.amdhsa_next_free_vgpr 42
		.amdhsa_next_free_sgpr 24
		.amdhsa_accum_offset 44
		.amdhsa_reserve_vcc 1
		.amdhsa_reserve_flat_scratch 0
		.amdhsa_float_round_mode_32 0
		.amdhsa_float_round_mode_16_64 0
		.amdhsa_float_denorm_mode_32 3
		.amdhsa_float_denorm_mode_16_64 3
		.amdhsa_dx10_clamp 1
		.amdhsa_ieee_mode 1
		.amdhsa_fp16_overflow 0
		.amdhsa_tg_split 0
		.amdhsa_exception_fp_ieee_invalid_op 0
		.amdhsa_exception_fp_denorm_src 0
		.amdhsa_exception_fp_ieee_div_zero 0
		.amdhsa_exception_fp_ieee_overflow 0
		.amdhsa_exception_fp_ieee_underflow 0
		.amdhsa_exception_fp_ieee_inexact 0
		.amdhsa_exception_int_div_zero 0
	.end_amdhsa_kernel
	.section	.text._ZN12tensorrt_llm7kernels32fusedQKNormRopeKernelNTokenHeadsIN3c108BFloat16EfLi128ELb0ELi4EEEvPviiifPKvS6_S6_PKlii,"axG",@progbits,_ZN12tensorrt_llm7kernels32fusedQKNormRopeKernelNTokenHeadsIN3c108BFloat16EfLi128ELb0ELi4EEEvPviiifPKvS6_S6_PKlii,comdat
.Lfunc_end87:
	.size	_ZN12tensorrt_llm7kernels32fusedQKNormRopeKernelNTokenHeadsIN3c108BFloat16EfLi128ELb0ELi4EEEvPviiifPKvS6_S6_PKlii, .Lfunc_end87-_ZN12tensorrt_llm7kernels32fusedQKNormRopeKernelNTokenHeadsIN3c108BFloat16EfLi128ELb0ELi4EEEvPviiifPKvS6_S6_PKlii
                                        ; -- End function
	.section	.AMDGPU.csdata,"",@progbits
; Kernel info:
; codeLenInByte = 2308
; NumSgprs: 28
; NumVgprs: 42
; NumAgprs: 0
; TotalNumVgprs: 42
; ScratchSize: 0
; MemoryBound: 0
; FloatMode: 240
; IeeeMode: 1
; LDSByteSize: 0 bytes/workgroup (compile time only)
; SGPRBlocks: 3
; VGPRBlocks: 5
; NumSGPRsForWavesPerEU: 28
; NumVGPRsForWavesPerEU: 42
; AccumOffset: 44
; Occupancy: 8
; WaveLimiterHint : 0
; COMPUTE_PGM_RSRC2:SCRATCH_EN: 0
; COMPUTE_PGM_RSRC2:USER_SGPR: 6
; COMPUTE_PGM_RSRC2:TRAP_HANDLER: 0
; COMPUTE_PGM_RSRC2:TGID_X_EN: 1
; COMPUTE_PGM_RSRC2:TGID_Y_EN: 0
; COMPUTE_PGM_RSRC2:TGID_Z_EN: 0
; COMPUTE_PGM_RSRC2:TIDIG_COMP_CNT: 0
; COMPUTE_PGM_RSRC3_GFX90A:ACCUM_OFFSET: 10
; COMPUTE_PGM_RSRC3_GFX90A:TG_SPLIT: 0
	.section	.text._ZN12tensorrt_llm7kernels32fusedQKNormRopeKernelNTokenHeadsIN3c108BFloat16EfLi256ELb1ELi4EEEvPviiifPKvS6_S6_PKlii,"axG",@progbits,_ZN12tensorrt_llm7kernels32fusedQKNormRopeKernelNTokenHeadsIN3c108BFloat16EfLi256ELb1ELi4EEEvPviiifPKvS6_S6_PKlii,comdat
	.protected	_ZN12tensorrt_llm7kernels32fusedQKNormRopeKernelNTokenHeadsIN3c108BFloat16EfLi256ELb1ELi4EEEvPviiifPKvS6_S6_PKlii ; -- Begin function _ZN12tensorrt_llm7kernels32fusedQKNormRopeKernelNTokenHeadsIN3c108BFloat16EfLi256ELb1ELi4EEEvPviiifPKvS6_S6_PKlii
	.globl	_ZN12tensorrt_llm7kernels32fusedQKNormRopeKernelNTokenHeadsIN3c108BFloat16EfLi256ELb1ELi4EEEvPviiifPKvS6_S6_PKlii
	.p2align	8
	.type	_ZN12tensorrt_llm7kernels32fusedQKNormRopeKernelNTokenHeadsIN3c108BFloat16EfLi256ELb1ELi4EEEvPviiifPKvS6_S6_PKlii,@function
_ZN12tensorrt_llm7kernels32fusedQKNormRopeKernelNTokenHeadsIN3c108BFloat16EfLi256ELb1ELi4EEEvPviiifPKvS6_S6_PKlii: ; @_ZN12tensorrt_llm7kernels32fusedQKNormRopeKernelNTokenHeadsIN3c108BFloat16EfLi256ELb1ELi4EEEvPviiifPKvS6_S6_PKlii
; %bb.0:
	s_load_dwordx4 s[12:15], s[4:5], 0x8
	s_load_dwordx2 s[2:3], s[4:5], 0x38
	s_load_dword s1, s[4:5], 0x4c
	v_lshrrev_b32_e32 v1, 5, v0
	s_waitcnt lgkmcnt(0)
	s_add_i32 s0, s13, s12
	s_add_i32 s7, s0, 3
	s_ashr_i32 s8, s7, 31
	s_lshr_b32 s8, s8, 30
	s_add_i32 s7, s7, s8
	s_ashr_i32 s20, s7, 2
	s_abs_i32 s7, s20
	v_cvt_f32_u32_e32 v2, s7
	s_bfe_u32 s1, s1, 0xb0005
	s_mul_i32 s6, s6, s1
	v_rcp_iflag_f32_e32 v3, v2
	v_add_u32_e32 v2, s6, v1
	s_sub_i32 s6, 0, s7
	v_sub_u32_e32 v4, 0, v2
	v_mul_f32_e32 v3, 0x4f7ffffe, v3
	v_cvt_u32_f32_e32 v3, v3
	v_max_i32_e32 v4, v2, v4
	v_xor_b32_e32 v5, s20, v2
	v_ashrrev_i32_e32 v5, 31, v5
	v_mul_lo_u32 v6, s6, v3
	v_mul_hi_u32 v6, v3, v6
	v_add_u32_e32 v3, v3, v6
	v_mul_hi_u32 v3, v4, v3
	v_mul_lo_u32 v6, v3, s7
	v_sub_u32_e32 v4, v4, v6
	v_add_u32_e32 v6, 1, v3
	v_cmp_le_u32_e32 vcc, s7, v4
	v_cndmask_b32_e32 v3, v3, v6, vcc
	v_subrev_u32_e32 v6, s7, v4
	v_cndmask_b32_e32 v4, v4, v6, vcc
	v_add_u32_e32 v6, 1, v3
	v_cmp_le_u32_e32 vcc, s7, v4
	v_cndmask_b32_e32 v3, v3, v6, vcc
	v_xor_b32_e32 v3, v3, v5
	v_sub_u32_e32 v8, v3, v5
	v_cmp_gt_i32_e32 vcc, s2, v8
	s_and_saveexec_b64 s[6:7], vcc
	s_cbranch_execz .LBB88_44
; %bb.1:
	v_mul_lo_u32 v3, v8, s20
	v_sub_u32_e32 v3, v2, v3
	s_load_dwordx2 s[16:17], s[4:5], 0x0
	v_lshlrev_b32_e32 v18, 2, v3
	v_add_u32_e32 v3, 4, v18
	v_sub_u32_e32 v4, s0, v18
	v_cmp_lt_i32_e32 vcc, s0, v3
	v_and_b32_e32 v10, 31, v0
	v_cndmask_b32_e32 v19, 4, v4, vcc
	s_lshl_b32 s18, s3, 2
	s_mul_i32 s2, s18, s1
	v_lshlrev_b32_e32 v13, 11, v1
	v_cmp_lt_i32_e64 s[0:1], 0, v19
	v_lshlrev_b32_e32 v12, 4, v10
	v_lshlrev_b32_e32 v11, 10, v2
	s_and_saveexec_b64 s[6:7], s[0:1]
	s_cbranch_execz .LBB88_4
; %bb.2:
	s_add_i32 s8, s2, 0
	v_add3_u32 v4, s8, v13, v12
	s_add_i32 s8, s14, s13
	s_add_i32 s8, s8, s12
	s_lshl_b32 s9, s20, 2
	s_sub_i32 s8, s8, s9
	v_mul_lo_u32 v2, s8, v8
	v_lshl_add_u32 v2, v2, 8, v11
	s_mov_b32 s10, 0
	v_lshl_or_b32 v2, v10, 3, v2
	s_mov_b64 s[8:9], 0
	s_waitcnt lgkmcnt(0)
	v_mov_b32_e32 v5, s17
.LBB88_3:                               ; =>This Inner Loop Header: Depth=1
	v_ashrrev_i32_e32 v3, 31, v2
	v_lshlrev_b64 v[6:7], 1, v[2:3]
	v_add_co_u32_e32 v6, vcc, s16, v6
	v_addc_co_u32_e32 v7, vcc, v5, v7, vcc
	global_load_dwordx4 v[14:17], v[6:7], off
	s_add_i32 s10, s10, 1
	v_cmp_ge_i32_e32 vcc, s10, v19
	v_add_u32_e32 v2, 0x100, v2
	s_or_b64 s[8:9], vcc, s[8:9]
	s_waitcnt vmcnt(0)
	ds_write_b128 v4, v[14:17]
	v_add_u32_e32 v4, 0x200, v4
	s_andn2_b64 exec, exec, s[8:9]
	s_cbranch_execnz .LBB88_3
.LBB88_4:
	s_or_b64 exec, exec, s[6:7]
	s_add_i32 s18, s18, 15
	s_load_dwordx8 s[4:11], s[4:5], 0x18
	s_ashr_i32 s19, s18, 31
	s_lshr_b32 s19, s19, 28
	s_add_i32 s18, s18, s19
	s_ashr_i32 s21, s18, 4
	v_mul_lo_u32 v1, v1, s3
	v_cmp_gt_i32_e32 vcc, s21, v10
	v_lshlrev_b32_e32 v14, 2, v1
	s_and_saveexec_b64 s[18:19], vcc
	s_cbranch_execz .LBB88_7
; %bb.5:
	v_ashrrev_i32_e32 v9, 31, v8
	v_lshlrev_b64 v[2:3], 3, v[8:9]
	s_waitcnt lgkmcnt(0)
	v_mov_b32_e32 v1, s11
	v_add_co_u32_e32 v2, vcc, s10, v2
	v_addc_co_u32_e32 v3, vcc, v1, v3, vcc
	global_load_dwordx2 v[4:5], v[2:3], off
	s_ashr_i32 s22, s3, 31
	v_and_b32_e32 v0, 31, v0
	v_lshlrev_b32_e32 v6, 4, v0
	v_mov_b32_e32 v3, s9
	v_add3_u32 v2, v14, v12, 0
	s_mov_b64 s[10:11], 0
	s_waitcnt vmcnt(0)
	v_mul_lo_u32 v5, v5, s3
	v_mul_lo_u32 v7, v4, s22
	v_mad_u64_u32 v[0:1], s[22:23], v4, s3, 0
	v_add3_u32 v1, v1, v7, v5
	v_lshlrev_b64 v[0:1], 2, v[0:1]
	v_add_co_u32_e32 v0, vcc, v0, v6
	v_addc_co_u32_e32 v1, vcc, 0, v1, vcc
	v_add_co_u32_e32 v0, vcc, s8, v0
	v_addc_co_u32_e32 v1, vcc, v3, v1, vcc
	v_mov_b32_e32 v3, v10
.LBB88_6:                               ; =>This Inner Loop Header: Depth=1
	global_load_dwordx4 v[4:7], v[0:1], off
	v_add_co_u32_e32 v0, vcc, 0x200, v0
	v_add_u32_e32 v3, 32, v3
	v_addc_co_u32_e32 v1, vcc, 0, v1, vcc
	v_cmp_le_i32_e32 vcc, s21, v3
	s_or_b64 s[10:11], vcc, s[10:11]
	s_waitcnt vmcnt(0)
	ds_write_b128 v2, v[4:7]
	v_add_u32_e32 v2, 0x200, v2
	s_andn2_b64 exec, exec, s[10:11]
	s_cbranch_execnz .LBB88_6
.LBB88_7:
	s_or_b64 exec, exec, s[18:19]
	s_and_b64 exec, exec, s[0:1]
	s_cbranch_execz .LBB88_44
; %bb.8:
	s_waitcnt lgkmcnt(0)
	global_load_dwordx4 v[0:3], v12, s[4:5]
	global_load_dwordx4 v[4:7], v12, s[6:7]
	v_mbcnt_lo_u32_b32 v9, -1, 0
	v_add_u32_e32 v13, s2, v13
	v_mbcnt_hi_u32_b32 v9, -1, v9
	v_add3_u32 v20, 0, v14, v12
	v_add3_u32 v22, v13, v12, 0
	v_and_b32_e32 v12, 0x60, v9
	v_xor_b32_e32 v13, 16, v9
	v_add_u32_e32 v12, 32, v12
	v_xor_b32_e32 v14, 8, v9
	v_cmp_lt_i32_e32 vcc, v13, v12
	s_add_i32 s11, s14, s13
	v_xor_b32_e32 v15, 4, v9
	v_cndmask_b32_e32 v13, v9, v13, vcc
	v_cmp_lt_i32_e32 vcc, v14, v12
	s_lshr_b32 s0, s3, 31
	s_ashr_i32 s1, s3, 31
	s_lshl_b32 s13, s20, 2
	s_add_i32 s11, s11, s12
	v_xor_b32_e32 v16, 2, v9
	v_cndmask_b32_e32 v14, v9, v14, vcc
	v_cmp_lt_i32_e32 vcc, v15, v12
	s_add_i32 s0, s3, s0
	s_lshr_b32 s1, s1, 29
	v_xor_b32_e32 v17, 1, v9
	s_sub_i32 s2, s11, s13
	v_cndmask_b32_e32 v15, v9, v15, vcc
	v_cmp_lt_i32_e32 vcc, v16, v12
	s_lshl_b32 s0, s0, 1
	s_add_i32 s1, s3, s1
	v_mul_lo_u32 v8, s2, v8
	v_cndmask_b32_e32 v16, v9, v16, vcc
	v_cmp_lt_i32_e32 vcc, v17, v12
	s_and_b32 s0, s0, -4
	s_ashr_i32 s1, s1, 3
	v_cndmask_b32_e32 v9, v9, v17, vcc
	v_lshl_add_u32 v8, v8, 8, v11
	s_mov_b32 s6, 0
	s_mov_b64 s[4:5], 0
	v_mov_b32_e32 v21, s15
	s_mov_b32 s7, 0x800000
	s_mov_b32 s8, 0x7f800000
	s_movk_i32 s9, 0x7fff
	s_mov_b32 s10, 0x7060302
	v_cmp_gt_i32_e32 vcc, s1, v10
	v_add_u32_e32 v23, s0, v20
	v_lshlrev_b32_e32 v24, 2, v13
	v_lshlrev_b32_e32 v25, 2, v14
	;; [unrolled: 1-line block ×5, first 2 shown]
	v_lshl_or_b32 v8, v10, 3, v8
	v_mov_b32_e32 v37, 0
	s_waitcnt vmcnt(1)
	v_lshrrev_b32_e32 v29, 16, v0
	s_waitcnt vmcnt(0)
	v_lshrrev_b32_e32 v30, 16, v4
	v_lshrrev_b32_e32 v31, 16, v1
	;; [unrolled: 1-line block ×7, first 2 shown]
	s_branch .LBB88_10
.LBB88_9:                               ;   in Loop: Header=BB88_10 Depth=1
	s_or_b64 exec, exec, s[2:3]
	v_ashrrev_i32_e32 v9, 31, v8
	v_lshlrev_b64 v[40:41], 1, v[8:9]
	v_mov_b32_e32 v9, s17
	v_add_co_u32_e64 v40, s[0:1], s16, v40
	v_addc_co_u32_e64 v41, s[0:1], v9, v41, s[0:1]
	s_add_i32 s6, s6, 1
	v_cmp_ge_i32_e64 s[0:1], s6, v19
	v_perm_b32 v13, v10, v13, s10
	v_perm_b32 v12, v12, v15, s10
	;; [unrolled: 1-line block ×4, first 2 shown]
	v_add_u32_e32 v8, 0x100, v8
	s_or_b64 s[4:5], s[0:1], s[4:5]
	v_add_u32_e32 v22, 0x200, v22
	global_store_dwordx4 v[40:41], v[10:13], off
	s_andn2_b64 exec, exec, s[4:5]
	s_cbranch_execz .LBB88_44
.LBB88_10:                              ; =>This Inner Loop Header: Depth=1
	ds_read_b128 v[10:13], v22
	s_waitcnt lgkmcnt(0)
	v_and_b32_e32 v15, 0xffff0000, v10
	v_lshlrev_b32_e32 v14, 16, v10
	v_pk_mul_f32 v[40:41], v[14:15], v[14:15]
	v_and_b32_e32 v43, 0xffff0000, v11
	v_lshlrev_b32_e32 v42, 16, v11
	v_pk_mul_f32 v[10:11], v[42:43], v[42:43]
	v_add_f32_e32 v9, v40, v41
	v_and_b32_e32 v39, 0xffff0000, v13
	v_lshlrev_b32_e32 v38, 16, v13
	v_and_b32_e32 v13, 0xffff0000, v12
	v_lshlrev_b32_e32 v12, 16, v12
	v_add_f32_e32 v9, v9, v10
	v_pk_mul_f32 v[44:45], v[12:13], v[12:13]
	v_add_f32_e32 v9, v9, v11
	v_add_f32_e32 v9, v9, v44
	v_pk_mul_f32 v[16:17], v[38:39], v[38:39]
	v_add_f32_e32 v9, v9, v45
	v_add_f32_e32 v9, v9, v16
	;; [unrolled: 1-line block ×3, first 2 shown]
	ds_bpermute_b32 v10, v24, v9
	v_mov_b32_e32 v16, v21
	v_add_u32_e32 v11, s6, v18
	v_cmp_gt_i32_e64 s[0:1], s12, v11
	v_cndmask_b32_e64 v11, v30, v29, s[0:1]
	s_waitcnt lgkmcnt(0)
	v_add_f32_e32 v9, v9, v10
	ds_bpermute_b32 v10, v25, v9
	v_cndmask_b32_e64 v17, v4, v0, s[0:1]
	v_lshlrev_b32_e32 v11, 16, v11
	v_cndmask_b32_e64 v40, v32, v31, s[0:1]
	v_cndmask_b32_e64 v41, v5, v1, s[0:1]
	s_waitcnt lgkmcnt(0)
	v_add_f32_e32 v9, v9, v10
	ds_bpermute_b32 v10, v26, v9
	v_cndmask_b32_e64 v45, v34, v33, s[0:1]
	v_cndmask_b32_e64 v46, v6, v2, s[0:1]
	s_waitcnt lgkmcnt(0)
	v_add_f32_e32 v9, v9, v10
	ds_bpermute_b32 v10, v27, v9
	s_waitcnt lgkmcnt(0)
	v_add_f32_e32 v9, v9, v10
	ds_bpermute_b32 v44, v28, v9
	v_lshlrev_b32_e32 v10, 16, v17
	v_lshlrev_b32_e32 v17, 16, v40
	;; [unrolled: 1-line block ×3, first 2 shown]
	s_waitcnt lgkmcnt(0)
	v_add_f32_e32 v9, v9, v44
	v_fmac_f32_e32 v16, 0x3b800000, v9
	v_mul_f32_e32 v9, 0x4b800000, v16
	v_cmp_gt_f32_e64 s[2:3], s7, v16
	v_cndmask_b32_e64 v9, v16, v9, s[2:3]
	v_rsq_f32_e32 v9, v9
	v_lshlrev_b32_e32 v16, 16, v41
	v_lshlrev_b32_e32 v41, 16, v45
	v_mul_f32_e32 v44, 0x45800000, v9
	v_cndmask_b32_e64 v44, v9, v44, s[2:3]
	v_pk_mul_f32 v[10:11], v[44:45], v[10:11] op_sel_hi:[0,1]
	v_pk_mul_f32 v[46:47], v[44:45], v[16:17] op_sel_hi:[0,1]
	v_pk_mul_f32 v[16:17], v[10:11], v[14:15]
	v_pk_mul_f32 v[10:11], v[44:45], v[40:41] op_sel_hi:[0,1]
	v_pk_mul_f32 v[12:13], v[10:11], v[12:13]
	v_cndmask_b32_e64 v9, v36, v35, s[0:1]
	v_cndmask_b32_e64 v10, v7, v3, s[0:1]
	v_lshlrev_b32_e32 v11, 16, v9
	v_lshlrev_b32_e32 v10, 16, v10
	v_pk_mul_f32 v[10:11], v[44:45], v[10:11] op_sel_hi:[0,1]
	v_pk_mul_f32 v[14:15], v[46:47], v[42:43]
	v_pk_mul_f32 v[10:11], v[10:11], v[38:39]
	s_and_saveexec_b64 s[0:1], vcc
	s_cbranch_execz .LBB88_12
; %bb.11:                               ;   in Loop: Header=BB88_10 Depth=1
	ds_read2_b32 v[38:39], v23 offset1:1
	ds_read2_b32 v[40:41], v20 offset1:1
	ds_read2_b32 v[42:43], v23 offset0:2 offset1:3
	ds_read2_b32 v[44:45], v20 offset0:2 offset1:3
	s_waitcnt lgkmcnt(3)
	v_pk_mul_f32 v[46:47], v[16:17], v[38:39] op_sel_hi:[1,0]
	v_pk_mul_f32 v[38:39], v[14:15], v[38:39] op_sel:[0,1]
	s_waitcnt lgkmcnt(2)
	v_pk_fma_f32 v[50:51], v[14:15], v[40:41], v[38:39] op_sel:[0,1,1] op_sel_hi:[1,1,0] neg_lo:[0,0,1] neg_hi:[0,0,1]
	v_pk_fma_f32 v[14:15], v[14:15], v[40:41], v[38:39] op_sel:[0,1,1] op_sel_hi:[1,1,0]
	s_waitcnt lgkmcnt(1)
	v_pk_mul_f32 v[38:39], v[12:13], v[42:43] op_sel_hi:[1,0]
	v_pk_mul_f32 v[48:49], v[16:17], v[40:41] op_sel_hi:[1,0]
	v_pk_fma_f32 v[16:17], v[16:17], v[40:41], v[46:47] op_sel:[0,0,1] op_sel_hi:[1,0,0]
	s_waitcnt lgkmcnt(0)
	v_pk_fma_f32 v[40:41], v[12:13], v[44:45], v[38:39] op_sel:[0,0,1] op_sel_hi:[1,0,0] neg_lo:[0,0,1] neg_hi:[0,0,1]
	v_pk_fma_f32 v[12:13], v[12:13], v[44:45], v[38:39] op_sel:[0,0,1] op_sel_hi:[1,0,0]
	v_mov_b32_e32 v44, v43
	v_pk_mul_f32 v[38:39], v[10:11], v[44:45]
	v_mul_f32_e32 v9, v11, v43
	v_mov_b32_e32 v12, v39
	v_fma_f32 v9, v10, v45, -v9
	v_pk_fma_f32 v[38:39], v[10:11], v[44:45], v[12:13]
	v_sub_f32_e32 v16, v48, v47
	v_mov_b32_e32 v14, v50
	v_mov_b32_e32 v12, v40
	;; [unrolled: 1-line block ×4, first 2 shown]
.LBB88_12:                              ;   in Loop: Header=BB88_10 Depth=1
	s_or_b64 exec, exec, s[0:1]
	v_and_b32_e32 v9, 0x7f800000, v16
	v_cmp_ne_u32_e64 s[0:1], s8, v9
                                        ; implicit-def: $vgpr38
	s_and_saveexec_b64 s[2:3], s[0:1]
	s_xor_b64 s[0:1], exec, s[2:3]
; %bb.13:                               ;   in Loop: Header=BB88_10 Depth=1
	v_bfe_u32 v9, v16, 16, 1
	v_add3_u32 v38, v16, v9, s9
; %bb.14:                               ;   in Loop: Header=BB88_10 Depth=1
	s_andn2_saveexec_b64 s[2:3], s[0:1]
; %bb.15:                               ;   in Loop: Header=BB88_10 Depth=1
	v_or_b32_e32 v9, 0x10000, v16
	v_cmp_eq_u32_sdwa s[0:1], v16, v37 src0_sel:WORD_0 src1_sel:DWORD
	v_cndmask_b32_e64 v38, v9, v16, s[0:1]
; %bb.16:                               ;   in Loop: Header=BB88_10 Depth=1
	s_or_b64 exec, exec, s[2:3]
	v_and_b32_e32 v9, 0x7f800000, v17
	v_cmp_ne_u32_e64 s[0:1], s8, v9
                                        ; implicit-def: $vgpr16
	s_and_saveexec_b64 s[2:3], s[0:1]
	s_xor_b64 s[0:1], exec, s[2:3]
; %bb.17:                               ;   in Loop: Header=BB88_10 Depth=1
	v_bfe_u32 v9, v17, 16, 1
	v_add3_u32 v16, v17, v9, s9
                                        ; implicit-def: $vgpr17
; %bb.18:                               ;   in Loop: Header=BB88_10 Depth=1
	s_andn2_saveexec_b64 s[2:3], s[0:1]
; %bb.19:                               ;   in Loop: Header=BB88_10 Depth=1
	v_or_b32_e32 v9, 0x10000, v17
	v_cmp_eq_u32_sdwa s[0:1], v17, v37 src0_sel:WORD_0 src1_sel:DWORD
	v_cndmask_b32_e64 v16, v9, v17, s[0:1]
; %bb.20:                               ;   in Loop: Header=BB88_10 Depth=1
	s_or_b64 exec, exec, s[2:3]
	v_and_b32_e32 v9, 0x7f800000, v14
	v_cmp_ne_u32_e64 s[0:1], s8, v9
                                        ; implicit-def: $vgpr17
	s_and_saveexec_b64 s[2:3], s[0:1]
	s_xor_b64 s[0:1], exec, s[2:3]
; %bb.21:                               ;   in Loop: Header=BB88_10 Depth=1
	v_bfe_u32 v9, v14, 16, 1
	v_add3_u32 v17, v14, v9, s9
; %bb.22:                               ;   in Loop: Header=BB88_10 Depth=1
	s_andn2_saveexec_b64 s[2:3], s[0:1]
; %bb.23:                               ;   in Loop: Header=BB88_10 Depth=1
	v_or_b32_e32 v9, 0x10000, v14
	v_cmp_eq_u32_sdwa s[0:1], v14, v37 src0_sel:WORD_0 src1_sel:DWORD
	v_cndmask_b32_e64 v17, v9, v14, s[0:1]
; %bb.24:                               ;   in Loop: Header=BB88_10 Depth=1
	s_or_b64 exec, exec, s[2:3]
	v_and_b32_e32 v9, 0x7f800000, v15
	v_cmp_ne_u32_e64 s[0:1], s8, v9
                                        ; implicit-def: $vgpr14
	s_and_saveexec_b64 s[2:3], s[0:1]
	s_xor_b64 s[0:1], exec, s[2:3]
; %bb.25:                               ;   in Loop: Header=BB88_10 Depth=1
	v_bfe_u32 v9, v15, 16, 1
	v_add3_u32 v14, v15, v9, s9
                                        ; implicit-def: $vgpr15
; %bb.26:                               ;   in Loop: Header=BB88_10 Depth=1
	s_andn2_saveexec_b64 s[2:3], s[0:1]
; %bb.27:                               ;   in Loop: Header=BB88_10 Depth=1
	v_or_b32_e32 v9, 0x10000, v15
	v_cmp_eq_u32_sdwa s[0:1], v15, v37 src0_sel:WORD_0 src1_sel:DWORD
	v_cndmask_b32_e64 v14, v9, v15, s[0:1]
; %bb.28:                               ;   in Loop: Header=BB88_10 Depth=1
	s_or_b64 exec, exec, s[2:3]
	v_and_b32_e32 v9, 0x7f800000, v12
	v_cmp_ne_u32_e64 s[0:1], s8, v9
                                        ; implicit-def: $vgpr15
	s_and_saveexec_b64 s[2:3], s[0:1]
	s_xor_b64 s[0:1], exec, s[2:3]
; %bb.29:                               ;   in Loop: Header=BB88_10 Depth=1
	v_bfe_u32 v9, v12, 16, 1
	v_add3_u32 v15, v12, v9, s9
; %bb.30:                               ;   in Loop: Header=BB88_10 Depth=1
	s_andn2_saveexec_b64 s[2:3], s[0:1]
; %bb.31:                               ;   in Loop: Header=BB88_10 Depth=1
	v_or_b32_e32 v9, 0x10000, v12
	v_cmp_eq_u32_sdwa s[0:1], v12, v37 src0_sel:WORD_0 src1_sel:DWORD
	v_cndmask_b32_e64 v15, v9, v12, s[0:1]
; %bb.32:                               ;   in Loop: Header=BB88_10 Depth=1
	s_or_b64 exec, exec, s[2:3]
	v_and_b32_e32 v9, 0x7f800000, v13
	v_cmp_ne_u32_e64 s[0:1], s8, v9
                                        ; implicit-def: $vgpr12
	s_and_saveexec_b64 s[2:3], s[0:1]
	s_xor_b64 s[0:1], exec, s[2:3]
; %bb.33:                               ;   in Loop: Header=BB88_10 Depth=1
	v_bfe_u32 v9, v13, 16, 1
	v_add3_u32 v12, v13, v9, s9
                                        ; implicit-def: $vgpr13
; %bb.34:                               ;   in Loop: Header=BB88_10 Depth=1
	s_andn2_saveexec_b64 s[2:3], s[0:1]
; %bb.35:                               ;   in Loop: Header=BB88_10 Depth=1
	v_or_b32_e32 v9, 0x10000, v13
	v_cmp_eq_u32_sdwa s[0:1], v13, v37 src0_sel:WORD_0 src1_sel:DWORD
	v_cndmask_b32_e64 v12, v9, v13, s[0:1]
; %bb.36:                               ;   in Loop: Header=BB88_10 Depth=1
	s_or_b64 exec, exec, s[2:3]
	v_and_b32_e32 v9, 0x7f800000, v10
	v_cmp_ne_u32_e64 s[0:1], s8, v9
                                        ; implicit-def: $vgpr13
	s_and_saveexec_b64 s[2:3], s[0:1]
	s_xor_b64 s[0:1], exec, s[2:3]
; %bb.37:                               ;   in Loop: Header=BB88_10 Depth=1
	v_bfe_u32 v9, v10, 16, 1
	v_add3_u32 v13, v10, v9, s9
; %bb.38:                               ;   in Loop: Header=BB88_10 Depth=1
	s_andn2_saveexec_b64 s[2:3], s[0:1]
; %bb.39:                               ;   in Loop: Header=BB88_10 Depth=1
	v_or_b32_e32 v9, 0x10000, v10
	v_cmp_eq_u32_sdwa s[0:1], v10, v37 src0_sel:WORD_0 src1_sel:DWORD
	v_cndmask_b32_e64 v13, v9, v10, s[0:1]
; %bb.40:                               ;   in Loop: Header=BB88_10 Depth=1
	s_or_b64 exec, exec, s[2:3]
	v_and_b32_e32 v9, 0x7f800000, v11
	v_cmp_ne_u32_e64 s[0:1], s8, v9
                                        ; implicit-def: $vgpr10
	s_and_saveexec_b64 s[2:3], s[0:1]
	s_xor_b64 s[0:1], exec, s[2:3]
; %bb.41:                               ;   in Loop: Header=BB88_10 Depth=1
	v_bfe_u32 v9, v11, 16, 1
	v_add3_u32 v10, v11, v9, s9
                                        ; implicit-def: $vgpr11
; %bb.42:                               ;   in Loop: Header=BB88_10 Depth=1
	s_andn2_saveexec_b64 s[2:3], s[0:1]
	s_cbranch_execz .LBB88_9
; %bb.43:                               ;   in Loop: Header=BB88_10 Depth=1
	v_or_b32_e32 v9, 0x10000, v11
	v_cmp_eq_u32_sdwa s[0:1], v11, v37 src0_sel:WORD_0 src1_sel:DWORD
	v_cndmask_b32_e64 v10, v9, v11, s[0:1]
	s_branch .LBB88_9
.LBB88_44:
	s_endpgm
	.section	.rodata,"a",@progbits
	.p2align	6, 0x0
	.amdhsa_kernel _ZN12tensorrt_llm7kernels32fusedQKNormRopeKernelNTokenHeadsIN3c108BFloat16EfLi256ELb1ELi4EEEvPviiifPKvS6_S6_PKlii
		.amdhsa_group_segment_fixed_size 0
		.amdhsa_private_segment_fixed_size 0
		.amdhsa_kernarg_size 320
		.amdhsa_user_sgpr_count 6
		.amdhsa_user_sgpr_private_segment_buffer 1
		.amdhsa_user_sgpr_dispatch_ptr 0
		.amdhsa_user_sgpr_queue_ptr 0
		.amdhsa_user_sgpr_kernarg_segment_ptr 1
		.amdhsa_user_sgpr_dispatch_id 0
		.amdhsa_user_sgpr_flat_scratch_init 0
		.amdhsa_user_sgpr_kernarg_preload_length 0
		.amdhsa_user_sgpr_kernarg_preload_offset 0
		.amdhsa_user_sgpr_private_segment_size 0
		.amdhsa_uses_dynamic_stack 0
		.amdhsa_system_sgpr_private_segment_wavefront_offset 0
		.amdhsa_system_sgpr_workgroup_id_x 1
		.amdhsa_system_sgpr_workgroup_id_y 0
		.amdhsa_system_sgpr_workgroup_id_z 0
		.amdhsa_system_sgpr_workgroup_info 0
		.amdhsa_system_vgpr_workitem_id 0
		.amdhsa_next_free_vgpr 52
		.amdhsa_next_free_sgpr 24
		.amdhsa_accum_offset 52
		.amdhsa_reserve_vcc 1
		.amdhsa_reserve_flat_scratch 0
		.amdhsa_float_round_mode_32 0
		.amdhsa_float_round_mode_16_64 0
		.amdhsa_float_denorm_mode_32 3
		.amdhsa_float_denorm_mode_16_64 3
		.amdhsa_dx10_clamp 1
		.amdhsa_ieee_mode 1
		.amdhsa_fp16_overflow 0
		.amdhsa_tg_split 0
		.amdhsa_exception_fp_ieee_invalid_op 0
		.amdhsa_exception_fp_denorm_src 0
		.amdhsa_exception_fp_ieee_div_zero 0
		.amdhsa_exception_fp_ieee_overflow 0
		.amdhsa_exception_fp_ieee_underflow 0
		.amdhsa_exception_fp_ieee_inexact 0
		.amdhsa_exception_int_div_zero 0
	.end_amdhsa_kernel
	.section	.text._ZN12tensorrt_llm7kernels32fusedQKNormRopeKernelNTokenHeadsIN3c108BFloat16EfLi256ELb1ELi4EEEvPviiifPKvS6_S6_PKlii,"axG",@progbits,_ZN12tensorrt_llm7kernels32fusedQKNormRopeKernelNTokenHeadsIN3c108BFloat16EfLi256ELb1ELi4EEEvPviiifPKvS6_S6_PKlii,comdat
.Lfunc_end88:
	.size	_ZN12tensorrt_llm7kernels32fusedQKNormRopeKernelNTokenHeadsIN3c108BFloat16EfLi256ELb1ELi4EEEvPviiifPKvS6_S6_PKlii, .Lfunc_end88-_ZN12tensorrt_llm7kernels32fusedQKNormRopeKernelNTokenHeadsIN3c108BFloat16EfLi256ELb1ELi4EEEvPviiifPKvS6_S6_PKlii
                                        ; -- End function
	.section	.AMDGPU.csdata,"",@progbits
; Kernel info:
; codeLenInByte = 2320
; NumSgprs: 28
; NumVgprs: 52
; NumAgprs: 0
; TotalNumVgprs: 52
; ScratchSize: 0
; MemoryBound: 0
; FloatMode: 240
; IeeeMode: 1
; LDSByteSize: 0 bytes/workgroup (compile time only)
; SGPRBlocks: 3
; VGPRBlocks: 6
; NumSGPRsForWavesPerEU: 28
; NumVGPRsForWavesPerEU: 52
; AccumOffset: 52
; Occupancy: 8
; WaveLimiterHint : 0
; COMPUTE_PGM_RSRC2:SCRATCH_EN: 0
; COMPUTE_PGM_RSRC2:USER_SGPR: 6
; COMPUTE_PGM_RSRC2:TRAP_HANDLER: 0
; COMPUTE_PGM_RSRC2:TGID_X_EN: 1
; COMPUTE_PGM_RSRC2:TGID_Y_EN: 0
; COMPUTE_PGM_RSRC2:TGID_Z_EN: 0
; COMPUTE_PGM_RSRC2:TIDIG_COMP_CNT: 0
; COMPUTE_PGM_RSRC3_GFX90A:ACCUM_OFFSET: 12
; COMPUTE_PGM_RSRC3_GFX90A:TG_SPLIT: 0
	.section	.text._ZN12tensorrt_llm7kernels32fusedQKNormRopeKernelNTokenHeadsIN3c108BFloat16EfLi256ELb0ELi4EEEvPviiifPKvS6_S6_PKlii,"axG",@progbits,_ZN12tensorrt_llm7kernels32fusedQKNormRopeKernelNTokenHeadsIN3c108BFloat16EfLi256ELb0ELi4EEEvPviiifPKvS6_S6_PKlii,comdat
	.protected	_ZN12tensorrt_llm7kernels32fusedQKNormRopeKernelNTokenHeadsIN3c108BFloat16EfLi256ELb0ELi4EEEvPviiifPKvS6_S6_PKlii ; -- Begin function _ZN12tensorrt_llm7kernels32fusedQKNormRopeKernelNTokenHeadsIN3c108BFloat16EfLi256ELb0ELi4EEEvPviiifPKvS6_S6_PKlii
	.globl	_ZN12tensorrt_llm7kernels32fusedQKNormRopeKernelNTokenHeadsIN3c108BFloat16EfLi256ELb0ELi4EEEvPviiifPKvS6_S6_PKlii
	.p2align	8
	.type	_ZN12tensorrt_llm7kernels32fusedQKNormRopeKernelNTokenHeadsIN3c108BFloat16EfLi256ELb0ELi4EEEvPviiifPKvS6_S6_PKlii,@function
_ZN12tensorrt_llm7kernels32fusedQKNormRopeKernelNTokenHeadsIN3c108BFloat16EfLi256ELb0ELi4EEEvPviiifPKvS6_S6_PKlii: ; @_ZN12tensorrt_llm7kernels32fusedQKNormRopeKernelNTokenHeadsIN3c108BFloat16EfLi256ELb0ELi4EEEvPviiifPKvS6_S6_PKlii
; %bb.0:
	s_load_dwordx4 s[12:15], s[4:5], 0x8
	s_load_dwordx2 s[2:3], s[4:5], 0x38
	s_load_dword s1, s[4:5], 0x4c
	v_lshrrev_b32_e32 v1, 5, v0
	s_waitcnt lgkmcnt(0)
	s_add_i32 s0, s13, s12
	s_add_i32 s7, s0, 3
	s_ashr_i32 s8, s7, 31
	s_lshr_b32 s8, s8, 30
	s_add_i32 s7, s7, s8
	s_ashr_i32 s20, s7, 2
	s_abs_i32 s7, s20
	v_cvt_f32_u32_e32 v2, s7
	s_bfe_u32 s1, s1, 0xb0005
	s_mul_i32 s6, s6, s1
	v_add_u32_e32 v3, s6, v1
	v_rcp_iflag_f32_e32 v2, v2
	s_sub_i32 s6, 0, s7
	v_sub_u32_e32 v4, 0, v3
	v_max_i32_e32 v4, v3, v4
	v_mul_f32_e32 v2, 0x4f7ffffe, v2
	v_cvt_u32_f32_e32 v2, v2
	v_xor_b32_e32 v5, s20, v3
	v_ashrrev_i32_e32 v5, 31, v5
	v_mul_lo_u32 v6, s6, v2
	v_mul_hi_u32 v6, v2, v6
	v_add_u32_e32 v2, v2, v6
	v_mul_hi_u32 v2, v4, v2
	v_mul_lo_u32 v6, v2, s7
	v_sub_u32_e32 v4, v4, v6
	v_add_u32_e32 v6, 1, v2
	v_cmp_le_u32_e32 vcc, s7, v4
	v_cndmask_b32_e32 v2, v2, v6, vcc
	v_subrev_u32_e32 v6, s7, v4
	v_cndmask_b32_e32 v4, v4, v6, vcc
	v_add_u32_e32 v6, 1, v2
	v_cmp_le_u32_e32 vcc, s7, v4
	v_cndmask_b32_e32 v2, v2, v6, vcc
	v_xor_b32_e32 v2, v2, v5
	v_sub_u32_e32 v2, v2, v5
	v_cmp_gt_i32_e32 vcc, s2, v2
	s_and_saveexec_b64 s[6:7], vcc
	s_cbranch_execz .LBB89_44
; %bb.1:
	v_mul_lo_u32 v4, v2, s20
	v_sub_u32_e32 v4, v3, v4
	s_load_dwordx2 s[16:17], s[4:5], 0x0
	v_lshlrev_b32_e32 v18, 2, v4
	v_add_u32_e32 v4, 4, v18
	v_sub_u32_e32 v5, s0, v18
	v_cmp_lt_i32_e32 vcc, s0, v4
	v_and_b32_e32 v6, 31, v0
	v_cndmask_b32_e32 v19, 4, v5, vcc
	s_lshl_b32 s2, s3, 2
	s_mul_i32 s21, s2, s1
	v_lshlrev_b32_e32 v7, 11, v1
	v_cmp_lt_i32_e64 s[0:1], 0, v19
	v_lshlrev_b32_e32 v17, 4, v6
	v_lshlrev_b32_e32 v16, 10, v3
	s_and_saveexec_b64 s[6:7], s[0:1]
	s_cbranch_execz .LBB89_4
; %bb.2:
	s_add_i32 s8, s21, 0
	v_add3_u32 v3, s8, v7, v17
	s_add_i32 s8, s14, s13
	s_add_i32 s8, s8, s12
	s_lshl_b32 s9, s20, 2
	s_sub_i32 s8, s8, s9
	v_mul_lo_u32 v4, s8, v2
	v_lshl_add_u32 v4, v4, 8, v16
	s_mov_b32 s10, 0
	v_lshl_or_b32 v4, v6, 3, v4
	s_mov_b64 s[8:9], 0
	s_waitcnt lgkmcnt(0)
	v_mov_b32_e32 v8, s17
.LBB89_3:                               ; =>This Inner Loop Header: Depth=1
	v_ashrrev_i32_e32 v5, 31, v4
	v_lshlrev_b64 v[10:11], 1, v[4:5]
	v_add_co_u32_e32 v10, vcc, s16, v10
	v_addc_co_u32_e32 v11, vcc, v8, v11, vcc
	global_load_dwordx4 v[10:13], v[10:11], off
	s_add_i32 s10, s10, 1
	v_cmp_ge_i32_e32 vcc, s10, v19
	v_add_u32_e32 v4, 0x100, v4
	s_or_b64 s[8:9], vcc, s[8:9]
	s_waitcnt vmcnt(0)
	ds_write_b128 v3, v[10:13]
	v_add_u32_e32 v3, 0x200, v3
	s_andn2_b64 exec, exec, s[8:9]
	s_cbranch_execnz .LBB89_3
.LBB89_4:
	s_or_b64 exec, exec, s[6:7]
	s_add_i32 s2, s2, 15
	s_load_dwordx8 s[4:11], s[4:5], 0x18
	s_ashr_i32 s18, s2, 31
	s_lshr_b32 s18, s18, 28
	s_add_i32 s2, s2, s18
	s_ashr_i32 s2, s2, 4
	v_cmp_gt_i32_e32 vcc, s2, v6
	v_mul_lo_u32 v4, v1, s3
	s_and_saveexec_b64 s[18:19], vcc
	s_cbranch_execz .LBB89_7
; %bb.5:
	v_ashrrev_i32_e32 v3, 31, v2
	v_lshlrev_b64 v[8:9], 3, v[2:3]
	s_waitcnt lgkmcnt(0)
	v_mov_b32_e32 v1, s11
	v_add_co_u32_e32 v8, vcc, s10, v8
	v_addc_co_u32_e32 v9, vcc, v1, v9, vcc
	global_load_dwordx2 v[8:9], v[8:9], off
	s_ashr_i32 s22, s3, 31
	v_lshlrev_b32_e32 v1, 2, v4
	v_and_b32_e32 v0, 31, v0
	v_add3_u32 v3, v1, v17, 0
	v_lshlrev_b32_e32 v10, 4, v0
	v_mov_b32_e32 v5, s9
	s_mov_b64 s[10:11], 0
	s_waitcnt vmcnt(0)
	v_mul_lo_u32 v9, v9, s3
	v_mul_lo_u32 v11, v8, s22
	v_mad_u64_u32 v[0:1], s[22:23], v8, s3, 0
	v_add3_u32 v1, v1, v11, v9
	v_lshlrev_b64 v[0:1], 2, v[0:1]
	v_add_co_u32_e32 v0, vcc, v0, v10
	v_addc_co_u32_e32 v1, vcc, 0, v1, vcc
	v_add_co_u32_e32 v0, vcc, s8, v0
	v_addc_co_u32_e32 v1, vcc, v5, v1, vcc
	v_mov_b32_e32 v5, v6
.LBB89_6:                               ; =>This Inner Loop Header: Depth=1
	global_load_dwordx4 v[8:11], v[0:1], off
	v_add_co_u32_e32 v0, vcc, 0x200, v0
	v_add_u32_e32 v5, 32, v5
	v_addc_co_u32_e32 v1, vcc, 0, v1, vcc
	v_cmp_le_i32_e32 vcc, s2, v5
	s_or_b64 s[10:11], vcc, s[10:11]
	s_waitcnt vmcnt(0)
	ds_write_b128 v3, v[8:11]
	v_add_u32_e32 v3, 0x200, v3
	s_andn2_b64 exec, exec, s[10:11]
	s_cbranch_execnz .LBB89_6
.LBB89_7:
	s_or_b64 exec, exec, s[18:19]
	s_and_b64 exec, exec, s[0:1]
	s_cbranch_execz .LBB89_44
; %bb.8:
	s_waitcnt lgkmcnt(0)
	global_load_dwordx4 v[8:11], v17, s[4:5]
	global_load_dwordx4 v[12:15], v17, s[6:7]
	v_mbcnt_lo_u32_b32 v1, -1, 0
	s_abs_i32 s4, s3
	v_mbcnt_hi_u32_b32 v1, -1, v1
	v_cvt_f32_u32_e32 v22, s4
	v_and_b32_e32 v20, 0x60, v1
	v_xor_b32_e32 v21, 16, v1
	v_add_u32_e32 v20, 32, v20
	v_xor_b32_e32 v23, 8, v1
	v_cmp_lt_i32_e32 vcc, v21, v20
	v_xor_b32_e32 v24, 4, v1
	v_cndmask_b32_e32 v21, v1, v21, vcc
	v_cmp_lt_i32_e32 vcc, v23, v20
	v_rcp_iflag_f32_e32 v29, v22
	v_xor_b32_e32 v25, 2, v1
	v_cndmask_b32_e32 v23, v1, v23, vcc
	v_cmp_lt_i32_e32 vcc, v24, v20
	s_ashr_i32 s1, s3, 31
	v_xor_b32_e32 v26, 1, v1
	v_cndmask_b32_e32 v24, v1, v24, vcc
	v_cmp_lt_i32_e32 vcc, v25, v20
	s_lshr_b32 s2, s1, 29
	s_lshr_b32 s1, s1, 28
	v_cndmask_b32_e32 v25, v1, v25, vcc
	v_cmp_lt_i32_e32 vcc, v26, v20
	s_add_i32 s1, s3, s1
	v_cndmask_b32_e32 v26, v1, v26, vcc
	v_lshlrev_b32_e32 v20, 2, v21
	v_lshlrev_b32_e32 v21, 2, v23
	;; [unrolled: 1-line block ×3, first 2 shown]
	v_mul_f32_e32 v25, 0x4f7ffffe, v29
	s_add_i32 s2, s3, s2
	v_and_b32_e32 v27, 64, v1
	s_ashr_i32 s1, s1, 4
	v_lshlrev_b32_e32 v22, 2, v24
	v_lshlrev_b32_e32 v24, 2, v26
	v_cvt_u32_f32_e32 v26, v25
	s_lshr_b32 s0, s3, 31
	s_ashr_i32 s2, s2, 3
	v_add_u32_e32 v27, 64, v27
	v_xor_b32_e32 v28, s1, v1
	s_add_i32 s0, s3, s0
	v_cmp_gt_i32_e32 vcc, s2, v6
	v_cmp_lt_i32_e64 s[2:3], v28, v27
	s_sub_i32 s5, 0, s4
	v_cndmask_b32_e64 v1, v1, v28, s[2:3]
	v_lshlrev_b32_e32 v25, 2, v1
	v_mul_lo_u32 v1, s5, v26
	v_mul_hi_u32 v1, v26, v1
	v_add_u32_e32 v1, v26, v1
	v_mul_hi_u32 v26, v17, v1
	v_mul_lo_u32 v26, v26, s4
	v_or_b32_e32 v3, 2, v17
	v_sub_u32_e32 v26, v17, v26
	v_subrev_u32_e32 v27, s4, v26
	v_cmp_le_u32_e64 s[2:3], s4, v26
	v_mul_hi_u32 v36, v3, v1
	v_cndmask_b32_e64 v26, v26, v27, s[2:3]
	v_mul_lo_u32 v36, v36, s4
	v_subrev_u32_e32 v27, s4, v26
	v_cmp_le_u32_e64 s[2:3], s4, v26
	v_sub_u32_e32 v3, v3, v36
	v_cndmask_b32_e64 v34, v26, v27, s[2:3]
	v_subrev_u32_e32 v36, s4, v3
	v_cmp_le_u32_e64 s[2:3], s4, v3
	v_cndmask_b32_e64 v3, v3, v36, s[2:3]
	v_subrev_u32_e32 v36, s4, v3
	v_cmp_le_u32_e64 s[2:3], s4, v3
	s_lshl_b32 s0, s0, 1
	v_cndmask_b32_e64 v3, v3, v36, s[2:3]
	v_lshl_add_u32 v0, v4, 2, 0
	s_and_b32 s0, s0, -4
	v_lshlrev_b32_e32 v3, 1, v3
	v_or_b32_e32 v4, 4, v17
	v_add_u32_e32 v49, s0, v0
	v_and_b32_e32 v3, -4, v3
	v_add_u32_e32 v36, v0, v3
	v_add_u32_e32 v37, v49, v3
	v_mul_hi_u32 v3, v4, v1
	v_mul_lo_u32 v3, v3, s4
	v_sub_u32_e32 v3, v4, v3
	v_subrev_u32_e32 v4, s4, v3
	v_cmp_le_u32_e64 s[2:3], s4, v3
	v_cndmask_b32_e64 v3, v3, v4, s[2:3]
	v_subrev_u32_e32 v4, s4, v3
	v_cmp_le_u32_e64 s[2:3], s4, v3
	v_cndmask_b32_e64 v3, v3, v4, s[2:3]
	v_lshlrev_b32_e32 v3, 1, v3
	v_or_b32_e32 v5, 6, v17
	v_and_b32_e32 v3, -4, v3
	v_add_u32_e32 v38, v0, v3
	v_add_u32_e32 v39, v49, v3
	v_mul_hi_u32 v3, v5, v1
	v_mul_lo_u32 v3, v3, s4
	v_sub_u32_e32 v3, v5, v3
	v_subrev_u32_e32 v4, s4, v3
	v_cmp_le_u32_e64 s[2:3], s4, v3
	v_cndmask_b32_e64 v3, v3, v4, s[2:3]
	v_subrev_u32_e32 v4, s4, v3
	v_cmp_le_u32_e64 s[2:3], s4, v3
	v_cndmask_b32_e64 v3, v3, v4, s[2:3]
	v_lshlrev_b32_e32 v3, 1, v3
	v_or_b32_e32 v42, 8, v17
	;; [unrolled: 14-line block ×4, first 2 shown]
	v_and_b32_e32 v3, -4, v3
	v_add_u32_e32 v44, v0, v3
	v_add_u32_e32 v45, v49, v3
	v_mul_hi_u32 v3, v46, v1
	v_mul_lo_u32 v3, v3, s4
	v_sub_u32_e32 v3, v46, v3
	v_subrev_u32_e32 v4, s4, v3
	v_cmp_le_u32_e64 s[2:3], s4, v3
	v_cndmask_b32_e64 v3, v3, v4, s[2:3]
	v_or_b32_e32 v48, 14, v17
	v_subrev_u32_e32 v4, s4, v3
	v_cmp_le_u32_e64 s[2:3], s4, v3
	v_cndmask_b32_e64 v3, v3, v4, s[2:3]
	v_mul_hi_u32 v1, v48, v1
	v_lshlrev_b32_e32 v3, 1, v3
	v_mul_lo_u32 v1, v1, s4
	v_and_b32_e32 v3, -4, v3
	v_sub_u32_e32 v1, v48, v1
	v_add_u32_e32 v46, v0, v3
	v_add_u32_e32 v47, v49, v3
	v_subrev_u32_e32 v3, s4, v1
	v_cmp_le_u32_e64 s[2:3], s4, v1
	v_cndmask_b32_e64 v1, v1, v3, s[2:3]
	v_subrev_u32_e32 v3, s4, v1
	v_cmp_le_u32_e64 s[2:3], s4, v1
	v_cndmask_b32_e64 v1, v1, v3, s[2:3]
	s_add_i32 s2, s14, s13
	v_lshlrev_b32_e32 v34, 1, v34
	v_lshlrev_b32_e32 v1, 1, v1
	s_add_i32 s2, s2, s12
	s_lshl_b32 s3, s20, 2
	v_and_b32_e32 v35, -4, v34
	v_and_b32_e32 v1, -4, v1
	s_sub_i32 s2, s2, s3
	v_add_u32_e32 v34, v0, v35
	v_add_u32_e32 v48, v0, v1
	v_mul_lo_u32 v0, s2, v2
	v_lshl_add_u32 v0, v0, 8, v16
	v_lshl_or_b32 v16, v6, 3, v0
	v_add_u32_e32 v0, s21, v7
	s_mov_b32 s8, 0
	v_cmp_gt_i32_e64 s[0:1], s1, v6
	s_waitcnt vmcnt(1)
	v_lshrrev_b32_e32 v26, 16, v8
	v_lshrrev_b32_e32 v27, 16, v9
	;; [unrolled: 1-line block ×4, first 2 shown]
	s_waitcnt vmcnt(0)
	v_lshrrev_b32_e32 v30, 16, v12
	v_lshrrev_b32_e32 v31, 16, v13
	;; [unrolled: 1-line block ×4, first 2 shown]
	v_add_u32_e32 v35, v49, v35
	v_add_u32_e32 v49, v49, v1
	v_add3_u32 v50, v0, v17, 0
	s_mov_b64 s[6:7], 0
	s_mov_b32 s9, 0x800000
	s_mov_b32 s10, 0x7f800000
	s_movk_i32 s11, 0x7fff
	s_mov_b32 s13, 0x7060302
	v_mov_b32_e32 v51, 0
	s_branch .LBB89_10
.LBB89_9:                               ;   in Loop: Header=BB89_10 Depth=1
	s_or_b64 exec, exec, s[4:5]
	v_ashrrev_i32_e32 v17, 31, v16
	v_lshlrev_b64 v[0:1], 1, v[16:17]
	v_mov_b32_e32 v2, s17
	v_add_co_u32_e64 v4, s[2:3], s16, v0
	v_addc_co_u32_e64 v5, s[2:3], v2, v1, s[2:3]
	s_add_i32 s8, s8, 1
	v_cmp_ge_i32_e64 s[2:3], s8, v19
	v_perm_b32 v3, v59, v58, s13
	v_perm_b32 v2, v57, v56, s13
	;; [unrolled: 1-line block ×4, first 2 shown]
	v_add_u32_e32 v16, 0x100, v16
	s_or_b64 s[6:7], s[2:3], s[6:7]
	v_add_u32_e32 v50, 0x200, v50
	global_store_dwordx4 v[4:5], v[0:3], off
	s_andn2_b64 exec, exec, s[6:7]
	s_cbranch_execz .LBB89_44
.LBB89_10:                              ; =>This Inner Loop Header: Depth=1
	ds_read_b128 v[0:3], v50
	s_waitcnt lgkmcnt(0)
	v_and_b32_e32 v54, 0xffff0000, v0
	v_lshlrev_b32_e32 v17, 16, v0
	v_and_b32_e32 v5, 0xffff0000, v1
	v_lshlrev_b32_e32 v4, 16, v1
	v_mul_f32_e32 v6, v54, v54
	v_pk_mul_f32 v[0:1], v[4:5], v[4:5]
	v_fmac_f32_e32 v6, v17, v17
	v_add_f32_e32 v0, v6, v0
	v_and_b32_e32 v7, 0xffff0000, v2
	v_lshlrev_b32_e32 v6, 16, v2
	v_add_f32_e32 v52, v0, v1
	v_pk_mul_f32 v[0:1], v[6:7], v[6:7]
	v_add_f32_e32 v0, v52, v0
	v_and_b32_e32 v53, 0xffff0000, v3
	v_lshlrev_b32_e32 v52, 16, v3
	v_add_f32_e32 v2, v0, v1
	v_pk_mul_f32 v[0:1], v[52:53], v[52:53]
	v_add_f32_e32 v0, v2, v0
	v_add_f32_e32 v0, v0, v1
	ds_bpermute_b32 v1, v20, v0
	v_mov_b32_e32 v3, s15
	v_add_u32_e32 v2, s8, v18
	v_cmp_gt_i32_e64 s[2:3], s12, v2
	v_cndmask_b32_e64 v56, v13, v9, s[2:3]
	s_waitcnt lgkmcnt(0)
	v_add_f32_e32 v0, v0, v1
	ds_bpermute_b32 v1, v21, v0
	v_cndmask_b32_e64 v2, v12, v8, s[2:3]
	v_cndmask_b32_e64 v55, v30, v26, s[2:3]
	;; [unrolled: 1-line block ×3, first 2 shown]
	v_lshlrev_b32_e32 v2, 16, v2
	s_waitcnt lgkmcnt(0)
	v_add_f32_e32 v0, v0, v1
	ds_bpermute_b32 v1, v22, v0
	s_waitcnt lgkmcnt(0)
	v_add_f32_e32 v0, v0, v1
	ds_bpermute_b32 v1, v23, v0
	;; [unrolled: 3-line block ×3, first 2 shown]
	s_waitcnt lgkmcnt(0)
	v_add_f32_e32 v0, v0, v1
	v_fmac_f32_e32 v3, 0x3b800000, v0
	v_mul_f32_e32 v0, 0x4b800000, v3
	v_cmp_gt_f32_e64 s[4:5], s9, v3
	v_cndmask_b32_e64 v0, v3, v0, s[4:5]
	v_rsq_f32_e32 v0, v0
	v_lshlrev_b32_e32 v3, 16, v56
	v_lshlrev_b32_e32 v1, 16, v55
	;; [unrolled: 1-line block ×3, first 2 shown]
	v_mul_f32_e32 v56, 0x45800000, v0
	v_cndmask_b32_e64 v56, v0, v56, s[4:5]
	v_mul_f32_e32 v0, v56, v2
	v_mul_f32_e32 v2, v56, v3
	;; [unrolled: 1-line block ×5, first 2 shown]
	v_cndmask_b32_e64 v4, v14, v10, s[2:3]
	v_cndmask_b32_e64 v5, v32, v28, s[2:3]
	v_lshlrev_b32_e32 v4, 16, v4
	v_lshlrev_b32_e32 v5, 16, v5
	v_mul_f32_e32 v4, v56, v4
	v_mul_f32_e32 v5, v56, v5
	;; [unrolled: 1-line block ×4, first 2 shown]
	v_cndmask_b32_e64 v6, v15, v11, s[2:3]
	v_cndmask_b32_e64 v7, v33, v29, s[2:3]
	v_lshlrev_b32_e32 v6, 16, v6
	v_lshlrev_b32_e32 v7, 16, v7
	v_mul_f32_e32 v1, v56, v1
	v_mul_f32_e32 v6, v56, v6
	v_mul_f32_e32 v7, v56, v7
	v_mul_f32_e32 v0, v0, v17
	v_mul_f32_e32 v1, v1, v54
	v_mul_f32_e32 v6, v6, v52
	v_mul_f32_e32 v7, v7, v53
	s_and_saveexec_b64 s[2:3], vcc
	s_cbranch_execz .LBB89_12
; %bb.11:                               ;   in Loop: Header=BB89_10 Depth=1
	ds_bpermute_b32 v17, v25, v0
	ds_bpermute_b32 v53, v25, v1
	; wave barrier
	ds_read_b32 v54, v34
	ds_read_b32 v52, v35
	;; [unrolled: 1-line block ×8, first 2 shown]
	s_waitcnt lgkmcnt(9)
	v_cndmask_b32_e64 v17, v17, -v17, s[0:1]
	s_waitcnt lgkmcnt(6)
	v_mul_f32_e32 v52, v17, v52
	v_cndmask_b32_e64 v17, v53, -v53, s[0:1]
	v_fmac_f32_e32 v52, v0, v54
	ds_bpermute_b32 v0, v25, v2
	s_waitcnt lgkmcnt(5)
	v_mul_f32_e32 v53, v17, v56
	v_fmac_f32_e32 v53, v1, v55
	ds_bpermute_b32 v1, v25, v3
	s_waitcnt lgkmcnt(1)
	v_cndmask_b32_e64 v0, v0, -v0, s[0:1]
	v_mul_f32_e32 v54, v0, v58
	ds_bpermute_b32 v0, v25, v4
	s_waitcnt lgkmcnt(1)
	v_cndmask_b32_e64 v1, v1, -v1, s[0:1]
	v_mul_f32_e32 v55, v1, v60
	ds_bpermute_b32 v1, v25, v5
	v_fmac_f32_e32 v54, v2, v57
	s_waitcnt lgkmcnt(1)
	v_cndmask_b32_e64 v0, v0, -v0, s[0:1]
	v_fmac_f32_e32 v55, v3, v59
	ds_read_b32 v2, v42
	ds_read_b32 v3, v43
	;; [unrolled: 1-line block ×8, first 2 shown]
	s_waitcnt lgkmcnt(6)
	v_mul_f32_e32 v56, v0, v3
	ds_bpermute_b32 v0, v25, v6
	v_cndmask_b32_e64 v1, v1, -v1, s[0:1]
	s_waitcnt lgkmcnt(5)
	v_mul_f32_e32 v57, v1, v57
	ds_bpermute_b32 v1, v25, v7
	v_fmac_f32_e32 v56, v4, v2
	s_waitcnt lgkmcnt(1)
	v_cndmask_b32_e64 v0, v0, -v0, s[0:1]
	v_mul_f32_e32 v58, v0, v58
	v_fmac_f32_e32 v58, v6, v59
	s_waitcnt lgkmcnt(0)
	v_cndmask_b32_e64 v0, v1, -v1, s[0:1]
	v_mul_f32_e32 v59, v0, v61
	v_fmac_f32_e32 v57, v5, v17
	v_fmac_f32_e32 v59, v7, v60
	v_pk_mov_b32 v[0:1], v[52:53], v[52:53] op_sel:[0,1]
	v_pk_mov_b32 v[2:3], v[54:55], v[54:55] op_sel:[0,1]
	;; [unrolled: 1-line block ×4, first 2 shown]
	; wave barrier
.LBB89_12:                              ;   in Loop: Header=BB89_10 Depth=1
	s_or_b64 exec, exec, s[2:3]
	v_and_b32_e32 v17, 0x7f800000, v0
	v_cmp_ne_u32_e64 s[2:3], s10, v17
                                        ; implicit-def: $vgpr52
	s_and_saveexec_b64 s[4:5], s[2:3]
	s_xor_b64 s[2:3], exec, s[4:5]
; %bb.13:                               ;   in Loop: Header=BB89_10 Depth=1
	v_bfe_u32 v17, v0, 16, 1
	v_add3_u32 v52, v0, v17, s11
; %bb.14:                               ;   in Loop: Header=BB89_10 Depth=1
	s_andn2_saveexec_b64 s[4:5], s[2:3]
; %bb.15:                               ;   in Loop: Header=BB89_10 Depth=1
	v_or_b32_e32 v17, 0x10000, v0
	v_cmp_eq_u32_sdwa s[2:3], v0, v51 src0_sel:WORD_0 src1_sel:DWORD
	v_cndmask_b32_e64 v52, v17, v0, s[2:3]
; %bb.16:                               ;   in Loop: Header=BB89_10 Depth=1
	s_or_b64 exec, exec, s[4:5]
	v_and_b32_e32 v0, 0x7f800000, v1
	v_cmp_ne_u32_e64 s[2:3], s10, v0
                                        ; implicit-def: $vgpr53
	s_and_saveexec_b64 s[4:5], s[2:3]
	s_xor_b64 s[2:3], exec, s[4:5]
; %bb.17:                               ;   in Loop: Header=BB89_10 Depth=1
	v_bfe_u32 v0, v1, 16, 1
	v_add3_u32 v53, v1, v0, s11
; %bb.18:                               ;   in Loop: Header=BB89_10 Depth=1
	s_andn2_saveexec_b64 s[4:5], s[2:3]
; %bb.19:                               ;   in Loop: Header=BB89_10 Depth=1
	v_or_b32_e32 v0, 0x10000, v1
	v_cmp_eq_u32_sdwa s[2:3], v1, v51 src0_sel:WORD_0 src1_sel:DWORD
	v_cndmask_b32_e64 v53, v0, v1, s[2:3]
; %bb.20:                               ;   in Loop: Header=BB89_10 Depth=1
	s_or_b64 exec, exec, s[4:5]
	v_and_b32_e32 v0, 0x7f800000, v2
	v_cmp_ne_u32_e64 s[2:3], s10, v0
                                        ; implicit-def: $vgpr54
	s_and_saveexec_b64 s[4:5], s[2:3]
	s_xor_b64 s[2:3], exec, s[4:5]
; %bb.21:                               ;   in Loop: Header=BB89_10 Depth=1
	v_bfe_u32 v0, v2, 16, 1
	v_add3_u32 v54, v2, v0, s11
; %bb.22:                               ;   in Loop: Header=BB89_10 Depth=1
	s_andn2_saveexec_b64 s[4:5], s[2:3]
; %bb.23:                               ;   in Loop: Header=BB89_10 Depth=1
	v_or_b32_e32 v0, 0x10000, v2
	v_cmp_eq_u32_sdwa s[2:3], v2, v51 src0_sel:WORD_0 src1_sel:DWORD
	v_cndmask_b32_e64 v54, v0, v2, s[2:3]
; %bb.24:                               ;   in Loop: Header=BB89_10 Depth=1
	s_or_b64 exec, exec, s[4:5]
	v_and_b32_e32 v0, 0x7f800000, v3
	v_cmp_ne_u32_e64 s[2:3], s10, v0
                                        ; implicit-def: $vgpr55
	s_and_saveexec_b64 s[4:5], s[2:3]
	s_xor_b64 s[2:3], exec, s[4:5]
; %bb.25:                               ;   in Loop: Header=BB89_10 Depth=1
	v_bfe_u32 v0, v3, 16, 1
	v_add3_u32 v55, v3, v0, s11
; %bb.26:                               ;   in Loop: Header=BB89_10 Depth=1
	s_andn2_saveexec_b64 s[4:5], s[2:3]
; %bb.27:                               ;   in Loop: Header=BB89_10 Depth=1
	v_or_b32_e32 v0, 0x10000, v3
	v_cmp_eq_u32_sdwa s[2:3], v3, v51 src0_sel:WORD_0 src1_sel:DWORD
	v_cndmask_b32_e64 v55, v0, v3, s[2:3]
; %bb.28:                               ;   in Loop: Header=BB89_10 Depth=1
	s_or_b64 exec, exec, s[4:5]
	v_and_b32_e32 v0, 0x7f800000, v4
	v_cmp_ne_u32_e64 s[2:3], s10, v0
                                        ; implicit-def: $vgpr56
	s_and_saveexec_b64 s[4:5], s[2:3]
	s_xor_b64 s[2:3], exec, s[4:5]
; %bb.29:                               ;   in Loop: Header=BB89_10 Depth=1
	v_bfe_u32 v0, v4, 16, 1
	v_add3_u32 v56, v4, v0, s11
; %bb.30:                               ;   in Loop: Header=BB89_10 Depth=1
	s_andn2_saveexec_b64 s[4:5], s[2:3]
; %bb.31:                               ;   in Loop: Header=BB89_10 Depth=1
	v_or_b32_e32 v0, 0x10000, v4
	v_cmp_eq_u32_sdwa s[2:3], v4, v51 src0_sel:WORD_0 src1_sel:DWORD
	v_cndmask_b32_e64 v56, v0, v4, s[2:3]
; %bb.32:                               ;   in Loop: Header=BB89_10 Depth=1
	s_or_b64 exec, exec, s[4:5]
	v_and_b32_e32 v0, 0x7f800000, v5
	v_cmp_ne_u32_e64 s[2:3], s10, v0
                                        ; implicit-def: $vgpr57
	s_and_saveexec_b64 s[4:5], s[2:3]
	s_xor_b64 s[2:3], exec, s[4:5]
; %bb.33:                               ;   in Loop: Header=BB89_10 Depth=1
	v_bfe_u32 v0, v5, 16, 1
	v_add3_u32 v57, v5, v0, s11
; %bb.34:                               ;   in Loop: Header=BB89_10 Depth=1
	s_andn2_saveexec_b64 s[4:5], s[2:3]
; %bb.35:                               ;   in Loop: Header=BB89_10 Depth=1
	v_or_b32_e32 v0, 0x10000, v5
	v_cmp_eq_u32_sdwa s[2:3], v5, v51 src0_sel:WORD_0 src1_sel:DWORD
	v_cndmask_b32_e64 v57, v0, v5, s[2:3]
; %bb.36:                               ;   in Loop: Header=BB89_10 Depth=1
	s_or_b64 exec, exec, s[4:5]
	v_and_b32_e32 v0, 0x7f800000, v6
	v_cmp_ne_u32_e64 s[2:3], s10, v0
                                        ; implicit-def: $vgpr58
	s_and_saveexec_b64 s[4:5], s[2:3]
	s_xor_b64 s[2:3], exec, s[4:5]
; %bb.37:                               ;   in Loop: Header=BB89_10 Depth=1
	v_bfe_u32 v0, v6, 16, 1
	v_add3_u32 v58, v6, v0, s11
; %bb.38:                               ;   in Loop: Header=BB89_10 Depth=1
	s_andn2_saveexec_b64 s[4:5], s[2:3]
; %bb.39:                               ;   in Loop: Header=BB89_10 Depth=1
	v_or_b32_e32 v0, 0x10000, v6
	v_cmp_eq_u32_sdwa s[2:3], v6, v51 src0_sel:WORD_0 src1_sel:DWORD
	v_cndmask_b32_e64 v58, v0, v6, s[2:3]
; %bb.40:                               ;   in Loop: Header=BB89_10 Depth=1
	s_or_b64 exec, exec, s[4:5]
	v_and_b32_e32 v0, 0x7f800000, v7
	v_cmp_ne_u32_e64 s[2:3], s10, v0
                                        ; implicit-def: $vgpr59
	s_and_saveexec_b64 s[4:5], s[2:3]
	s_xor_b64 s[2:3], exec, s[4:5]
; %bb.41:                               ;   in Loop: Header=BB89_10 Depth=1
	v_bfe_u32 v0, v7, 16, 1
	v_add3_u32 v59, v7, v0, s11
                                        ; implicit-def: $vgpr0_vgpr1_vgpr2_vgpr3_vgpr4_vgpr5_vgpr6_vgpr7
; %bb.42:                               ;   in Loop: Header=BB89_10 Depth=1
	s_andn2_saveexec_b64 s[4:5], s[2:3]
	s_cbranch_execz .LBB89_9
; %bb.43:                               ;   in Loop: Header=BB89_10 Depth=1
	v_or_b32_e32 v0, 0x10000, v7
	v_cmp_eq_u32_sdwa s[2:3], v7, v51 src0_sel:WORD_0 src1_sel:DWORD
	v_cndmask_b32_e64 v59, v0, v7, s[2:3]
	s_branch .LBB89_9
.LBB89_44:
	s_endpgm
	.section	.rodata,"a",@progbits
	.p2align	6, 0x0
	.amdhsa_kernel _ZN12tensorrt_llm7kernels32fusedQKNormRopeKernelNTokenHeadsIN3c108BFloat16EfLi256ELb0ELi4EEEvPviiifPKvS6_S6_PKlii
		.amdhsa_group_segment_fixed_size 0
		.amdhsa_private_segment_fixed_size 0
		.amdhsa_kernarg_size 320
		.amdhsa_user_sgpr_count 6
		.amdhsa_user_sgpr_private_segment_buffer 1
		.amdhsa_user_sgpr_dispatch_ptr 0
		.amdhsa_user_sgpr_queue_ptr 0
		.amdhsa_user_sgpr_kernarg_segment_ptr 1
		.amdhsa_user_sgpr_dispatch_id 0
		.amdhsa_user_sgpr_flat_scratch_init 0
		.amdhsa_user_sgpr_kernarg_preload_length 0
		.amdhsa_user_sgpr_kernarg_preload_offset 0
		.amdhsa_user_sgpr_private_segment_size 0
		.amdhsa_uses_dynamic_stack 0
		.amdhsa_system_sgpr_private_segment_wavefront_offset 0
		.amdhsa_system_sgpr_workgroup_id_x 1
		.amdhsa_system_sgpr_workgroup_id_y 0
		.amdhsa_system_sgpr_workgroup_id_z 0
		.amdhsa_system_sgpr_workgroup_info 0
		.amdhsa_system_vgpr_workitem_id 0
		.amdhsa_next_free_vgpr 62
		.amdhsa_next_free_sgpr 24
		.amdhsa_accum_offset 64
		.amdhsa_reserve_vcc 1
		.amdhsa_reserve_flat_scratch 0
		.amdhsa_float_round_mode_32 0
		.amdhsa_float_round_mode_16_64 0
		.amdhsa_float_denorm_mode_32 3
		.amdhsa_float_denorm_mode_16_64 3
		.amdhsa_dx10_clamp 1
		.amdhsa_ieee_mode 1
		.amdhsa_fp16_overflow 0
		.amdhsa_tg_split 0
		.amdhsa_exception_fp_ieee_invalid_op 0
		.amdhsa_exception_fp_denorm_src 0
		.amdhsa_exception_fp_ieee_div_zero 0
		.amdhsa_exception_fp_ieee_overflow 0
		.amdhsa_exception_fp_ieee_underflow 0
		.amdhsa_exception_fp_ieee_inexact 0
		.amdhsa_exception_int_div_zero 0
	.end_amdhsa_kernel
	.section	.text._ZN12tensorrt_llm7kernels32fusedQKNormRopeKernelNTokenHeadsIN3c108BFloat16EfLi256ELb0ELi4EEEvPviiifPKvS6_S6_PKlii,"axG",@progbits,_ZN12tensorrt_llm7kernels32fusedQKNormRopeKernelNTokenHeadsIN3c108BFloat16EfLi256ELb0ELi4EEEvPviiifPKvS6_S6_PKlii,comdat
.Lfunc_end89:
	.size	_ZN12tensorrt_llm7kernels32fusedQKNormRopeKernelNTokenHeadsIN3c108BFloat16EfLi256ELb0ELi4EEEvPviiifPKvS6_S6_PKlii, .Lfunc_end89-_ZN12tensorrt_llm7kernels32fusedQKNormRopeKernelNTokenHeadsIN3c108BFloat16EfLi256ELb0ELi4EEEvPviiifPKvS6_S6_PKlii
                                        ; -- End function
	.section	.AMDGPU.csdata,"",@progbits
; Kernel info:
; codeLenInByte = 3264
; NumSgprs: 28
; NumVgprs: 62
; NumAgprs: 0
; TotalNumVgprs: 62
; ScratchSize: 0
; MemoryBound: 0
; FloatMode: 240
; IeeeMode: 1
; LDSByteSize: 0 bytes/workgroup (compile time only)
; SGPRBlocks: 3
; VGPRBlocks: 7
; NumSGPRsForWavesPerEU: 28
; NumVGPRsForWavesPerEU: 62
; AccumOffset: 64
; Occupancy: 8
; WaveLimiterHint : 0
; COMPUTE_PGM_RSRC2:SCRATCH_EN: 0
; COMPUTE_PGM_RSRC2:USER_SGPR: 6
; COMPUTE_PGM_RSRC2:TRAP_HANDLER: 0
; COMPUTE_PGM_RSRC2:TGID_X_EN: 1
; COMPUTE_PGM_RSRC2:TGID_Y_EN: 0
; COMPUTE_PGM_RSRC2:TGID_Z_EN: 0
; COMPUTE_PGM_RSRC2:TIDIG_COMP_CNT: 0
; COMPUTE_PGM_RSRC3_GFX90A:ACCUM_OFFSET: 15
; COMPUTE_PGM_RSRC3_GFX90A:TG_SPLIT: 0
	.section	.text._ZN12tensorrt_llm7kernels32fusedQKNormRopeKernelNTokenHeadsIN3c108BFloat16EfLi64ELb1ELi8EEEvPviiifPKvS6_S6_PKlii,"axG",@progbits,_ZN12tensorrt_llm7kernels32fusedQKNormRopeKernelNTokenHeadsIN3c108BFloat16EfLi64ELb1ELi8EEEvPviiifPKvS6_S6_PKlii,comdat
	.protected	_ZN12tensorrt_llm7kernels32fusedQKNormRopeKernelNTokenHeadsIN3c108BFloat16EfLi64ELb1ELi8EEEvPviiifPKvS6_S6_PKlii ; -- Begin function _ZN12tensorrt_llm7kernels32fusedQKNormRopeKernelNTokenHeadsIN3c108BFloat16EfLi64ELb1ELi8EEEvPviiifPKvS6_S6_PKlii
	.globl	_ZN12tensorrt_llm7kernels32fusedQKNormRopeKernelNTokenHeadsIN3c108BFloat16EfLi64ELb1ELi8EEEvPviiifPKvS6_S6_PKlii
	.p2align	8
	.type	_ZN12tensorrt_llm7kernels32fusedQKNormRopeKernelNTokenHeadsIN3c108BFloat16EfLi64ELb1ELi8EEEvPviiifPKvS6_S6_PKlii,@function
_ZN12tensorrt_llm7kernels32fusedQKNormRopeKernelNTokenHeadsIN3c108BFloat16EfLi64ELb1ELi8EEEvPviiifPKvS6_S6_PKlii: ; @_ZN12tensorrt_llm7kernels32fusedQKNormRopeKernelNTokenHeadsIN3c108BFloat16EfLi64ELb1ELi8EEEvPviiifPKvS6_S6_PKlii
; %bb.0:
	s_load_dwordx4 s[12:15], s[4:5], 0x8
	s_load_dwordx2 s[2:3], s[4:5], 0x38
	s_load_dword s0, s[4:5], 0x4c
	v_lshrrev_b32_e32 v12, 5, v0
	s_waitcnt lgkmcnt(0)
	s_add_i32 s21, s13, s12
	s_add_i32 s1, s21, 7
	s_ashr_i32 s7, s1, 31
	s_lshr_b32 s7, s7, 29
	s_add_i32 s1, s1, s7
	s_ashr_i32 s20, s1, 3
	s_abs_i32 s1, s20
	v_cvt_f32_u32_e32 v1, s1
	s_bfe_u32 s0, s0, 0xb0005
	s_mul_i32 s6, s6, s0
	v_add_u32_e32 v9, s6, v12
	v_rcp_iflag_f32_e32 v1, v1
	s_sub_i32 s6, 0, s1
	v_sub_u32_e32 v2, 0, v9
	v_max_i32_e32 v2, v9, v2
	v_mul_f32_e32 v1, 0x4f7ffffe, v1
	v_cvt_u32_f32_e32 v1, v1
	v_xor_b32_e32 v3, s20, v9
	v_ashrrev_i32_e32 v3, 31, v3
	v_mul_lo_u32 v4, s6, v1
	v_mul_hi_u32 v4, v1, v4
	v_add_u32_e32 v1, v1, v4
	v_mul_hi_u32 v1, v2, v1
	v_mul_lo_u32 v4, v1, s1
	v_sub_u32_e32 v2, v2, v4
	v_add_u32_e32 v4, 1, v1
	v_cmp_le_u32_e32 vcc, s1, v2
	v_cndmask_b32_e32 v1, v1, v4, vcc
	v_subrev_u32_e32 v4, s1, v2
	v_cndmask_b32_e32 v2, v2, v4, vcc
	v_add_u32_e32 v4, 1, v1
	v_cmp_le_u32_e32 vcc, s1, v2
	v_cndmask_b32_e32 v1, v1, v4, vcc
	v_xor_b32_e32 v1, v1, v3
	v_sub_u32_e32 v2, v1, v3
	v_cmp_gt_i32_e32 vcc, s2, v2
	s_and_saveexec_b64 s[6:7], vcc
	s_cbranch_execz .LBB90_25
; %bb.1:
	v_and_b32_e32 v8, 31, v0
	v_mul_lo_u32 v0, v2, s20
	v_sub_u32_e32 v0, v9, v0
	s_load_dwordx2 s[16:17], s[4:5], 0x0
	v_lshlrev_b32_e32 v0, 3, v0
	v_add_u32_e32 v1, 8, v0
	v_sub_u32_e32 v3, s21, v0
	v_cmp_lt_i32_e32 vcc, s21, v1
	v_cndmask_b32_e32 v7, 8, v3, vcc
	s_lshl_b32 s18, s3, 2
	s_mul_i32 s2, s18, s0
	v_lshlrev_b32_e32 v11, 10, v12
	v_cmp_lt_i32_e64 s[0:1], 0, v7
	v_lshlrev_b32_e32 v10, 2, v8
	s_and_saveexec_b64 s[6:7], s[0:1]
	s_cbranch_execz .LBB90_9
; %bb.2:
	s_mov_b32 s19, 1
	v_lshlrev_b32_e32 v4, 1, v8
	v_cmp_ne_u32_e32 vcc, 1, v7
	s_mov_b64 s[10:11], -1
	v_mov_b32_e32 v1, 0
	s_and_saveexec_b64 s[8:9], vcc
	s_cbranch_execz .LBB90_6
; %bb.3:
	s_add_i32 s21, s21, s14
	s_add_i32 s10, s2, 0
	v_mul_lo_u32 v6, v2, s21
	s_mov_b32 s22, 0
	v_add3_u32 v13, s10, v11, v10
	v_mov_b32_e32 v1, v0
	s_mov_b32 s21, s12
	s_mov_b32 s23, s12
	v_mov_b32_e32 v3, v6
	v_mov_b32_e32 v5, v4
	v_and_b32_e32 v14, 0x7ffffffe, v7
	s_mov_b64 s[10:11], 0
	v_mov_b32_e32 v15, s12
	v_mov_b32_e32 v16, s12
	s_waitcnt lgkmcnt(0)
	v_mov_b32_e32 v17, s17
.LBB90_4:                               ; =>This Inner Loop Header: Depth=1
	v_add_u32_e32 v19, s19, v1
	v_add_u32_e32 v18, s22, v0
	v_cmp_le_i32_e32 vcc, s23, v19
	v_cndmask_b32_e32 v20, 0, v15, vcc
	v_cmp_le_i32_e32 vcc, s21, v18
	v_cndmask_b32_e32 v21, 0, v16, vcc
	v_sub_u32_e32 v18, v18, v21
	v_sub_u32_e32 v19, v19, v20
	v_add3_u32 v18, v6, v21, v18
	v_add3_u32 v19, v3, v20, v19
	v_lshl_or_b32 v18, v18, 6, v4
	v_lshl_or_b32 v20, v19, 6, v5
	v_ashrrev_i32_e32 v19, 31, v18
	v_lshlrev_b64 v[18:19], 1, v[18:19]
	v_ashrrev_i32_e32 v21, 31, v20
	v_add_co_u32_e32 v18, vcc, s16, v18
	v_lshlrev_b64 v[20:21], 1, v[20:21]
	v_addc_co_u32_e32 v19, vcc, v17, v19, vcc
	v_add_co_u32_e32 v20, vcc, s16, v20
	v_addc_co_u32_e32 v21, vcc, v17, v21, vcc
	global_load_dword v22, v[18:19], off
	global_load_dword v23, v[20:21], off
	v_add_u32_e32 v14, -2, v14
	v_lshl_add_u32 v18, s22, 7, v13
	v_lshl_add_u32 v19, s19, 7, v13
	s_add_i32 s22, s22, 2
	s_add_i32 s19, s19, 2
	v_cmp_eq_u32_e32 vcc, 0, v14
	s_or_b64 s[10:11], vcc, s[10:11]
	s_waitcnt vmcnt(1)
	ds_write_b32 v18, v22
	s_waitcnt vmcnt(0)
	ds_write_b32 v19, v23
	s_andn2_b64 exec, exec, s[10:11]
	s_cbranch_execnz .LBB90_4
; %bb.5:
	s_or_b64 exec, exec, s[10:11]
	v_and_b32_e32 v1, 0x7ffffffe, v7
	v_cmp_ne_u32_e32 vcc, v7, v1
	s_orn2_b64 s[10:11], vcc, exec
.LBB90_6:
	s_or_b64 exec, exec, s[8:9]
	s_and_b64 exec, exec, s[10:11]
	s_cbranch_execz .LBB90_9
; %bb.7:
	s_add_i32 s8, s14, s13
	s_add_i32 s8, s8, s12
	s_lshl_b32 s9, s20, 3
	s_sub_i32 s8, s8, s9
	v_mul_lo_u32 v3, s8, v2
	v_lshlrev_b32_e32 v5, 3, v9
	v_add3_u32 v3, v1, v3, v5
	v_lshl_or_b32 v4, v3, 6, v4
	v_lshlrev_b32_e32 v3, 7, v1
	v_add3_u32 v3, s2, v11, v3
	v_add3_u32 v3, v3, v10, 0
	s_mov_b64 s[8:9], 0
	s_waitcnt lgkmcnt(0)
	v_mov_b32_e32 v6, s17
.LBB90_8:                               ; =>This Inner Loop Header: Depth=1
	v_ashrrev_i32_e32 v5, 31, v4
	v_lshlrev_b64 v[14:15], 1, v[4:5]
	v_add_co_u32_e32 v14, vcc, s16, v14
	v_addc_co_u32_e32 v15, vcc, v6, v15, vcc
	global_load_dword v5, v[14:15], off
	v_add_u32_e32 v1, 1, v1
	v_cmp_ge_i32_e32 vcc, v1, v7
	v_add_u32_e32 v4, 64, v4
	s_or_b64 s[8:9], vcc, s[8:9]
	s_waitcnt vmcnt(0)
	ds_write_b32 v3, v5
	v_add_u32_e32 v3, 0x80, v3
	s_andn2_b64 exec, exec, s[8:9]
	s_cbranch_execnz .LBB90_8
.LBB90_9:
	s_or_b64 exec, exec, s[6:7]
	s_add_i32 s18, s18, 15
	s_load_dwordx8 s[4:11], s[4:5], 0x18
	s_ashr_i32 s19, s18, 31
	s_lshr_b32 s19, s19, 28
	s_add_i32 s18, s18, s19
	s_ashr_i32 s21, s18, 4
	v_mul_lo_u32 v1, v12, s3
	v_cmp_gt_i32_e32 vcc, s21, v8
	v_lshlrev_b32_e32 v12, 2, v1
	s_and_saveexec_b64 s[18:19], vcc
	s_cbranch_execz .LBB90_12
; %bb.10:
	v_ashrrev_i32_e32 v3, 31, v2
	v_lshlrev_b64 v[4:5], 3, v[2:3]
	s_waitcnt lgkmcnt(0)
	v_mov_b32_e32 v1, s11
	v_add_co_u32_e32 v4, vcc, s10, v4
	v_addc_co_u32_e32 v5, vcc, v1, v5, vcc
	global_load_dwordx2 v[4:5], v[4:5], off
	s_ashr_i32 s22, s3, 31
	v_lshlrev_b32_e32 v3, 4, v8
	v_add3_u32 v1, v12, v3, 0
	v_mov_b32_e32 v6, s9
	s_mov_b64 s[10:11], 0
	s_waitcnt vmcnt(0)
	v_mul_lo_u32 v13, v5, s3
	v_mul_lo_u32 v14, v4, s22
	v_mad_u64_u32 v[4:5], s[22:23], v4, s3, 0
	v_add3_u32 v5, v5, v14, v13
	v_lshlrev_b64 v[4:5], 2, v[4:5]
	v_add_co_u32_e32 v3, vcc, v4, v3
	v_addc_co_u32_e32 v5, vcc, 0, v5, vcc
	v_add_co_u32_e32 v4, vcc, s8, v3
	v_addc_co_u32_e32 v5, vcc, v6, v5, vcc
	v_mov_b32_e32 v3, v8
.LBB90_11:                              ; =>This Inner Loop Header: Depth=1
	global_load_dwordx4 v[14:17], v[4:5], off
	v_add_co_u32_e32 v4, vcc, 0x200, v4
	v_add_u32_e32 v3, 32, v3
	v_addc_co_u32_e32 v5, vcc, 0, v5, vcc
	v_cmp_le_i32_e32 vcc, s21, v3
	s_or_b64 s[10:11], vcc, s[10:11]
	s_waitcnt vmcnt(0)
	ds_write_b128 v1, v[14:17]
	v_add_u32_e32 v1, 0x200, v1
	s_andn2_b64 exec, exec, s[10:11]
	s_cbranch_execnz .LBB90_11
.LBB90_12:
	s_or_b64 exec, exec, s[18:19]
	s_and_b64 exec, exec, s[0:1]
	s_cbranch_execz .LBB90_25
; %bb.13:
	s_waitcnt lgkmcnt(0)
	global_load_dword v1, v10, s[4:5]
	global_load_dword v6, v10, s[6:7]
	v_mbcnt_lo_u32_b32 v3, -1, 0
	s_lshr_b32 s0, s3, 31
	s_add_i32 s1, s14, s13
	v_add_u32_e32 v5, s2, v11
	v_mbcnt_hi_u32_b32 v3, -1, v3
	v_add3_u32 v12, 0, v12, v10
	s_lshl_b32 s11, s20, 3
	s_add_i32 s0, s3, s0
	s_add_i32 s1, s1, s12
	v_add3_u32 v10, v5, v10, 0
	v_and_b32_e32 v5, 0x60, v3
	s_ashr_i32 s0, s0, 1
	v_xor_b32_e32 v14, 16, v3
	s_sub_i32 s1, s1, s11
	v_add_u32_e32 v5, 32, v5
	v_xor_b32_e32 v15, 8, v3
	v_cmp_gt_i32_e32 vcc, s0, v8
	v_lshl_add_u32 v13, s0, 2, v12
	v_mul_lo_u32 v2, s1, v2
	v_cmp_lt_i32_e64 s[0:1], v14, v5
	v_xor_b32_e32 v16, 4, v3
	v_cndmask_b32_e64 v14, v3, v14, s[0:1]
	v_cmp_lt_i32_e64 s[0:1], v15, v5
	v_xor_b32_e32 v17, 2, v3
	v_cndmask_b32_e64 v15, v3, v15, s[0:1]
	;; [unrolled: 3-line block ×3, first 2 shown]
	v_cmp_lt_i32_e64 s[0:1], v17, v5
	v_lshlrev_b32_e32 v4, 9, v9
	v_cndmask_b32_e64 v17, v3, v17, s[0:1]
	v_cmp_lt_i32_e64 s[0:1], v18, v5
	v_cndmask_b32_e64 v3, v3, v18, s[0:1]
	v_lshl_add_u32 v2, v2, 6, v4
	s_mov_b32 s6, 0
	s_mov_b64 s[4:5], 0
	s_mov_b32 s7, 0xffff0000
	v_mov_b32_e32 v9, s15
	s_mov_b32 s8, 0x800000
	s_mov_b32 s9, 0x7f800000
	s_movk_i32 s10, 0x7fff
	v_mov_b32_e32 v11, s17
	v_lshlrev_b32_e32 v14, 2, v14
	v_lshlrev_b32_e32 v15, 2, v15
	;; [unrolled: 1-line block ×5, first 2 shown]
	v_lshl_or_b32 v2, v8, 1, v2
	v_mov_b32_e32 v20, 0
	s_waitcnt vmcnt(1)
	v_lshrrev_b32_e32 v8, 16, v1
	s_waitcnt vmcnt(0)
	v_lshrrev_b32_e32 v19, 16, v6
	s_branch .LBB90_15
.LBB90_14:                              ;   in Loop: Header=BB90_15 Depth=1
	s_or_b64 exec, exec, s[2:3]
	v_lshrrev_b32_e32 v3, 16, v3
	v_and_or_b32 v21, v21, s7, v3
	v_ashrrev_i32_e32 v3, 31, v2
	v_lshlrev_b64 v[4:5], 1, v[2:3]
	v_add_co_u32_e64 v4, s[0:1], s16, v4
	v_addc_co_u32_e64 v5, s[0:1], v11, v5, s[0:1]
	s_add_i32 s6, s6, 1
	v_cmp_ge_i32_e64 s[0:1], s6, v7
	v_add_u32_e32 v2, 64, v2
	s_or_b64 s[4:5], s[0:1], s[4:5]
	v_add_u32_e32 v10, 0x80, v10
	global_store_dword v[4:5], v21, off
	s_andn2_b64 exec, exec, s[4:5]
	s_cbranch_execz .LBB90_25
.LBB90_15:                              ; =>This Inner Loop Header: Depth=1
	ds_read_b32 v3, v10
	s_waitcnt lgkmcnt(0)
	v_and_b32_e32 v5, 0xffff0000, v3
	v_lshlrev_b32_e32 v4, 16, v3
	v_pk_mul_f32 v[22:23], v[4:5], v[4:5]
	v_add_f32_e32 v3, v23, v22
	ds_bpermute_b32 v21, v14, v3
	v_mov_b32_e32 v23, v9
	v_add_u32_e32 v22, s6, v0
	v_cmp_gt_i32_e64 s[2:3], s12, v22
	v_cndmask_b32_e64 v22, v6, v1, s[2:3]
	s_waitcnt lgkmcnt(0)
	v_add_f32_e32 v3, v3, v21
	ds_bpermute_b32 v21, v15, v3
	v_lshlrev_b32_e32 v22, 16, v22
	s_waitcnt lgkmcnt(0)
	v_add_f32_e32 v3, v3, v21
	ds_bpermute_b32 v21, v16, v3
	s_waitcnt lgkmcnt(0)
	v_add_f32_e32 v3, v3, v21
	ds_bpermute_b32 v21, v17, v3
	;; [unrolled: 3-line block ×3, first 2 shown]
	s_waitcnt lgkmcnt(0)
	v_add_f32_e32 v3, v3, v21
	v_fmac_f32_e32 v23, 0x3c800000, v3
	v_mul_f32_e32 v3, 0x4b800000, v23
	v_cmp_gt_f32_e64 s[0:1], s8, v23
	v_cndmask_b32_e64 v3, v23, v3, s[0:1]
	v_rsq_f32_e32 v3, v3
	v_cndmask_b32_e64 v21, v19, v8, s[2:3]
	v_lshlrev_b32_e32 v23, 16, v21
	v_mul_f32_e32 v21, 0x45800000, v3
	v_cndmask_b32_e64 v24, v3, v21, s[0:1]
	v_pk_mul_f32 v[22:23], v[24:25], v[22:23] op_sel_hi:[0,1]
	v_pk_mul_f32 v[4:5], v[22:23], v[4:5]
	s_and_saveexec_b64 s[0:1], vcc
	s_cbranch_execz .LBB90_17
; %bb.16:                               ;   in Loop: Header=BB90_15 Depth=1
	ds_read_b32 v22, v13
	ds_read_b32 v23, v12
	s_waitcnt lgkmcnt(1)
	v_mul_f32_e32 v3, v5, v22
	s_waitcnt lgkmcnt(0)
	v_pk_mul_f32 v[24:25], v[4:5], v[22:23]
	v_fma_f32 v26, v4, v23, -v3
	v_mov_b32_e32 v3, v24
	v_pk_fma_f32 v[4:5], v[4:5], v[22:23], v[2:3]
	v_mov_b32_e32 v27, v5
	v_pk_mov_b32 v[4:5], v[26:27], v[26:27] op_sel:[0,1]
.LBB90_17:                              ;   in Loop: Header=BB90_15 Depth=1
	s_or_b64 exec, exec, s[0:1]
	v_and_b32_e32 v3, 0x7f800000, v4
	v_cmp_ne_u32_e64 s[0:1], s9, v3
                                        ; implicit-def: $vgpr3
	s_and_saveexec_b64 s[2:3], s[0:1]
	s_xor_b64 s[0:1], exec, s[2:3]
; %bb.18:                               ;   in Loop: Header=BB90_15 Depth=1
	v_bfe_u32 v3, v4, 16, 1
	v_add3_u32 v3, v4, v3, s10
; %bb.19:                               ;   in Loop: Header=BB90_15 Depth=1
	s_andn2_saveexec_b64 s[2:3], s[0:1]
; %bb.20:                               ;   in Loop: Header=BB90_15 Depth=1
	v_or_b32_e32 v3, 0x10000, v4
	v_cmp_eq_u32_sdwa s[0:1], v4, v20 src0_sel:WORD_0 src1_sel:DWORD
	v_cndmask_b32_e64 v3, v3, v4, s[0:1]
; %bb.21:                               ;   in Loop: Header=BB90_15 Depth=1
	s_or_b64 exec, exec, s[2:3]
	v_and_b32_e32 v4, 0x7f800000, v5
	v_cmp_ne_u32_e64 s[0:1], s9, v4
                                        ; implicit-def: $vgpr21
	s_and_saveexec_b64 s[2:3], s[0:1]
	s_xor_b64 s[0:1], exec, s[2:3]
; %bb.22:                               ;   in Loop: Header=BB90_15 Depth=1
	v_bfe_u32 v4, v5, 16, 1
	v_add3_u32 v21, v5, v4, s10
                                        ; implicit-def: $vgpr4_vgpr5
; %bb.23:                               ;   in Loop: Header=BB90_15 Depth=1
	s_andn2_saveexec_b64 s[2:3], s[0:1]
	s_cbranch_execz .LBB90_14
; %bb.24:                               ;   in Loop: Header=BB90_15 Depth=1
	v_or_b32_e32 v4, 0x10000, v5
	v_cmp_eq_u32_sdwa s[0:1], v5, v20 src0_sel:WORD_0 src1_sel:DWORD
	v_cndmask_b32_e64 v21, v4, v5, s[0:1]
	s_branch .LBB90_14
.LBB90_25:
	s_endpgm
	.section	.rodata,"a",@progbits
	.p2align	6, 0x0
	.amdhsa_kernel _ZN12tensorrt_llm7kernels32fusedQKNormRopeKernelNTokenHeadsIN3c108BFloat16EfLi64ELb1ELi8EEEvPviiifPKvS6_S6_PKlii
		.amdhsa_group_segment_fixed_size 0
		.amdhsa_private_segment_fixed_size 0
		.amdhsa_kernarg_size 320
		.amdhsa_user_sgpr_count 6
		.amdhsa_user_sgpr_private_segment_buffer 1
		.amdhsa_user_sgpr_dispatch_ptr 0
		.amdhsa_user_sgpr_queue_ptr 0
		.amdhsa_user_sgpr_kernarg_segment_ptr 1
		.amdhsa_user_sgpr_dispatch_id 0
		.amdhsa_user_sgpr_flat_scratch_init 0
		.amdhsa_user_sgpr_kernarg_preload_length 0
		.amdhsa_user_sgpr_kernarg_preload_offset 0
		.amdhsa_user_sgpr_private_segment_size 0
		.amdhsa_uses_dynamic_stack 0
		.amdhsa_system_sgpr_private_segment_wavefront_offset 0
		.amdhsa_system_sgpr_workgroup_id_x 1
		.amdhsa_system_sgpr_workgroup_id_y 0
		.amdhsa_system_sgpr_workgroup_id_z 0
		.amdhsa_system_sgpr_workgroup_info 0
		.amdhsa_system_vgpr_workitem_id 0
		.amdhsa_next_free_vgpr 28
		.amdhsa_next_free_sgpr 24
		.amdhsa_accum_offset 28
		.amdhsa_reserve_vcc 1
		.amdhsa_reserve_flat_scratch 0
		.amdhsa_float_round_mode_32 0
		.amdhsa_float_round_mode_16_64 0
		.amdhsa_float_denorm_mode_32 3
		.amdhsa_float_denorm_mode_16_64 3
		.amdhsa_dx10_clamp 1
		.amdhsa_ieee_mode 1
		.amdhsa_fp16_overflow 0
		.amdhsa_tg_split 0
		.amdhsa_exception_fp_ieee_invalid_op 0
		.amdhsa_exception_fp_denorm_src 0
		.amdhsa_exception_fp_ieee_div_zero 0
		.amdhsa_exception_fp_ieee_overflow 0
		.amdhsa_exception_fp_ieee_underflow 0
		.amdhsa_exception_fp_ieee_inexact 0
		.amdhsa_exception_int_div_zero 0
	.end_amdhsa_kernel
	.section	.text._ZN12tensorrt_llm7kernels32fusedQKNormRopeKernelNTokenHeadsIN3c108BFloat16EfLi64ELb1ELi8EEEvPviiifPKvS6_S6_PKlii,"axG",@progbits,_ZN12tensorrt_llm7kernels32fusedQKNormRopeKernelNTokenHeadsIN3c108BFloat16EfLi64ELb1ELi8EEEvPviiifPKvS6_S6_PKlii,comdat
.Lfunc_end90:
	.size	_ZN12tensorrt_llm7kernels32fusedQKNormRopeKernelNTokenHeadsIN3c108BFloat16EfLi64ELb1ELi8EEEvPviiifPKvS6_S6_PKlii, .Lfunc_end90-_ZN12tensorrt_llm7kernels32fusedQKNormRopeKernelNTokenHeadsIN3c108BFloat16EfLi64ELb1ELi8EEEvPviiifPKvS6_S6_PKlii
                                        ; -- End function
	.section	.AMDGPU.csdata,"",@progbits
; Kernel info:
; codeLenInByte = 1876
; NumSgprs: 28
; NumVgprs: 28
; NumAgprs: 0
; TotalNumVgprs: 28
; ScratchSize: 0
; MemoryBound: 0
; FloatMode: 240
; IeeeMode: 1
; LDSByteSize: 0 bytes/workgroup (compile time only)
; SGPRBlocks: 3
; VGPRBlocks: 3
; NumSGPRsForWavesPerEU: 28
; NumVGPRsForWavesPerEU: 28
; AccumOffset: 28
; Occupancy: 8
; WaveLimiterHint : 0
; COMPUTE_PGM_RSRC2:SCRATCH_EN: 0
; COMPUTE_PGM_RSRC2:USER_SGPR: 6
; COMPUTE_PGM_RSRC2:TRAP_HANDLER: 0
; COMPUTE_PGM_RSRC2:TGID_X_EN: 1
; COMPUTE_PGM_RSRC2:TGID_Y_EN: 0
; COMPUTE_PGM_RSRC2:TGID_Z_EN: 0
; COMPUTE_PGM_RSRC2:TIDIG_COMP_CNT: 0
; COMPUTE_PGM_RSRC3_GFX90A:ACCUM_OFFSET: 6
; COMPUTE_PGM_RSRC3_GFX90A:TG_SPLIT: 0
	.section	.text._ZN12tensorrt_llm7kernels32fusedQKNormRopeKernelNTokenHeadsIN3c108BFloat16EfLi64ELb0ELi8EEEvPviiifPKvS6_S6_PKlii,"axG",@progbits,_ZN12tensorrt_llm7kernels32fusedQKNormRopeKernelNTokenHeadsIN3c108BFloat16EfLi64ELb0ELi8EEEvPviiifPKvS6_S6_PKlii,comdat
	.protected	_ZN12tensorrt_llm7kernels32fusedQKNormRopeKernelNTokenHeadsIN3c108BFloat16EfLi64ELb0ELi8EEEvPviiifPKvS6_S6_PKlii ; -- Begin function _ZN12tensorrt_llm7kernels32fusedQKNormRopeKernelNTokenHeadsIN3c108BFloat16EfLi64ELb0ELi8EEEvPviiifPKvS6_S6_PKlii
	.globl	_ZN12tensorrt_llm7kernels32fusedQKNormRopeKernelNTokenHeadsIN3c108BFloat16EfLi64ELb0ELi8EEEvPviiifPKvS6_S6_PKlii
	.p2align	8
	.type	_ZN12tensorrt_llm7kernels32fusedQKNormRopeKernelNTokenHeadsIN3c108BFloat16EfLi64ELb0ELi8EEEvPviiifPKvS6_S6_PKlii,@function
_ZN12tensorrt_llm7kernels32fusedQKNormRopeKernelNTokenHeadsIN3c108BFloat16EfLi64ELb0ELi8EEEvPviiifPKvS6_S6_PKlii: ; @_ZN12tensorrt_llm7kernels32fusedQKNormRopeKernelNTokenHeadsIN3c108BFloat16EfLi64ELb0ELi8EEEvPviiifPKvS6_S6_PKlii
; %bb.0:
	s_load_dwordx4 s[12:15], s[4:5], 0x8
	s_load_dwordx2 s[2:3], s[4:5], 0x38
	s_load_dword s0, s[4:5], 0x4c
	v_lshrrev_b32_e32 v12, 5, v0
	s_waitcnt lgkmcnt(0)
	s_add_i32 s19, s13, s12
	s_add_i32 s1, s19, 7
	s_ashr_i32 s7, s1, 31
	s_lshr_b32 s7, s7, 29
	s_add_i32 s1, s1, s7
	s_ashr_i32 s20, s1, 3
	s_abs_i32 s1, s20
	v_cvt_f32_u32_e32 v1, s1
	s_bfe_u32 s0, s0, 0xb0005
	s_mul_i32 s6, s6, s0
	v_add_u32_e32 v8, s6, v12
	v_rcp_iflag_f32_e32 v1, v1
	s_sub_i32 s6, 0, s1
	v_sub_u32_e32 v2, 0, v8
	v_max_i32_e32 v2, v8, v2
	v_mul_f32_e32 v1, 0x4f7ffffe, v1
	v_cvt_u32_f32_e32 v1, v1
	v_xor_b32_e32 v3, s20, v8
	v_ashrrev_i32_e32 v3, 31, v3
	v_mul_lo_u32 v4, s6, v1
	v_mul_hi_u32 v4, v1, v4
	v_add_u32_e32 v1, v1, v4
	v_mul_hi_u32 v1, v2, v1
	v_mul_lo_u32 v4, v1, s1
	v_sub_u32_e32 v2, v2, v4
	v_add_u32_e32 v4, 1, v1
	v_cmp_le_u32_e32 vcc, s1, v2
	v_cndmask_b32_e32 v1, v1, v4, vcc
	v_subrev_u32_e32 v4, s1, v2
	v_cndmask_b32_e32 v2, v2, v4, vcc
	v_add_u32_e32 v4, 1, v1
	v_cmp_le_u32_e32 vcc, s1, v2
	v_cndmask_b32_e32 v1, v1, v4, vcc
	v_xor_b32_e32 v1, v1, v3
	v_sub_u32_e32 v2, v1, v3
	v_cmp_gt_i32_e32 vcc, s2, v2
	s_and_saveexec_b64 s[6:7], vcc
	s_cbranch_execz .LBB91_25
; %bb.1:
	v_and_b32_e32 v9, 31, v0
	v_mul_lo_u32 v0, v2, s20
	v_sub_u32_e32 v0, v8, v0
	s_load_dwordx2 s[16:17], s[4:5], 0x0
	v_lshlrev_b32_e32 v0, 3, v0
	v_add_u32_e32 v1, 8, v0
	v_sub_u32_e32 v3, s19, v0
	v_cmp_lt_i32_e32 vcc, s19, v1
	v_cndmask_b32_e32 v7, 8, v3, vcc
	s_lshl_b32 s2, s3, 2
	s_mul_i32 s21, s2, s0
	v_lshlrev_b32_e32 v10, 10, v12
	v_cmp_lt_i32_e64 s[0:1], 0, v7
	v_lshlrev_b32_e32 v11, 2, v9
	s_and_saveexec_b64 s[6:7], s[0:1]
	s_cbranch_execz .LBB91_9
; %bb.2:
	s_mov_b32 s18, 1
	v_lshlrev_b32_e32 v4, 1, v9
	v_cmp_ne_u32_e32 vcc, 1, v7
	s_mov_b64 s[10:11], -1
	v_mov_b32_e32 v1, 0
	s_and_saveexec_b64 s[8:9], vcc
	s_cbranch_execz .LBB91_6
; %bb.3:
	s_add_i32 s19, s19, s14
	s_add_i32 s10, s21, 0
	v_mul_lo_u32 v6, v2, s19
	s_mov_b32 s22, 0
	v_add3_u32 v13, s10, v10, v11
	v_mov_b32_e32 v1, v0
	s_mov_b32 s19, s12
	s_mov_b32 s23, s12
	v_mov_b32_e32 v3, v6
	v_mov_b32_e32 v5, v4
	v_and_b32_e32 v14, 0x7ffffffe, v7
	s_mov_b64 s[10:11], 0
	v_mov_b32_e32 v15, s12
	v_mov_b32_e32 v16, s12
	s_waitcnt lgkmcnt(0)
	v_mov_b32_e32 v17, s17
.LBB91_4:                               ; =>This Inner Loop Header: Depth=1
	v_add_u32_e32 v19, s18, v1
	v_add_u32_e32 v18, s22, v0
	v_cmp_le_i32_e32 vcc, s23, v19
	v_cndmask_b32_e32 v20, 0, v15, vcc
	v_cmp_le_i32_e32 vcc, s19, v18
	v_cndmask_b32_e32 v21, 0, v16, vcc
	v_sub_u32_e32 v18, v18, v21
	v_sub_u32_e32 v19, v19, v20
	v_add3_u32 v18, v6, v21, v18
	v_add3_u32 v19, v3, v20, v19
	v_lshl_or_b32 v18, v18, 6, v4
	v_lshl_or_b32 v20, v19, 6, v5
	v_ashrrev_i32_e32 v19, 31, v18
	v_lshlrev_b64 v[18:19], 1, v[18:19]
	v_ashrrev_i32_e32 v21, 31, v20
	v_add_co_u32_e32 v18, vcc, s16, v18
	v_lshlrev_b64 v[20:21], 1, v[20:21]
	v_addc_co_u32_e32 v19, vcc, v17, v19, vcc
	v_add_co_u32_e32 v20, vcc, s16, v20
	v_addc_co_u32_e32 v21, vcc, v17, v21, vcc
	global_load_dword v22, v[18:19], off
	global_load_dword v23, v[20:21], off
	v_add_u32_e32 v14, -2, v14
	v_lshl_add_u32 v18, s22, 7, v13
	v_lshl_add_u32 v19, s18, 7, v13
	s_add_i32 s22, s22, 2
	s_add_i32 s18, s18, 2
	v_cmp_eq_u32_e32 vcc, 0, v14
	s_or_b64 s[10:11], vcc, s[10:11]
	s_waitcnt vmcnt(1)
	ds_write_b32 v18, v22
	s_waitcnt vmcnt(0)
	ds_write_b32 v19, v23
	s_andn2_b64 exec, exec, s[10:11]
	s_cbranch_execnz .LBB91_4
; %bb.5:
	s_or_b64 exec, exec, s[10:11]
	v_and_b32_e32 v1, 0x7ffffffe, v7
	v_cmp_ne_u32_e32 vcc, v7, v1
	s_orn2_b64 s[10:11], vcc, exec
.LBB91_6:
	s_or_b64 exec, exec, s[8:9]
	s_and_b64 exec, exec, s[10:11]
	s_cbranch_execz .LBB91_9
; %bb.7:
	s_add_i32 s8, s14, s13
	s_add_i32 s8, s8, s12
	s_lshl_b32 s9, s20, 3
	s_sub_i32 s8, s8, s9
	v_mul_lo_u32 v3, s8, v2
	v_lshlrev_b32_e32 v5, 3, v8
	v_add3_u32 v3, v1, v3, v5
	v_lshl_or_b32 v4, v3, 6, v4
	v_lshlrev_b32_e32 v3, 7, v1
	v_add3_u32 v3, s21, v10, v3
	v_add3_u32 v3, v3, v11, 0
	s_mov_b64 s[8:9], 0
	s_waitcnt lgkmcnt(0)
	v_mov_b32_e32 v6, s17
.LBB91_8:                               ; =>This Inner Loop Header: Depth=1
	v_ashrrev_i32_e32 v5, 31, v4
	v_lshlrev_b64 v[14:15], 1, v[4:5]
	v_add_co_u32_e32 v14, vcc, s16, v14
	v_addc_co_u32_e32 v15, vcc, v6, v15, vcc
	global_load_dword v5, v[14:15], off
	v_add_u32_e32 v1, 1, v1
	v_cmp_ge_i32_e32 vcc, v1, v7
	v_add_u32_e32 v4, 64, v4
	s_or_b64 s[8:9], vcc, s[8:9]
	s_waitcnt vmcnt(0)
	ds_write_b32 v3, v5
	v_add_u32_e32 v3, 0x80, v3
	s_andn2_b64 exec, exec, s[8:9]
	s_cbranch_execnz .LBB91_8
.LBB91_9:
	s_or_b64 exec, exec, s[6:7]
	s_add_i32 s2, s2, 15
	s_load_dwordx8 s[4:11], s[4:5], 0x18
	s_ashr_i32 s18, s2, 31
	s_lshr_b32 s18, s18, 28
	s_add_i32 s2, s2, s18
	s_ashr_i32 s2, s2, 4
	v_cmp_gt_i32_e32 vcc, s2, v9
	v_mul_lo_u32 v12, v12, s3
	s_and_saveexec_b64 s[18:19], vcc
	s_cbranch_execz .LBB91_12
; %bb.10:
	v_ashrrev_i32_e32 v3, 31, v2
	v_lshlrev_b64 v[4:5], 3, v[2:3]
	s_waitcnt lgkmcnt(0)
	v_mov_b32_e32 v1, s11
	v_add_co_u32_e32 v4, vcc, s10, v4
	v_addc_co_u32_e32 v5, vcc, v1, v5, vcc
	global_load_dwordx2 v[4:5], v[4:5], off
	s_ashr_i32 s22, s3, 31
	v_lshlrev_b32_e32 v1, 2, v12
	v_lshlrev_b32_e32 v3, 4, v9
	v_add3_u32 v1, v1, v3, 0
	v_mov_b32_e32 v6, s9
	s_mov_b64 s[10:11], 0
	s_waitcnt vmcnt(0)
	v_mul_lo_u32 v13, v5, s3
	v_mul_lo_u32 v14, v4, s22
	v_mad_u64_u32 v[4:5], s[22:23], v4, s3, 0
	v_add3_u32 v5, v5, v14, v13
	v_lshlrev_b64 v[4:5], 2, v[4:5]
	v_add_co_u32_e32 v3, vcc, v4, v3
	v_addc_co_u32_e32 v5, vcc, 0, v5, vcc
	v_add_co_u32_e32 v4, vcc, s8, v3
	v_addc_co_u32_e32 v5, vcc, v6, v5, vcc
	v_mov_b32_e32 v3, v9
.LBB91_11:                              ; =>This Inner Loop Header: Depth=1
	global_load_dwordx4 v[14:17], v[4:5], off
	v_add_co_u32_e32 v4, vcc, 0x200, v4
	v_add_u32_e32 v3, 32, v3
	v_addc_co_u32_e32 v5, vcc, 0, v5, vcc
	v_cmp_le_i32_e32 vcc, s2, v3
	s_or_b64 s[10:11], vcc, s[10:11]
	s_waitcnt vmcnt(0)
	ds_write_b128 v1, v[14:17]
	v_add_u32_e32 v1, 0x200, v1
	s_andn2_b64 exec, exec, s[10:11]
	s_cbranch_execnz .LBB91_11
.LBB91_12:
	s_or_b64 exec, exec, s[18:19]
	s_and_b64 exec, exec, s[0:1]
	s_cbranch_execz .LBB91_25
; %bb.13:
	s_waitcnt lgkmcnt(0)
	global_load_dword v1, v11, s[4:5]
	global_load_dword v6, v11, s[6:7]
	v_mbcnt_lo_u32_b32 v4, -1, 0
	s_abs_i32 s4, s3
	s_lshr_b32 s0, s3, 31
	v_mbcnt_hi_u32_b32 v4, -1, v4
	v_cvt_f32_u32_e32 v14, s4
	v_lshl_add_u32 v3, v12, 2, 0
	s_add_i32 s0, s3, s0
	v_and_b32_e32 v12, 0x60, v4
	s_add_i32 s1, s14, s13
	s_ashr_i32 s0, s0, 1
	v_xor_b32_e32 v13, 16, v4
	v_add_u32_e32 v12, 32, v12
	s_add_i32 s6, s1, s12
	v_xor_b32_e32 v15, 8, v4
	v_lshl_add_u32 v21, s0, 2, v3
	v_cmp_gt_i32_e32 vcc, s0, v9
	s_lshr_b32 s2, s0, 1
	v_cmp_lt_i32_e64 s[0:1], v13, v12
	v_xor_b32_e32 v16, 4, v4
	v_cndmask_b32_e64 v13, v4, v13, s[0:1]
	v_cmp_lt_i32_e64 s[0:1], v15, v12
	v_rcp_iflag_f32_e32 v22, v14
	v_xor_b32_e32 v17, 2, v4
	v_cndmask_b32_e64 v15, v4, v15, s[0:1]
	v_cmp_lt_i32_e64 s[0:1], v16, v12
	v_xor_b32_e32 v18, 1, v4
	v_cndmask_b32_e64 v16, v4, v16, s[0:1]
	v_cmp_lt_i32_e64 s[0:1], v17, v12
	v_cndmask_b32_e64 v17, v4, v17, s[0:1]
	v_cmp_lt_i32_e64 s[0:1], v18, v12
	v_cndmask_b32_e64 v18, v4, v18, s[0:1]
	v_lshlrev_b32_e32 v12, 2, v13
	v_lshlrev_b32_e32 v13, 2, v15
	v_lshlrev_b32_e32 v15, 2, v17
	v_mul_f32_e32 v17, 0x4f7ffffe, v22
	v_and_b32_e32 v19, 64, v4
	v_lshlrev_b32_e32 v14, 2, v16
	v_lshlrev_b32_e32 v16, 2, v18
	v_cvt_u32_f32_e32 v18, v17
	v_add_u32_e32 v19, 64, v19
	v_xor_b32_e32 v20, s2, v4
	v_cmp_gt_u32_e64 s[0:1], s2, v9
	v_cmp_lt_i32_e64 s[2:3], v20, v19
	s_sub_i32 s5, 0, s4
	v_cndmask_b32_e64 v4, v4, v20, s[2:3]
	v_lshlrev_b32_e32 v17, 2, v4
	v_mul_lo_u32 v4, s5, v18
	v_mul_hi_u32 v4, v18, v4
	v_add_u32_e32 v4, v18, v4
	v_or_b32_e32 v5, 2, v11
	v_mul_hi_u32 v18, v11, v4
	v_mul_hi_u32 v4, v5, v4
	v_mul_lo_u32 v18, v18, s4
	v_mul_lo_u32 v4, v4, s4
	v_sub_u32_e32 v18, v11, v18
	v_sub_u32_e32 v4, v5, v4
	v_subrev_u32_e32 v5, s4, v18
	v_cmp_le_u32_e64 s[2:3], s4, v18
	v_subrev_u32_e32 v19, s4, v4
	v_cndmask_b32_e64 v5, v18, v5, s[2:3]
	v_cmp_le_u32_e64 s[2:3], s4, v4
	v_cndmask_b32_e64 v4, v4, v19, s[2:3]
	v_subrev_u32_e32 v18, s4, v5
	v_cmp_le_u32_e64 s[2:3], s4, v5
	v_subrev_u32_e32 v19, s4, v4
	v_cndmask_b32_e64 v5, v5, v18, s[2:3]
	v_cmp_le_u32_e64 s[2:3], s4, v4
	v_cndmask_b32_e64 v4, v4, v19, s[2:3]
	v_lshlrev_b32_e32 v5, 1, v5
	v_lshlrev_b32_e32 v4, 1, v4
	s_lshl_b32 s2, s20, 3
	v_and_b32_e32 v5, -4, v5
	v_and_b32_e32 v4, -4, v4
	s_sub_i32 s2, s6, s2
	v_add_u32_e32 v18, v3, v5
	v_add_u32_e32 v20, v3, v4
	v_mul_lo_u32 v2, s2, v2
	v_lshlrev_b32_e32 v3, 9, v8
	v_lshl_add_u32 v2, v2, 6, v3
	v_add_u32_e32 v3, s21, v10
	s_mov_b32 s8, 0
	v_add_u32_e32 v19, v21, v5
	v_add_u32_e32 v21, v21, v4
	s_waitcnt vmcnt(1)
	v_lshrrev_b32_e32 v22, 16, v1
	s_waitcnt vmcnt(0)
	v_lshrrev_b32_e32 v23, 16, v6
	v_lshl_or_b32 v2, v9, 1, v2
	v_add3_u32 v8, v3, v11, 0
	s_mov_b64 s[6:7], 0
	s_mov_b32 s9, 0xffff0000
	v_mov_b32_e32 v9, s15
	s_mov_b32 s10, 0x800000
	s_mov_b32 s11, 0x7f800000
	s_movk_i32 s13, 0x7fff
	v_mov_b32_e32 v10, 0
	s_branch .LBB91_15
.LBB91_14:                              ;   in Loop: Header=BB91_15 Depth=1
	s_or_b64 exec, exec, s[4:5]
	v_lshrrev_b32_e32 v3, 16, v3
	v_and_or_b32 v11, v11, s9, v3
	v_ashrrev_i32_e32 v3, 31, v2
	v_lshlrev_b64 v[4:5], 1, v[2:3]
	v_mov_b32_e32 v3, s17
	v_add_co_u32_e64 v4, s[2:3], s16, v4
	v_addc_co_u32_e64 v5, s[2:3], v3, v5, s[2:3]
	s_add_i32 s8, s8, 1
	v_cmp_ge_i32_e64 s[2:3], s8, v7
	v_add_u32_e32 v2, 64, v2
	s_or_b64 s[6:7], s[2:3], s[6:7]
	v_add_u32_e32 v8, 0x80, v8
	global_store_dword v[4:5], v11, off
	s_andn2_b64 exec, exec, s[6:7]
	s_cbranch_execz .LBB91_25
.LBB91_15:                              ; =>This Inner Loop Header: Depth=1
	ds_read_b32 v3, v8
	v_mov_b32_e32 v11, v9
	s_waitcnt lgkmcnt(0)
	v_and_b32_e32 v24, 0xffff0000, v3
	v_lshlrev_b32_e32 v25, 16, v3
	v_pk_mul_f32 v[4:5], v[24:25], v[24:25]
	v_add_f32_e32 v3, v4, v5
	ds_bpermute_b32 v4, v12, v3
	v_add_u32_e32 v5, s8, v0
	v_cmp_gt_i32_e64 s[2:3], s12, v5
	v_cndmask_b32_e64 v5, v6, v1, s[2:3]
	s_waitcnt lgkmcnt(0)
	v_add_f32_e32 v3, v3, v4
	ds_bpermute_b32 v4, v13, v3
	s_waitcnt lgkmcnt(0)
	v_add_f32_e32 v3, v3, v4
	ds_bpermute_b32 v4, v14, v3
	;; [unrolled: 3-line block ×4, first 2 shown]
	s_waitcnt lgkmcnt(0)
	v_add_f32_e32 v3, v3, v4
	v_fmac_f32_e32 v11, 0x3c800000, v3
	v_mul_f32_e32 v3, 0x4b800000, v11
	v_cmp_gt_f32_e64 s[4:5], s10, v11
	v_cndmask_b32_e64 v3, v11, v3, s[4:5]
	v_rsq_f32_e32 v3, v3
	v_lshlrev_b32_e32 v4, 16, v5
	v_cndmask_b32_e64 v5, v23, v22, s[2:3]
	v_lshlrev_b32_e32 v5, 16, v5
	v_mul_f32_e32 v11, 0x45800000, v3
	v_cndmask_b32_e64 v3, v3, v11, s[4:5]
	v_mul_f32_e32 v4, v3, v4
	v_mul_f32_e32 v3, v3, v5
	;; [unrolled: 1-line block ×4, first 2 shown]
	s_and_saveexec_b64 s[2:3], vcc
	s_cbranch_execz .LBB91_17
; %bb.16:                               ;   in Loop: Header=BB91_15 Depth=1
	ds_bpermute_b32 v3, v17, v4
	; wave barrier
	ds_read_b32 v11, v18
	ds_read_b32 v24, v19
	ds_bpermute_b32 v25, v17, v5
	ds_read_b32 v26, v20
	ds_read_b32 v27, v21
	s_waitcnt lgkmcnt(5)
	v_cndmask_b32_e64 v3, v3, -v3, s[0:1]
	s_waitcnt lgkmcnt(3)
	v_mul_f32_e32 v24, v3, v24
	s_waitcnt lgkmcnt(2)
	v_cndmask_b32_e64 v3, v25, -v25, s[0:1]
	s_waitcnt lgkmcnt(0)
	v_mul_f32_e32 v25, v3, v27
	v_fmac_f32_e32 v24, v4, v11
	v_fmac_f32_e32 v25, v5, v26
	v_pk_mov_b32 v[4:5], v[24:25], v[24:25] op_sel:[0,1]
	; wave barrier
.LBB91_17:                              ;   in Loop: Header=BB91_15 Depth=1
	s_or_b64 exec, exec, s[2:3]
	v_and_b32_e32 v3, 0x7f800000, v4
	v_cmp_ne_u32_e64 s[2:3], s11, v3
                                        ; implicit-def: $vgpr3
	s_and_saveexec_b64 s[4:5], s[2:3]
	s_xor_b64 s[2:3], exec, s[4:5]
; %bb.18:                               ;   in Loop: Header=BB91_15 Depth=1
	v_bfe_u32 v3, v4, 16, 1
	v_add3_u32 v3, v4, v3, s13
; %bb.19:                               ;   in Loop: Header=BB91_15 Depth=1
	s_andn2_saveexec_b64 s[4:5], s[2:3]
; %bb.20:                               ;   in Loop: Header=BB91_15 Depth=1
	v_or_b32_e32 v3, 0x10000, v4
	v_cmp_eq_u32_sdwa s[2:3], v4, v10 src0_sel:WORD_0 src1_sel:DWORD
	v_cndmask_b32_e64 v3, v3, v4, s[2:3]
; %bb.21:                               ;   in Loop: Header=BB91_15 Depth=1
	s_or_b64 exec, exec, s[4:5]
	v_and_b32_e32 v4, 0x7f800000, v5
	v_cmp_ne_u32_e64 s[2:3], s11, v4
                                        ; implicit-def: $vgpr11
	s_and_saveexec_b64 s[4:5], s[2:3]
	s_xor_b64 s[2:3], exec, s[4:5]
; %bb.22:                               ;   in Loop: Header=BB91_15 Depth=1
	v_bfe_u32 v4, v5, 16, 1
	v_add3_u32 v11, v5, v4, s13
                                        ; implicit-def: $vgpr4_vgpr5
; %bb.23:                               ;   in Loop: Header=BB91_15 Depth=1
	s_andn2_saveexec_b64 s[4:5], s[2:3]
	s_cbranch_execz .LBB91_14
; %bb.24:                               ;   in Loop: Header=BB91_15 Depth=1
	v_or_b32_e32 v4, 0x10000, v5
	v_cmp_eq_u32_sdwa s[2:3], v5, v10 src0_sel:WORD_0 src1_sel:DWORD
	v_cndmask_b32_e64 v11, v4, v5, s[2:3]
	s_branch .LBB91_14
.LBB91_25:
	s_endpgm
	.section	.rodata,"a",@progbits
	.p2align	6, 0x0
	.amdhsa_kernel _ZN12tensorrt_llm7kernels32fusedQKNormRopeKernelNTokenHeadsIN3c108BFloat16EfLi64ELb0ELi8EEEvPviiifPKvS6_S6_PKlii
		.amdhsa_group_segment_fixed_size 0
		.amdhsa_private_segment_fixed_size 0
		.amdhsa_kernarg_size 320
		.amdhsa_user_sgpr_count 6
		.amdhsa_user_sgpr_private_segment_buffer 1
		.amdhsa_user_sgpr_dispatch_ptr 0
		.amdhsa_user_sgpr_queue_ptr 0
		.amdhsa_user_sgpr_kernarg_segment_ptr 1
		.amdhsa_user_sgpr_dispatch_id 0
		.amdhsa_user_sgpr_flat_scratch_init 0
		.amdhsa_user_sgpr_kernarg_preload_length 0
		.amdhsa_user_sgpr_kernarg_preload_offset 0
		.amdhsa_user_sgpr_private_segment_size 0
		.amdhsa_uses_dynamic_stack 0
		.amdhsa_system_sgpr_private_segment_wavefront_offset 0
		.amdhsa_system_sgpr_workgroup_id_x 1
		.amdhsa_system_sgpr_workgroup_id_y 0
		.amdhsa_system_sgpr_workgroup_id_z 0
		.amdhsa_system_sgpr_workgroup_info 0
		.amdhsa_system_vgpr_workitem_id 0
		.amdhsa_next_free_vgpr 28
		.amdhsa_next_free_sgpr 24
		.amdhsa_accum_offset 28
		.amdhsa_reserve_vcc 1
		.amdhsa_reserve_flat_scratch 0
		.amdhsa_float_round_mode_32 0
		.amdhsa_float_round_mode_16_64 0
		.amdhsa_float_denorm_mode_32 3
		.amdhsa_float_denorm_mode_16_64 3
		.amdhsa_dx10_clamp 1
		.amdhsa_ieee_mode 1
		.amdhsa_fp16_overflow 0
		.amdhsa_tg_split 0
		.amdhsa_exception_fp_ieee_invalid_op 0
		.amdhsa_exception_fp_denorm_src 0
		.amdhsa_exception_fp_ieee_div_zero 0
		.amdhsa_exception_fp_ieee_overflow 0
		.amdhsa_exception_fp_ieee_underflow 0
		.amdhsa_exception_fp_ieee_inexact 0
		.amdhsa_exception_int_div_zero 0
	.end_amdhsa_kernel
	.section	.text._ZN12tensorrt_llm7kernels32fusedQKNormRopeKernelNTokenHeadsIN3c108BFloat16EfLi64ELb0ELi8EEEvPviiifPKvS6_S6_PKlii,"axG",@progbits,_ZN12tensorrt_llm7kernels32fusedQKNormRopeKernelNTokenHeadsIN3c108BFloat16EfLi64ELb0ELi8EEEvPviiifPKvS6_S6_PKlii,comdat
.Lfunc_end91:
	.size	_ZN12tensorrt_llm7kernels32fusedQKNormRopeKernelNTokenHeadsIN3c108BFloat16EfLi64ELb0ELi8EEEvPviiifPKvS6_S6_PKlii, .Lfunc_end91-_ZN12tensorrt_llm7kernels32fusedQKNormRopeKernelNTokenHeadsIN3c108BFloat16EfLi64ELb0ELi8EEEvPviiifPKvS6_S6_PKlii
                                        ; -- End function
	.section	.AMDGPU.csdata,"",@progbits
; Kernel info:
; codeLenInByte = 2160
; NumSgprs: 28
; NumVgprs: 28
; NumAgprs: 0
; TotalNumVgprs: 28
; ScratchSize: 0
; MemoryBound: 0
; FloatMode: 240
; IeeeMode: 1
; LDSByteSize: 0 bytes/workgroup (compile time only)
; SGPRBlocks: 3
; VGPRBlocks: 3
; NumSGPRsForWavesPerEU: 28
; NumVGPRsForWavesPerEU: 28
; AccumOffset: 28
; Occupancy: 8
; WaveLimiterHint : 0
; COMPUTE_PGM_RSRC2:SCRATCH_EN: 0
; COMPUTE_PGM_RSRC2:USER_SGPR: 6
; COMPUTE_PGM_RSRC2:TRAP_HANDLER: 0
; COMPUTE_PGM_RSRC2:TGID_X_EN: 1
; COMPUTE_PGM_RSRC2:TGID_Y_EN: 0
; COMPUTE_PGM_RSRC2:TGID_Z_EN: 0
; COMPUTE_PGM_RSRC2:TIDIG_COMP_CNT: 0
; COMPUTE_PGM_RSRC3_GFX90A:ACCUM_OFFSET: 6
; COMPUTE_PGM_RSRC3_GFX90A:TG_SPLIT: 0
	.section	.text._ZN12tensorrt_llm7kernels32fusedQKNormRopeKernelNTokenHeadsIN3c108BFloat16EfLi128ELb1ELi8EEEvPviiifPKvS6_S6_PKlii,"axG",@progbits,_ZN12tensorrt_llm7kernels32fusedQKNormRopeKernelNTokenHeadsIN3c108BFloat16EfLi128ELb1ELi8EEEvPviiifPKvS6_S6_PKlii,comdat
	.protected	_ZN12tensorrt_llm7kernels32fusedQKNormRopeKernelNTokenHeadsIN3c108BFloat16EfLi128ELb1ELi8EEEvPviiifPKvS6_S6_PKlii ; -- Begin function _ZN12tensorrt_llm7kernels32fusedQKNormRopeKernelNTokenHeadsIN3c108BFloat16EfLi128ELb1ELi8EEEvPviiifPKvS6_S6_PKlii
	.globl	_ZN12tensorrt_llm7kernels32fusedQKNormRopeKernelNTokenHeadsIN3c108BFloat16EfLi128ELb1ELi8EEEvPviiifPKvS6_S6_PKlii
	.p2align	8
	.type	_ZN12tensorrt_llm7kernels32fusedQKNormRopeKernelNTokenHeadsIN3c108BFloat16EfLi128ELb1ELi8EEEvPviiifPKvS6_S6_PKlii,@function
_ZN12tensorrt_llm7kernels32fusedQKNormRopeKernelNTokenHeadsIN3c108BFloat16EfLi128ELb1ELi8EEEvPviiifPKvS6_S6_PKlii: ; @_ZN12tensorrt_llm7kernels32fusedQKNormRopeKernelNTokenHeadsIN3c108BFloat16EfLi128ELb1ELi8EEEvPviiifPKvS6_S6_PKlii
; %bb.0:
	s_load_dwordx4 s[12:15], s[4:5], 0x8
	s_load_dwordx2 s[16:17], s[4:5], 0x38
	s_load_dword s1, s[4:5], 0x4c
	v_lshrrev_b32_e32 v2, 5, v0
	s_waitcnt lgkmcnt(0)
	s_add_i32 s0, s13, s12
	s_add_i32 s2, s0, 7
	s_ashr_i32 s3, s2, 31
	s_lshr_b32 s3, s3, 29
	s_add_i32 s2, s2, s3
	s_ashr_i32 s20, s2, 3
	s_abs_i32 s2, s20
	v_cvt_f32_u32_e32 v1, s2
	s_bfe_u32 s1, s1, 0xb0005
	s_mul_i32 s6, s6, s1
	s_sub_i32 s3, 0, s2
	v_rcp_iflag_f32_e32 v3, v1
	v_add_u32_e32 v1, s6, v2
	v_sub_u32_e32 v4, 0, v1
	v_max_i32_e32 v4, v1, v4
	v_mul_f32_e32 v3, 0x4f7ffffe, v3
	v_cvt_u32_f32_e32 v3, v3
	v_xor_b32_e32 v5, s20, v1
	v_ashrrev_i32_e32 v5, 31, v5
	v_mul_lo_u32 v6, s3, v3
	v_mul_hi_u32 v6, v3, v6
	v_add_u32_e32 v3, v3, v6
	v_mul_hi_u32 v3, v4, v3
	v_mul_lo_u32 v6, v3, s2
	v_sub_u32_e32 v4, v4, v6
	v_add_u32_e32 v6, 1, v3
	v_cmp_le_u32_e32 vcc, s2, v4
	v_cndmask_b32_e32 v3, v3, v6, vcc
	v_subrev_u32_e32 v6, s2, v4
	v_cndmask_b32_e32 v4, v4, v6, vcc
	v_add_u32_e32 v6, 1, v3
	v_cmp_le_u32_e32 vcc, s2, v4
	v_cndmask_b32_e32 v3, v3, v6, vcc
	v_xor_b32_e32 v3, v3, v5
	v_sub_u32_e32 v4, v3, v5
	v_cmp_gt_i32_e32 vcc, s16, v4
	s_and_saveexec_b64 s[2:3], vcc
	s_cbranch_execz .LBB92_28
; %bb.1:
	v_and_b32_e32 v6, 31, v0
	v_mul_lo_u32 v0, v4, s20
	v_sub_u32_e32 v0, v1, v0
	s_load_dwordx2 s[2:3], s[4:5], 0x0
	v_lshlrev_b32_e32 v10, 3, v0
	v_add_u32_e32 v0, 8, v10
	v_sub_u32_e32 v3, s0, v10
	v_cmp_lt_i32_e32 vcc, s0, v0
	v_cndmask_b32_e32 v11, 8, v3, vcc
	s_lshl_b32 s18, s17, 2
	s_mul_i32 s16, s18, s1
	v_lshlrev_b32_e32 v9, 11, v2
	v_cmp_lt_i32_e64 s[0:1], 0, v11
	v_lshlrev_b32_e32 v8, 3, v6
	v_lshlrev_b32_e32 v7, 10, v1
	s_and_saveexec_b64 s[6:7], s[0:1]
	s_cbranch_execz .LBB92_4
; %bb.2:
	s_add_i32 s8, s16, 0
	v_add3_u32 v3, s8, v9, v8
	s_add_i32 s8, s14, s13
	s_add_i32 s8, s8, s12
	s_lshl_b32 s9, s20, 3
	s_sub_i32 s8, s8, s9
	v_mul_lo_u32 v0, s8, v4
	v_lshl_add_u32 v0, v0, 7, v7
	s_mov_b32 s10, 0
	v_lshl_or_b32 v0, v6, 2, v0
	s_mov_b64 s[8:9], 0
	s_waitcnt lgkmcnt(0)
	v_mov_b32_e32 v5, s3
.LBB92_3:                               ; =>This Inner Loop Header: Depth=1
	v_ashrrev_i32_e32 v1, 31, v0
	v_lshlrev_b64 v[12:13], 1, v[0:1]
	v_add_co_u32_e32 v12, vcc, s2, v12
	v_addc_co_u32_e32 v13, vcc, v5, v13, vcc
	global_load_dwordx2 v[12:13], v[12:13], off
	s_add_i32 s10, s10, 1
	v_cmp_ge_i32_e32 vcc, s10, v11
	v_add_u32_e32 v0, 0x80, v0
	s_or_b64 s[8:9], vcc, s[8:9]
	s_waitcnt vmcnt(0)
	ds_write_b64 v3, v[12:13]
	v_add_u32_e32 v3, 0x100, v3
	s_andn2_b64 exec, exec, s[8:9]
	s_cbranch_execnz .LBB92_3
.LBB92_4:
	s_or_b64 exec, exec, s[6:7]
	s_add_i32 s18, s18, 15
	s_load_dwordx8 s[4:11], s[4:5], 0x18
	s_ashr_i32 s19, s18, 31
	s_lshr_b32 s19, s19, 28
	s_add_i32 s18, s18, s19
	s_ashr_i32 s21, s18, 4
	v_mul_lo_u32 v0, v2, s17
	v_cmp_gt_i32_e32 vcc, s21, v6
	v_lshlrev_b32_e32 v12, 2, v0
	s_and_saveexec_b64 s[18:19], vcc
	s_cbranch_execz .LBB92_7
; %bb.5:
	v_ashrrev_i32_e32 v5, 31, v4
	v_lshlrev_b64 v[0:1], 3, v[4:5]
	s_waitcnt lgkmcnt(0)
	v_mov_b32_e32 v2, s11
	v_add_co_u32_e32 v0, vcc, s10, v0
	v_addc_co_u32_e32 v1, vcc, v2, v1, vcc
	global_load_dwordx2 v[0:1], v[0:1], off
	s_ashr_i32 s22, s17, 31
	v_lshlrev_b32_e32 v3, 4, v6
	v_mov_b32_e32 v5, s9
	s_mov_b64 s[10:11], 0
	v_add3_u32 v2, v12, v3, 0
	s_waitcnt vmcnt(0)
	v_mul_lo_u32 v13, v1, s17
	v_mul_lo_u32 v14, v0, s22
	v_mad_u64_u32 v[0:1], s[22:23], v0, s17, 0
	v_add3_u32 v1, v1, v14, v13
	v_lshlrev_b64 v[0:1], 2, v[0:1]
	v_add_co_u32_e32 v0, vcc, v0, v3
	v_addc_co_u32_e32 v1, vcc, 0, v1, vcc
	v_add_co_u32_e32 v0, vcc, s8, v0
	v_addc_co_u32_e32 v1, vcc, v5, v1, vcc
	v_mov_b32_e32 v3, v6
.LBB92_6:                               ; =>This Inner Loop Header: Depth=1
	global_load_dwordx4 v[14:17], v[0:1], off
	v_add_co_u32_e32 v0, vcc, 0x200, v0
	v_add_u32_e32 v3, 32, v3
	v_addc_co_u32_e32 v1, vcc, 0, v1, vcc
	v_cmp_le_i32_e32 vcc, s21, v3
	s_or_b64 s[10:11], vcc, s[10:11]
	s_waitcnt vmcnt(0)
	ds_write_b128 v2, v[14:17]
	v_add_u32_e32 v2, 0x200, v2
	s_andn2_b64 exec, exec, s[10:11]
	s_cbranch_execnz .LBB92_6
.LBB92_7:
	s_or_b64 exec, exec, s[18:19]
	s_and_b64 exec, exec, s[0:1]
	s_cbranch_execz .LBB92_28
; %bb.8:
	s_waitcnt lgkmcnt(0)
	global_load_dwordx2 v[0:1], v8, s[4:5]
	global_load_dwordx2 v[2:3], v8, s[6:7]
	v_mbcnt_lo_u32_b32 v5, -1, 0
	v_add_u32_e32 v9, s16, v9
	v_mbcnt_hi_u32_b32 v5, -1, v5
	v_add3_u32 v12, 0, v12, v8
	v_add3_u32 v14, v9, v8, 0
	v_and_b32_e32 v8, 0x60, v5
	v_xor_b32_e32 v9, 16, v5
	v_add_u32_e32 v8, 32, v8
	v_xor_b32_e32 v15, 8, v5
	v_cmp_lt_i32_e32 vcc, v9, v8
	s_add_i32 s6, s14, s13
	v_xor_b32_e32 v16, 4, v5
	v_cndmask_b32_e32 v9, v5, v9, vcc
	v_cmp_lt_i32_e32 vcc, v15, v8
	s_lshr_b32 s0, s17, 31
	s_ashr_i32 s1, s17, 31
	s_lshl_b32 s7, s20, 3
	s_add_i32 s6, s6, s12
	v_xor_b32_e32 v17, 2, v5
	v_cndmask_b32_e32 v19, v5, v15, vcc
	v_cmp_lt_i32_e32 vcc, v16, v8
	s_add_i32 s0, s17, s0
	s_lshr_b32 s1, s1, 30
	v_xor_b32_e32 v18, 1, v5
	s_sub_i32 s6, s6, s7
	v_cndmask_b32_e32 v20, v5, v16, vcc
	v_cmp_lt_i32_e32 vcc, v17, v8
	s_lshl_b32 s0, s0, 1
	s_add_i32 s1, s17, s1
	v_mul_lo_u32 v4, s6, v4
	v_cndmask_b32_e32 v21, v5, v17, vcc
	v_cmp_lt_i32_e32 vcc, v18, v8
	s_and_b32 s0, s0, -4
	s_ashr_i32 s1, s1, 2
	v_cndmask_b32_e32 v5, v5, v18, vcc
	v_lshl_add_u32 v4, v4, 7, v7
	s_mov_b32 s8, 0
	s_mov_b64 s[4:5], 0
	s_mov_b32 s9, 0xffff0000
	v_mov_b32_e32 v13, s15
	s_mov_b32 s10, 0x800000
	s_mov_b32 s11, 0x7f800000
	s_movk_i32 s13, 0x7fff
	v_cmp_gt_i32_e32 vcc, s1, v6
	v_add_u32_e32 v15, s0, v12
	v_lshlrev_b32_e32 v16, 2, v9
	v_lshlrev_b32_e32 v17, 2, v19
	;; [unrolled: 1-line block ×5, first 2 shown]
	v_lshl_or_b32 v4, v6, 2, v4
	v_mov_b32_e32 v25, 0
	s_waitcnt vmcnt(1)
	v_lshrrev_b32_e32 v21, 16, v0
	s_waitcnt vmcnt(0)
	v_lshrrev_b32_e32 v22, 16, v2
	v_lshrrev_b32_e32 v23, 16, v1
	v_lshrrev_b32_e32 v24, 16, v3
	s_branch .LBB92_10
.LBB92_9:                               ;   in Loop: Header=BB92_10 Depth=1
	s_or_b64 exec, exec, s[6:7]
	v_lshrrev_b32_e32 v28, 16, v5
	v_ashrrev_i32_e32 v5, 31, v4
	v_lshlrev_b64 v[26:27], 1, v[4:5]
	v_mov_b32_e32 v5, s3
	v_add_co_u32_e64 v26, s[0:1], s2, v26
	v_addc_co_u32_e64 v27, s[0:1], v5, v27, s[0:1]
	s_add_i32 s8, s8, 1
	v_and_b32_e32 v5, 0xffff0000, v6
	v_cmp_ge_i32_e64 s[0:1], s8, v11
	v_or_b32_sdwa v7, v5, v9 dst_sel:DWORD dst_unused:UNUSED_PAD src0_sel:DWORD src1_sel:WORD_1
	v_and_or_b32 v6, v8, s9, v28
	v_add_u32_e32 v4, 0x80, v4
	s_or_b64 s[4:5], s[0:1], s[4:5]
	v_add_u32_e32 v14, 0x100, v14
	global_store_dwordx2 v[26:27], v[6:7], off
	s_andn2_b64 exec, exec, s[4:5]
	s_cbranch_execz .LBB92_28
.LBB92_10:                              ; =>This Inner Loop Header: Depth=1
	ds_read_b64 v[6:7], v14
	s_waitcnt lgkmcnt(0)
	v_alignbit_b32 v5, v7, v6, 16
	v_lshlrev_b32_e32 v8, 16, v6
	v_and_b32_e32 v9, 0xffff0000, v6
	v_and_b32_e32 v7, 0xffff0000, v7
	;; [unrolled: 1-line block ×3, first 2 shown]
	v_pk_mul_f32 v[26:27], v[8:9], v[8:9]
	v_pk_mul_f32 v[28:29], v[6:7], v[6:7]
	v_add_f32_e32 v5, v26, v27
	v_add_f32_e32 v5, v5, v28
	;; [unrolled: 1-line block ×3, first 2 shown]
	ds_bpermute_b32 v26, v16, v5
	v_add_u32_e32 v27, s8, v10
	v_mov_b32_e32 v28, v13
	v_cmp_gt_i32_e64 s[0:1], s12, v27
	v_cndmask_b32_e64 v27, v22, v21, s[0:1]
	s_waitcnt lgkmcnt(0)
	v_add_f32_e32 v5, v5, v26
	ds_bpermute_b32 v26, v17, v5
	v_cndmask_b32_e64 v29, v2, v0, s[0:1]
	v_cndmask_b32_e64 v30, v24, v23, s[0:1]
	;; [unrolled: 1-line block ×3, first 2 shown]
	v_lshlrev_b32_e32 v27, 16, v27
	s_waitcnt lgkmcnt(0)
	v_add_f32_e32 v5, v5, v26
	ds_bpermute_b32 v26, v18, v5
	s_waitcnt lgkmcnt(0)
	v_add_f32_e32 v5, v5, v26
	ds_bpermute_b32 v26, v19, v5
	s_waitcnt lgkmcnt(0)
	v_add_f32_e32 v5, v5, v26
	ds_bpermute_b32 v26, v20, v5
	s_waitcnt lgkmcnt(0)
	v_add_f32_e32 v5, v5, v26
	v_fmac_f32_e32 v28, 0x3c000000, v5
	v_mul_f32_e32 v5, 0x4b800000, v28
	v_cmp_gt_f32_e64 s[0:1], s10, v28
	v_cndmask_b32_e64 v5, v28, v5, s[0:1]
	v_rsq_f32_e32 v5, v5
	v_lshlrev_b32_e32 v26, 16, v29
	v_lshlrev_b32_e32 v29, 16, v30
	;; [unrolled: 1-line block ×3, first 2 shown]
	v_mul_f32_e32 v30, 0x45800000, v5
	v_cndmask_b32_e64 v30, v5, v30, s[0:1]
	v_pk_mul_f32 v[26:27], v[30:31], v[26:27] op_sel_hi:[0,1]
	v_pk_mul_f32 v[28:29], v[30:31], v[28:29] op_sel_hi:[0,1]
	v_pk_mul_f32 v[8:9], v[26:27], v[8:9]
	v_pk_mul_f32 v[6:7], v[28:29], v[6:7]
	s_and_saveexec_b64 s[0:1], vcc
	s_cbranch_execz .LBB92_12
; %bb.11:                               ;   in Loop: Header=BB92_10 Depth=1
	ds_read2_b32 v[26:27], v15 offset1:1
	ds_read2_b32 v[28:29], v12 offset1:1
	s_waitcnt lgkmcnt(1)
	v_pk_mul_f32 v[30:31], v[8:9], v[26:27] op_sel_hi:[1,0]
	s_waitcnt lgkmcnt(0)
	v_pk_mul_f32 v[32:33], v[8:9], v[28:29] op_sel_hi:[1,0]
	v_pk_fma_f32 v[8:9], v[8:9], v[28:29], v[30:31] op_sel:[0,0,1] op_sel_hi:[1,0,0]
	v_mov_b32_e32 v28, v27
	v_mul_f32_e32 v5, v7, v27
	v_pk_mul_f32 v[26:27], v[6:7], v[28:29]
	v_mov_b32_e32 v8, v27
	v_fma_f32 v5, v6, v29, -v5
	v_pk_fma_f32 v[26:27], v[6:7], v[28:29], v[8:9]
	v_sub_f32_e32 v8, v32, v31
	v_mov_b32_e32 v6, v5
	v_mov_b32_e32 v7, v26
.LBB92_12:                              ;   in Loop: Header=BB92_10 Depth=1
	s_or_b64 exec, exec, s[0:1]
	v_and_b32_e32 v5, 0x7f800000, v8
	v_cmp_ne_u32_e64 s[0:1], s11, v5
                                        ; implicit-def: $vgpr5
	s_and_saveexec_b64 s[6:7], s[0:1]
	s_xor_b64 s[0:1], exec, s[6:7]
; %bb.13:                               ;   in Loop: Header=BB92_10 Depth=1
	v_bfe_u32 v5, v8, 16, 1
	v_add3_u32 v5, v8, v5, s13
; %bb.14:                               ;   in Loop: Header=BB92_10 Depth=1
	s_andn2_saveexec_b64 s[6:7], s[0:1]
; %bb.15:                               ;   in Loop: Header=BB92_10 Depth=1
	v_or_b32_e32 v5, 0x10000, v8
	v_cmp_eq_u32_sdwa s[0:1], v8, v25 src0_sel:WORD_0 src1_sel:DWORD
	v_cndmask_b32_e64 v5, v5, v8, s[0:1]
; %bb.16:                               ;   in Loop: Header=BB92_10 Depth=1
	s_or_b64 exec, exec, s[6:7]
	v_and_b32_e32 v8, 0x7f800000, v9
	v_cmp_ne_u32_e64 s[0:1], s11, v8
                                        ; implicit-def: $vgpr8
	s_and_saveexec_b64 s[6:7], s[0:1]
	s_xor_b64 s[0:1], exec, s[6:7]
; %bb.17:                               ;   in Loop: Header=BB92_10 Depth=1
	v_bfe_u32 v8, v9, 16, 1
	v_add3_u32 v8, v9, v8, s13
                                        ; implicit-def: $vgpr9
; %bb.18:                               ;   in Loop: Header=BB92_10 Depth=1
	s_andn2_saveexec_b64 s[6:7], s[0:1]
; %bb.19:                               ;   in Loop: Header=BB92_10 Depth=1
	v_or_b32_e32 v8, 0x10000, v9
	v_cmp_eq_u32_sdwa s[0:1], v9, v25 src0_sel:WORD_0 src1_sel:DWORD
	v_cndmask_b32_e64 v8, v8, v9, s[0:1]
; %bb.20:                               ;   in Loop: Header=BB92_10 Depth=1
	s_or_b64 exec, exec, s[6:7]
	v_and_b32_e32 v9, 0x7f800000, v6
	v_cmp_ne_u32_e64 s[0:1], s11, v9
                                        ; implicit-def: $vgpr9
	s_and_saveexec_b64 s[6:7], s[0:1]
	s_xor_b64 s[0:1], exec, s[6:7]
; %bb.21:                               ;   in Loop: Header=BB92_10 Depth=1
	v_bfe_u32 v9, v6, 16, 1
	v_add3_u32 v9, v6, v9, s13
; %bb.22:                               ;   in Loop: Header=BB92_10 Depth=1
	s_andn2_saveexec_b64 s[6:7], s[0:1]
; %bb.23:                               ;   in Loop: Header=BB92_10 Depth=1
	v_or_b32_e32 v9, 0x10000, v6
	v_cmp_eq_u32_sdwa s[0:1], v6, v25 src0_sel:WORD_0 src1_sel:DWORD
	v_cndmask_b32_e64 v9, v9, v6, s[0:1]
; %bb.24:                               ;   in Loop: Header=BB92_10 Depth=1
	s_or_b64 exec, exec, s[6:7]
	v_and_b32_e32 v6, 0x7f800000, v7
	v_cmp_ne_u32_e64 s[0:1], s11, v6
                                        ; implicit-def: $vgpr6
	s_and_saveexec_b64 s[6:7], s[0:1]
	s_xor_b64 s[0:1], exec, s[6:7]
; %bb.25:                               ;   in Loop: Header=BB92_10 Depth=1
	v_bfe_u32 v6, v7, 16, 1
	v_add3_u32 v6, v7, v6, s13
                                        ; implicit-def: $vgpr7
; %bb.26:                               ;   in Loop: Header=BB92_10 Depth=1
	s_andn2_saveexec_b64 s[6:7], s[0:1]
	s_cbranch_execz .LBB92_9
; %bb.27:                               ;   in Loop: Header=BB92_10 Depth=1
	v_or_b32_e32 v6, 0x10000, v7
	v_cmp_eq_u32_sdwa s[0:1], v7, v25 src0_sel:WORD_0 src1_sel:DWORD
	v_cndmask_b32_e64 v6, v6, v7, s[0:1]
	s_branch .LBB92_9
.LBB92_28:
	s_endpgm
	.section	.rodata,"a",@progbits
	.p2align	6, 0x0
	.amdhsa_kernel _ZN12tensorrt_llm7kernels32fusedQKNormRopeKernelNTokenHeadsIN3c108BFloat16EfLi128ELb1ELi8EEEvPviiifPKvS6_S6_PKlii
		.amdhsa_group_segment_fixed_size 0
		.amdhsa_private_segment_fixed_size 0
		.amdhsa_kernarg_size 320
		.amdhsa_user_sgpr_count 6
		.amdhsa_user_sgpr_private_segment_buffer 1
		.amdhsa_user_sgpr_dispatch_ptr 0
		.amdhsa_user_sgpr_queue_ptr 0
		.amdhsa_user_sgpr_kernarg_segment_ptr 1
		.amdhsa_user_sgpr_dispatch_id 0
		.amdhsa_user_sgpr_flat_scratch_init 0
		.amdhsa_user_sgpr_kernarg_preload_length 0
		.amdhsa_user_sgpr_kernarg_preload_offset 0
		.amdhsa_user_sgpr_private_segment_size 0
		.amdhsa_uses_dynamic_stack 0
		.amdhsa_system_sgpr_private_segment_wavefront_offset 0
		.amdhsa_system_sgpr_workgroup_id_x 1
		.amdhsa_system_sgpr_workgroup_id_y 0
		.amdhsa_system_sgpr_workgroup_id_z 0
		.amdhsa_system_sgpr_workgroup_info 0
		.amdhsa_system_vgpr_workitem_id 0
		.amdhsa_next_free_vgpr 34
		.amdhsa_next_free_sgpr 24
		.amdhsa_accum_offset 36
		.amdhsa_reserve_vcc 1
		.amdhsa_reserve_flat_scratch 0
		.amdhsa_float_round_mode_32 0
		.amdhsa_float_round_mode_16_64 0
		.amdhsa_float_denorm_mode_32 3
		.amdhsa_float_denorm_mode_16_64 3
		.amdhsa_dx10_clamp 1
		.amdhsa_ieee_mode 1
		.amdhsa_fp16_overflow 0
		.amdhsa_tg_split 0
		.amdhsa_exception_fp_ieee_invalid_op 0
		.amdhsa_exception_fp_denorm_src 0
		.amdhsa_exception_fp_ieee_div_zero 0
		.amdhsa_exception_fp_ieee_overflow 0
		.amdhsa_exception_fp_ieee_underflow 0
		.amdhsa_exception_fp_ieee_inexact 0
		.amdhsa_exception_int_div_zero 0
	.end_amdhsa_kernel
	.section	.text._ZN12tensorrt_llm7kernels32fusedQKNormRopeKernelNTokenHeadsIN3c108BFloat16EfLi128ELb1ELi8EEEvPviiifPKvS6_S6_PKlii,"axG",@progbits,_ZN12tensorrt_llm7kernels32fusedQKNormRopeKernelNTokenHeadsIN3c108BFloat16EfLi128ELb1ELi8EEEvPviiifPKvS6_S6_PKlii,comdat
.Lfunc_end92:
	.size	_ZN12tensorrt_llm7kernels32fusedQKNormRopeKernelNTokenHeadsIN3c108BFloat16EfLi128ELb1ELi8EEEvPviiifPKvS6_S6_PKlii, .Lfunc_end92-_ZN12tensorrt_llm7kernels32fusedQKNormRopeKernelNTokenHeadsIN3c108BFloat16EfLi128ELb1ELi8EEEvPviiifPKvS6_S6_PKlii
                                        ; -- End function
	.section	.AMDGPU.csdata,"",@progbits
; Kernel info:
; codeLenInByte = 1804
; NumSgprs: 28
; NumVgprs: 34
; NumAgprs: 0
; TotalNumVgprs: 34
; ScratchSize: 0
; MemoryBound: 0
; FloatMode: 240
; IeeeMode: 1
; LDSByteSize: 0 bytes/workgroup (compile time only)
; SGPRBlocks: 3
; VGPRBlocks: 4
; NumSGPRsForWavesPerEU: 28
; NumVGPRsForWavesPerEU: 34
; AccumOffset: 36
; Occupancy: 8
; WaveLimiterHint : 0
; COMPUTE_PGM_RSRC2:SCRATCH_EN: 0
; COMPUTE_PGM_RSRC2:USER_SGPR: 6
; COMPUTE_PGM_RSRC2:TRAP_HANDLER: 0
; COMPUTE_PGM_RSRC2:TGID_X_EN: 1
; COMPUTE_PGM_RSRC2:TGID_Y_EN: 0
; COMPUTE_PGM_RSRC2:TGID_Z_EN: 0
; COMPUTE_PGM_RSRC2:TIDIG_COMP_CNT: 0
; COMPUTE_PGM_RSRC3_GFX90A:ACCUM_OFFSET: 8
; COMPUTE_PGM_RSRC3_GFX90A:TG_SPLIT: 0
	.section	.text._ZN12tensorrt_llm7kernels32fusedQKNormRopeKernelNTokenHeadsIN3c108BFloat16EfLi128ELb0ELi8EEEvPviiifPKvS6_S6_PKlii,"axG",@progbits,_ZN12tensorrt_llm7kernels32fusedQKNormRopeKernelNTokenHeadsIN3c108BFloat16EfLi128ELb0ELi8EEEvPviiifPKvS6_S6_PKlii,comdat
	.protected	_ZN12tensorrt_llm7kernels32fusedQKNormRopeKernelNTokenHeadsIN3c108BFloat16EfLi128ELb0ELi8EEEvPviiifPKvS6_S6_PKlii ; -- Begin function _ZN12tensorrt_llm7kernels32fusedQKNormRopeKernelNTokenHeadsIN3c108BFloat16EfLi128ELb0ELi8EEEvPviiifPKvS6_S6_PKlii
	.globl	_ZN12tensorrt_llm7kernels32fusedQKNormRopeKernelNTokenHeadsIN3c108BFloat16EfLi128ELb0ELi8EEEvPviiifPKvS6_S6_PKlii
	.p2align	8
	.type	_ZN12tensorrt_llm7kernels32fusedQKNormRopeKernelNTokenHeadsIN3c108BFloat16EfLi128ELb0ELi8EEEvPviiifPKvS6_S6_PKlii,@function
_ZN12tensorrt_llm7kernels32fusedQKNormRopeKernelNTokenHeadsIN3c108BFloat16EfLi128ELb0ELi8EEEvPviiifPKvS6_S6_PKlii: ; @_ZN12tensorrt_llm7kernels32fusedQKNormRopeKernelNTokenHeadsIN3c108BFloat16EfLi128ELb0ELi8EEEvPviiifPKvS6_S6_PKlii
; %bb.0:
	s_load_dwordx4 s[12:15], s[4:5], 0x8
	s_load_dwordx2 s[2:3], s[4:5], 0x38
	s_load_dword s1, s[4:5], 0x4c
	v_lshrrev_b32_e32 v3, 5, v0
	s_waitcnt lgkmcnt(0)
	s_add_i32 s0, s13, s12
	s_add_i32 s7, s0, 7
	s_ashr_i32 s8, s7, 31
	s_lshr_b32 s8, s8, 29
	s_add_i32 s7, s7, s8
	s_ashr_i32 s20, s7, 3
	s_abs_i32 s7, s20
	v_cvt_f32_u32_e32 v1, s7
	s_bfe_u32 s1, s1, 0xb0005
	s_mul_i32 s6, s6, s1
	v_rcp_iflag_f32_e32 v2, v1
	v_add_u32_e32 v1, s6, v3
	s_sub_i32 s6, 0, s7
	v_sub_u32_e32 v4, 0, v1
	v_mul_f32_e32 v2, 0x4f7ffffe, v2
	v_cvt_u32_f32_e32 v2, v2
	v_max_i32_e32 v4, v1, v4
	v_xor_b32_e32 v5, s20, v1
	v_ashrrev_i32_e32 v5, 31, v5
	v_mul_lo_u32 v6, s6, v2
	v_mul_hi_u32 v6, v2, v6
	v_add_u32_e32 v2, v2, v6
	v_mul_hi_u32 v2, v4, v2
	v_mul_lo_u32 v6, v2, s7
	v_sub_u32_e32 v4, v4, v6
	v_add_u32_e32 v6, 1, v2
	v_cmp_le_u32_e32 vcc, s7, v4
	v_cndmask_b32_e32 v2, v2, v6, vcc
	v_subrev_u32_e32 v6, s7, v4
	v_cndmask_b32_e32 v4, v4, v6, vcc
	v_add_u32_e32 v6, 1, v2
	v_cmp_le_u32_e32 vcc, s7, v4
	v_cndmask_b32_e32 v2, v2, v6, vcc
	v_xor_b32_e32 v2, v2, v5
	v_sub_u32_e32 v2, v2, v5
	v_cmp_gt_i32_e32 vcc, s2, v2
	s_and_saveexec_b64 s[6:7], vcc
	s_cbranch_execz .LBB93_28
; %bb.1:
	v_and_b32_e32 v8, 31, v0
	v_mul_lo_u32 v0, v2, s20
	v_sub_u32_e32 v0, v1, v0
	s_load_dwordx2 s[16:17], s[4:5], 0x0
	v_lshlrev_b32_e32 v10, 3, v0
	v_add_u32_e32 v0, 8, v10
	v_sub_u32_e32 v4, s0, v10
	v_cmp_lt_i32_e32 vcc, s0, v0
	v_cndmask_b32_e32 v11, 8, v4, vcc
	s_lshl_b32 s2, s3, 2
	s_mul_i32 s21, s2, s1
	v_lshlrev_b32_e32 v9, 11, v3
	v_cmp_lt_i32_e64 s[0:1], 0, v11
	v_lshlrev_b32_e32 v24, 3, v8
	v_lshlrev_b32_e32 v27, 10, v1
	s_and_saveexec_b64 s[6:7], s[0:1]
	s_cbranch_execz .LBB93_4
; %bb.2:
	s_add_i32 s8, s21, 0
	v_add3_u32 v4, s8, v9, v24
	s_add_i32 s8, s14, s13
	s_add_i32 s8, s8, s12
	s_lshl_b32 s9, s20, 3
	s_sub_i32 s8, s8, s9
	v_mul_lo_u32 v0, s8, v2
	v_lshl_add_u32 v0, v0, 7, v27
	s_mov_b32 s10, 0
	v_lshl_or_b32 v0, v8, 2, v0
	s_mov_b64 s[8:9], 0
	s_waitcnt lgkmcnt(0)
	v_mov_b32_e32 v5, s17
.LBB93_3:                               ; =>This Inner Loop Header: Depth=1
	v_ashrrev_i32_e32 v1, 31, v0
	v_lshlrev_b64 v[6:7], 1, v[0:1]
	v_add_co_u32_e32 v6, vcc, s16, v6
	v_addc_co_u32_e32 v7, vcc, v5, v7, vcc
	global_load_dwordx2 v[6:7], v[6:7], off
	s_add_i32 s10, s10, 1
	v_cmp_ge_i32_e32 vcc, s10, v11
	v_add_u32_e32 v0, 0x80, v0
	s_or_b64 s[8:9], vcc, s[8:9]
	s_waitcnt vmcnt(0)
	ds_write_b64 v4, v[6:7]
	v_add_u32_e32 v4, 0x100, v4
	s_andn2_b64 exec, exec, s[8:9]
	s_cbranch_execnz .LBB93_3
.LBB93_4:
	s_or_b64 exec, exec, s[6:7]
	s_add_i32 s2, s2, 15
	s_load_dwordx8 s[4:11], s[4:5], 0x18
	s_ashr_i32 s18, s2, 31
	s_lshr_b32 s18, s18, 28
	s_add_i32 s2, s2, s18
	s_ashr_i32 s2, s2, 4
	v_cmp_gt_i32_e32 vcc, s2, v8
	v_mul_lo_u32 v12, v3, s3
	s_and_saveexec_b64 s[18:19], vcc
	s_cbranch_execz .LBB93_7
; %bb.5:
	v_ashrrev_i32_e32 v3, 31, v2
	v_lshlrev_b64 v[0:1], 3, v[2:3]
	s_waitcnt lgkmcnt(0)
	v_mov_b32_e32 v3, s11
	v_add_co_u32_e32 v0, vcc, s10, v0
	v_addc_co_u32_e32 v1, vcc, v3, v1, vcc
	global_load_dwordx2 v[0:1], v[0:1], off
	s_ashr_i32 s22, s3, 31
	v_lshlrev_b32_e32 v4, 4, v8
	v_lshlrev_b32_e32 v3, 2, v12
	v_mov_b32_e32 v5, s9
	s_mov_b64 s[10:11], 0
	v_add3_u32 v3, v3, v4, 0
	s_waitcnt vmcnt(0)
	v_mul_lo_u32 v6, v1, s3
	v_mul_lo_u32 v7, v0, s22
	v_mad_u64_u32 v[0:1], s[22:23], v0, s3, 0
	v_add3_u32 v1, v1, v7, v6
	v_lshlrev_b64 v[0:1], 2, v[0:1]
	v_add_co_u32_e32 v0, vcc, v0, v4
	v_addc_co_u32_e32 v1, vcc, 0, v1, vcc
	v_add_co_u32_e32 v0, vcc, s8, v0
	v_addc_co_u32_e32 v1, vcc, v5, v1, vcc
	v_mov_b32_e32 v4, v8
.LBB93_6:                               ; =>This Inner Loop Header: Depth=1
	global_load_dwordx4 v[14:17], v[0:1], off
	v_add_co_u32_e32 v0, vcc, 0x200, v0
	v_add_u32_e32 v4, 32, v4
	v_addc_co_u32_e32 v1, vcc, 0, v1, vcc
	v_cmp_le_i32_e32 vcc, s2, v4
	s_or_b64 s[10:11], vcc, s[10:11]
	s_waitcnt vmcnt(0)
	ds_write_b128 v3, v[14:17]
	v_add_u32_e32 v3, 0x200, v3
	s_andn2_b64 exec, exec, s[10:11]
	s_cbranch_execnz .LBB93_6
.LBB93_7:
	s_or_b64 exec, exec, s[18:19]
	s_and_b64 exec, exec, s[0:1]
	s_cbranch_execz .LBB93_28
; %bb.8:
	s_waitcnt lgkmcnt(0)
	global_load_dwordx2 v[4:5], v24, s[4:5]
	global_load_dwordx2 v[6:7], v24, s[6:7]
	v_mbcnt_lo_u32_b32 v1, -1, 0
	s_abs_i32 s4, s3
	v_mbcnt_hi_u32_b32 v1, -1, v1
	v_cvt_f32_u32_e32 v14, s4
	v_lshl_add_u32 v0, v12, 2, 0
	v_and_b32_e32 v12, 0x60, v1
	v_xor_b32_e32 v13, 16, v1
	v_add_u32_e32 v12, 32, v12
	v_xor_b32_e32 v15, 8, v1
	v_cmp_lt_i32_e32 vcc, v13, v12
	v_xor_b32_e32 v16, 4, v1
	v_cndmask_b32_e32 v13, v1, v13, vcc
	v_cmp_lt_i32_e32 vcc, v15, v12
	v_rcp_iflag_f32_e32 v21, v14
	v_xor_b32_e32 v17, 2, v1
	v_cndmask_b32_e32 v15, v1, v15, vcc
	v_cmp_lt_i32_e32 vcc, v16, v12
	s_ashr_i32 s1, s3, 31
	v_xor_b32_e32 v18, 1, v1
	v_cndmask_b32_e32 v16, v1, v16, vcc
	v_cmp_lt_i32_e32 vcc, v17, v12
	s_lshr_b32 s2, s1, 30
	s_lshr_b32 s1, s1, 29
	v_cndmask_b32_e32 v17, v1, v17, vcc
	v_cmp_lt_i32_e32 vcc, v18, v12
	s_add_i32 s1, s3, s1
	v_cndmask_b32_e32 v18, v1, v18, vcc
	v_lshlrev_b32_e32 v12, 2, v13
	v_lshlrev_b32_e32 v13, 2, v15
	;; [unrolled: 1-line block ×3, first 2 shown]
	v_mul_f32_e32 v17, 0x4f7ffffe, v21
	s_add_i32 s2, s3, s2
	v_and_b32_e32 v19, 64, v1
	s_ashr_i32 s1, s1, 3
	v_lshlrev_b32_e32 v14, 2, v16
	v_lshlrev_b32_e32 v16, 2, v18
	v_cvt_u32_f32_e32 v18, v17
	s_lshr_b32 s0, s3, 31
	s_ashr_i32 s2, s2, 2
	v_add_u32_e32 v19, 64, v19
	v_xor_b32_e32 v20, s1, v1
	s_add_i32 s0, s3, s0
	v_cmp_gt_i32_e32 vcc, s2, v8
	v_cmp_lt_i32_e64 s[2:3], v20, v19
	s_sub_i32 s5, 0, s4
	v_cndmask_b32_e64 v1, v1, v20, s[2:3]
	v_lshlrev_b32_e32 v17, 2, v1
	v_mul_lo_u32 v1, s5, v18
	v_mul_hi_u32 v1, v18, v1
	v_add_u32_e32 v1, v18, v1
	v_or_b32_e32 v3, 2, v24
	v_mul_hi_u32 v18, v24, v1
	v_mul_hi_u32 v19, v3, v1
	v_mul_lo_u32 v18, v18, s4
	v_mul_lo_u32 v19, v19, s4
	v_sub_u32_e32 v18, v24, v18
	v_sub_u32_e32 v3, v3, v19
	v_subrev_u32_e32 v19, s4, v18
	v_cmp_le_u32_e64 s[2:3], s4, v18
	v_cndmask_b32_e64 v18, v18, v19, s[2:3]
	v_subrev_u32_e32 v19, s4, v18
	v_cmp_le_u32_e64 s[2:3], s4, v18
	v_subrev_u32_e32 v25, s4, v3
	v_cndmask_b32_e64 v18, v18, v19, s[2:3]
	v_cmp_le_u32_e64 s[2:3], s4, v3
	v_cndmask_b32_e64 v3, v3, v25, s[2:3]
	v_subrev_u32_e32 v25, s4, v3
	v_cmp_le_u32_e64 s[2:3], s4, v3
	s_lshl_b32 s0, s0, 1
	v_cndmask_b32_e64 v3, v3, v25, s[2:3]
	s_and_b32 s0, s0, -4
	v_lshlrev_b32_e32 v3, 1, v3
	v_or_b32_e32 v28, 4, v24
	v_add_u32_e32 v31, s0, v0
	v_and_b32_e32 v3, -4, v3
	v_add_u32_e32 v25, v0, v3
	v_add_u32_e32 v26, v31, v3
	v_mul_hi_u32 v3, v28, v1
	v_mul_lo_u32 v3, v3, s4
	v_sub_u32_e32 v3, v28, v3
	v_subrev_u32_e32 v28, s4, v3
	v_cmp_le_u32_e64 s[2:3], s4, v3
	v_cndmask_b32_e64 v3, v3, v28, s[2:3]
	v_or_b32_e32 v30, 6, v24
	v_subrev_u32_e32 v28, s4, v3
	v_cmp_le_u32_e64 s[2:3], s4, v3
	v_cndmask_b32_e64 v3, v3, v28, s[2:3]
	v_mul_hi_u32 v1, v30, v1
	v_lshlrev_b32_e32 v3, 1, v3
	v_mul_lo_u32 v1, v1, s4
	v_and_b32_e32 v3, -4, v3
	v_sub_u32_e32 v1, v30, v1
	v_add_u32_e32 v28, v0, v3
	v_add_u32_e32 v29, v31, v3
	v_subrev_u32_e32 v3, s4, v1
	v_cmp_le_u32_e64 s[2:3], s4, v1
	v_cndmask_b32_e64 v1, v1, v3, s[2:3]
	v_subrev_u32_e32 v3, s4, v1
	v_cmp_le_u32_e64 s[2:3], s4, v1
	v_cndmask_b32_e64 v1, v1, v3, s[2:3]
	s_add_i32 s2, s14, s13
	v_lshlrev_b32_e32 v18, 1, v18
	v_lshlrev_b32_e32 v1, 1, v1
	s_add_i32 s2, s2, s12
	s_lshl_b32 s3, s20, 3
	v_and_b32_e32 v19, -4, v18
	v_and_b32_e32 v1, -4, v1
	s_sub_i32 s2, s2, s3
	v_add_u32_e32 v18, v0, v19
	v_add_u32_e32 v30, v0, v1
	v_mul_lo_u32 v0, s2, v2
	v_lshl_add_u32 v0, v0, 7, v27
	v_cmp_gt_i32_e64 s[0:1], s1, v8
	v_lshl_or_b32 v8, v8, 2, v0
	v_add_u32_e32 v0, s21, v9
	s_mov_b32 s8, 0
	v_add_u32_e32 v19, v31, v19
	s_waitcnt vmcnt(1)
	v_lshrrev_b32_e32 v20, 16, v4
	v_lshrrev_b32_e32 v21, 16, v5
	s_waitcnt vmcnt(0)
	v_lshrrev_b32_e32 v22, 16, v6
	v_lshrrev_b32_e32 v23, 16, v7
	v_add_u32_e32 v31, v31, v1
	v_add3_u32 v24, v0, v24, 0
	s_mov_b64 s[4:5], 0
	s_mov_b32 s9, 0xffff0000
	s_mov_b32 s10, 0x800000
	;; [unrolled: 1-line block ×3, first 2 shown]
	s_movk_i32 s13, 0x7fff
	v_mov_b32_e32 v27, s15
	v_mov_b32_e32 v32, 0
	s_branch .LBB93_10
.LBB93_9:                               ;   in Loop: Header=BB93_10 Depth=1
	s_or_b64 exec, exec, s[6:7]
	v_lshrrev_b32_e32 v2, 16, v9
	v_ashrrev_i32_e32 v9, 31, v8
	v_lshlrev_b64 v[0:1], 1, v[8:9]
	v_mov_b32_e32 v3, s17
	v_add_co_u32_e64 v0, s[2:3], s16, v0
	v_addc_co_u32_e64 v1, s[2:3], v3, v1, s[2:3]
	s_add_i32 s8, s8, 1
	v_and_b32_e32 v3, 0xffff0000, v35
	v_cmp_ge_i32_e64 s[2:3], s8, v11
	v_or_b32_sdwa v3, v3, v34 dst_sel:DWORD dst_unused:UNUSED_PAD src0_sel:DWORD src1_sel:WORD_1
	v_and_or_b32 v2, v33, s9, v2
	v_add_u32_e32 v8, 0x80, v8
	s_or_b64 s[4:5], s[2:3], s[4:5]
	v_add_u32_e32 v24, 0x100, v24
	global_store_dwordx2 v[0:1], v[2:3], off
	s_andn2_b64 exec, exec, s[4:5]
	s_cbranch_execz .LBB93_28
.LBB93_10:                              ; =>This Inner Loop Header: Depth=1
	ds_read_b64 v[0:1], v24
	v_add_u32_e32 v34, s8, v10
	v_mov_b32_e32 v35, v27
	v_cmp_gt_i32_e64 s[2:3], s12, v34
	v_cndmask_b32_e64 v34, v6, v4, s[2:3]
	s_waitcnt lgkmcnt(0)
	v_and_b32_e32 v2, 0xffff0000, v0
	v_lshlrev_b32_e32 v3, 16, v0
	v_alignbit_b32 v0, v1, v0, 16
	v_and_b32_e32 v9, 0xffff0000, v1
	v_mul_f32_e32 v1, v2, v2
	v_and_b32_e32 v33, 0xffff0000, v0
	v_fmac_f32_e32 v1, v3, v3
	v_fmac_f32_e32 v1, v33, v33
	;; [unrolled: 1-line block ×3, first 2 shown]
	ds_bpermute_b32 v0, v12, v1
	v_cndmask_b32_e64 v36, v22, v20, s[2:3]
	v_cndmask_b32_e64 v37, v7, v5, s[2:3]
	;; [unrolled: 1-line block ×3, first 2 shown]
	v_lshlrev_b32_e32 v34, 16, v34
	s_waitcnt lgkmcnt(0)
	v_add_f32_e32 v0, v1, v0
	ds_bpermute_b32 v1, v13, v0
	s_waitcnt lgkmcnt(0)
	v_add_f32_e32 v0, v0, v1
	ds_bpermute_b32 v1, v14, v0
	;; [unrolled: 3-line block ×4, first 2 shown]
	s_waitcnt lgkmcnt(0)
	v_add_f32_e32 v0, v0, v1
	v_fmac_f32_e32 v35, 0x3c000000, v0
	v_mul_f32_e32 v0, 0x4b800000, v35
	v_cmp_gt_f32_e64 s[2:3], s10, v35
	v_cndmask_b32_e64 v0, v35, v0, s[2:3]
	v_rsq_f32_e32 v0, v0
	v_lshlrev_b32_e32 v35, 16, v37
	v_lshlrev_b32_e32 v1, 16, v36
	v_lshlrev_b32_e32 v36, 16, v38
	v_mul_f32_e32 v37, 0x45800000, v0
	v_cndmask_b32_e64 v0, v0, v37, s[2:3]
	v_mul_f32_e32 v34, v0, v34
	v_mul_f32_e32 v1, v0, v1
	;; [unrolled: 1-line block ×8, first 2 shown]
	s_and_saveexec_b64 s[2:3], vcc
	s_cbranch_execz .LBB93_12
; %bb.11:                               ;   in Loop: Header=BB93_10 Depth=1
	ds_bpermute_b32 v9, v17, v0
	ds_bpermute_b32 v33, v17, v1
	; wave barrier
	ds_read_b32 v35, v18
	ds_read_b32 v34, v19
	;; [unrolled: 1-line block ×8, first 2 shown]
	s_waitcnt lgkmcnt(9)
	v_cndmask_b32_e64 v9, v9, -v9, s[0:1]
	s_waitcnt lgkmcnt(6)
	v_mul_f32_e32 v34, v9, v34
	v_fmac_f32_e32 v34, v0, v35
	ds_bpermute_b32 v0, v17, v2
	v_cndmask_b32_e64 v9, v33, -v33, s[0:1]
	s_waitcnt lgkmcnt(5)
	v_mul_f32_e32 v35, v9, v37
	ds_bpermute_b32 v9, v17, v3
	v_fmac_f32_e32 v35, v1, v36
	s_waitcnt lgkmcnt(1)
	v_cndmask_b32_e64 v0, v0, -v0, s[0:1]
	v_mul_f32_e32 v36, v0, v39
	v_fmac_f32_e32 v36, v2, v38
	s_waitcnt lgkmcnt(0)
	v_cndmask_b32_e64 v0, v9, -v9, s[0:1]
	v_mul_f32_e32 v37, v0, v41
	v_fmac_f32_e32 v37, v3, v40
	v_pk_mov_b32 v[0:1], v[34:35], v[34:35] op_sel:[0,1]
	v_pk_mov_b32 v[2:3], v[36:37], v[36:37] op_sel:[0,1]
	; wave barrier
.LBB93_12:                              ;   in Loop: Header=BB93_10 Depth=1
	s_or_b64 exec, exec, s[2:3]
	v_and_b32_e32 v9, 0x7f800000, v0
	v_cmp_ne_u32_e64 s[2:3], s11, v9
                                        ; implicit-def: $vgpr9
	s_and_saveexec_b64 s[6:7], s[2:3]
	s_xor_b64 s[2:3], exec, s[6:7]
; %bb.13:                               ;   in Loop: Header=BB93_10 Depth=1
	v_bfe_u32 v9, v0, 16, 1
	v_add3_u32 v9, v0, v9, s13
; %bb.14:                               ;   in Loop: Header=BB93_10 Depth=1
	s_andn2_saveexec_b64 s[6:7], s[2:3]
; %bb.15:                               ;   in Loop: Header=BB93_10 Depth=1
	v_or_b32_e32 v9, 0x10000, v0
	v_cmp_eq_u32_sdwa s[2:3], v0, v32 src0_sel:WORD_0 src1_sel:DWORD
	v_cndmask_b32_e64 v9, v9, v0, s[2:3]
; %bb.16:                               ;   in Loop: Header=BB93_10 Depth=1
	s_or_b64 exec, exec, s[6:7]
	v_and_b32_e32 v0, 0x7f800000, v1
	v_cmp_ne_u32_e64 s[2:3], s11, v0
                                        ; implicit-def: $vgpr33
	s_and_saveexec_b64 s[6:7], s[2:3]
	s_xor_b64 s[2:3], exec, s[6:7]
; %bb.17:                               ;   in Loop: Header=BB93_10 Depth=1
	v_bfe_u32 v0, v1, 16, 1
	v_add3_u32 v33, v1, v0, s13
; %bb.18:                               ;   in Loop: Header=BB93_10 Depth=1
	s_andn2_saveexec_b64 s[6:7], s[2:3]
; %bb.19:                               ;   in Loop: Header=BB93_10 Depth=1
	v_or_b32_e32 v0, 0x10000, v1
	v_cmp_eq_u32_sdwa s[2:3], v1, v32 src0_sel:WORD_0 src1_sel:DWORD
	v_cndmask_b32_e64 v33, v0, v1, s[2:3]
; %bb.20:                               ;   in Loop: Header=BB93_10 Depth=1
	s_or_b64 exec, exec, s[6:7]
	v_and_b32_e32 v0, 0x7f800000, v2
	v_cmp_ne_u32_e64 s[2:3], s11, v0
                                        ; implicit-def: $vgpr34
	s_and_saveexec_b64 s[6:7], s[2:3]
	s_xor_b64 s[2:3], exec, s[6:7]
; %bb.21:                               ;   in Loop: Header=BB93_10 Depth=1
	v_bfe_u32 v0, v2, 16, 1
	v_add3_u32 v34, v2, v0, s13
; %bb.22:                               ;   in Loop: Header=BB93_10 Depth=1
	s_andn2_saveexec_b64 s[6:7], s[2:3]
; %bb.23:                               ;   in Loop: Header=BB93_10 Depth=1
	v_or_b32_e32 v0, 0x10000, v2
	v_cmp_eq_u32_sdwa s[2:3], v2, v32 src0_sel:WORD_0 src1_sel:DWORD
	v_cndmask_b32_e64 v34, v0, v2, s[2:3]
; %bb.24:                               ;   in Loop: Header=BB93_10 Depth=1
	s_or_b64 exec, exec, s[6:7]
	v_and_b32_e32 v0, 0x7f800000, v3
	v_cmp_ne_u32_e64 s[2:3], s11, v0
                                        ; implicit-def: $vgpr35
	s_and_saveexec_b64 s[6:7], s[2:3]
	s_xor_b64 s[2:3], exec, s[6:7]
; %bb.25:                               ;   in Loop: Header=BB93_10 Depth=1
	v_bfe_u32 v0, v3, 16, 1
	v_add3_u32 v35, v3, v0, s13
                                        ; implicit-def: $vgpr0_vgpr1_vgpr2_vgpr3
; %bb.26:                               ;   in Loop: Header=BB93_10 Depth=1
	s_andn2_saveexec_b64 s[6:7], s[2:3]
	s_cbranch_execz .LBB93_9
; %bb.27:                               ;   in Loop: Header=BB93_10 Depth=1
	v_or_b32_e32 v0, 0x10000, v3
	v_cmp_eq_u32_sdwa s[2:3], v3, v32 src0_sel:WORD_0 src1_sel:DWORD
	v_cndmask_b32_e64 v35, v0, v3, s[2:3]
	s_branch .LBB93_9
.LBB93_28:
	s_endpgm
	.section	.rodata,"a",@progbits
	.p2align	6, 0x0
	.amdhsa_kernel _ZN12tensorrt_llm7kernels32fusedQKNormRopeKernelNTokenHeadsIN3c108BFloat16EfLi128ELb0ELi8EEEvPviiifPKvS6_S6_PKlii
		.amdhsa_group_segment_fixed_size 0
		.amdhsa_private_segment_fixed_size 0
		.amdhsa_kernarg_size 320
		.amdhsa_user_sgpr_count 6
		.amdhsa_user_sgpr_private_segment_buffer 1
		.amdhsa_user_sgpr_dispatch_ptr 0
		.amdhsa_user_sgpr_queue_ptr 0
		.amdhsa_user_sgpr_kernarg_segment_ptr 1
		.amdhsa_user_sgpr_dispatch_id 0
		.amdhsa_user_sgpr_flat_scratch_init 0
		.amdhsa_user_sgpr_kernarg_preload_length 0
		.amdhsa_user_sgpr_kernarg_preload_offset 0
		.amdhsa_user_sgpr_private_segment_size 0
		.amdhsa_uses_dynamic_stack 0
		.amdhsa_system_sgpr_private_segment_wavefront_offset 0
		.amdhsa_system_sgpr_workgroup_id_x 1
		.amdhsa_system_sgpr_workgroup_id_y 0
		.amdhsa_system_sgpr_workgroup_id_z 0
		.amdhsa_system_sgpr_workgroup_info 0
		.amdhsa_system_vgpr_workitem_id 0
		.amdhsa_next_free_vgpr 42
		.amdhsa_next_free_sgpr 24
		.amdhsa_accum_offset 44
		.amdhsa_reserve_vcc 1
		.amdhsa_reserve_flat_scratch 0
		.amdhsa_float_round_mode_32 0
		.amdhsa_float_round_mode_16_64 0
		.amdhsa_float_denorm_mode_32 3
		.amdhsa_float_denorm_mode_16_64 3
		.amdhsa_dx10_clamp 1
		.amdhsa_ieee_mode 1
		.amdhsa_fp16_overflow 0
		.amdhsa_tg_split 0
		.amdhsa_exception_fp_ieee_invalid_op 0
		.amdhsa_exception_fp_denorm_src 0
		.amdhsa_exception_fp_ieee_div_zero 0
		.amdhsa_exception_fp_ieee_overflow 0
		.amdhsa_exception_fp_ieee_underflow 0
		.amdhsa_exception_fp_ieee_inexact 0
		.amdhsa_exception_int_div_zero 0
	.end_amdhsa_kernel
	.section	.text._ZN12tensorrt_llm7kernels32fusedQKNormRopeKernelNTokenHeadsIN3c108BFloat16EfLi128ELb0ELi8EEEvPviiifPKvS6_S6_PKlii,"axG",@progbits,_ZN12tensorrt_llm7kernels32fusedQKNormRopeKernelNTokenHeadsIN3c108BFloat16EfLi128ELb0ELi8EEEvPviiifPKvS6_S6_PKlii,comdat
.Lfunc_end93:
	.size	_ZN12tensorrt_llm7kernels32fusedQKNormRopeKernelNTokenHeadsIN3c108BFloat16EfLi128ELb0ELi8EEEvPviiifPKvS6_S6_PKlii, .Lfunc_end93-_ZN12tensorrt_llm7kernels32fusedQKNormRopeKernelNTokenHeadsIN3c108BFloat16EfLi128ELb0ELi8EEEvPviiifPKvS6_S6_PKlii
                                        ; -- End function
	.section	.AMDGPU.csdata,"",@progbits
; Kernel info:
; codeLenInByte = 2308
; NumSgprs: 28
; NumVgprs: 42
; NumAgprs: 0
; TotalNumVgprs: 42
; ScratchSize: 0
; MemoryBound: 0
; FloatMode: 240
; IeeeMode: 1
; LDSByteSize: 0 bytes/workgroup (compile time only)
; SGPRBlocks: 3
; VGPRBlocks: 5
; NumSGPRsForWavesPerEU: 28
; NumVGPRsForWavesPerEU: 42
; AccumOffset: 44
; Occupancy: 8
; WaveLimiterHint : 0
; COMPUTE_PGM_RSRC2:SCRATCH_EN: 0
; COMPUTE_PGM_RSRC2:USER_SGPR: 6
; COMPUTE_PGM_RSRC2:TRAP_HANDLER: 0
; COMPUTE_PGM_RSRC2:TGID_X_EN: 1
; COMPUTE_PGM_RSRC2:TGID_Y_EN: 0
; COMPUTE_PGM_RSRC2:TGID_Z_EN: 0
; COMPUTE_PGM_RSRC2:TIDIG_COMP_CNT: 0
; COMPUTE_PGM_RSRC3_GFX90A:ACCUM_OFFSET: 10
; COMPUTE_PGM_RSRC3_GFX90A:TG_SPLIT: 0
	.section	.text._ZN12tensorrt_llm7kernels32fusedQKNormRopeKernelNTokenHeadsIN3c108BFloat16EfLi256ELb1ELi8EEEvPviiifPKvS6_S6_PKlii,"axG",@progbits,_ZN12tensorrt_llm7kernels32fusedQKNormRopeKernelNTokenHeadsIN3c108BFloat16EfLi256ELb1ELi8EEEvPviiifPKvS6_S6_PKlii,comdat
	.protected	_ZN12tensorrt_llm7kernels32fusedQKNormRopeKernelNTokenHeadsIN3c108BFloat16EfLi256ELb1ELi8EEEvPviiifPKvS6_S6_PKlii ; -- Begin function _ZN12tensorrt_llm7kernels32fusedQKNormRopeKernelNTokenHeadsIN3c108BFloat16EfLi256ELb1ELi8EEEvPviiifPKvS6_S6_PKlii
	.globl	_ZN12tensorrt_llm7kernels32fusedQKNormRopeKernelNTokenHeadsIN3c108BFloat16EfLi256ELb1ELi8EEEvPviiifPKvS6_S6_PKlii
	.p2align	8
	.type	_ZN12tensorrt_llm7kernels32fusedQKNormRopeKernelNTokenHeadsIN3c108BFloat16EfLi256ELb1ELi8EEEvPviiifPKvS6_S6_PKlii,@function
_ZN12tensorrt_llm7kernels32fusedQKNormRopeKernelNTokenHeadsIN3c108BFloat16EfLi256ELb1ELi8EEEvPviiifPKvS6_S6_PKlii: ; @_ZN12tensorrt_llm7kernels32fusedQKNormRopeKernelNTokenHeadsIN3c108BFloat16EfLi256ELb1ELi8EEEvPviiifPKvS6_S6_PKlii
; %bb.0:
	s_load_dwordx4 s[12:15], s[4:5], 0x8
	s_load_dwordx2 s[2:3], s[4:5], 0x38
	s_load_dword s1, s[4:5], 0x4c
	v_lshrrev_b32_e32 v1, 5, v0
	s_waitcnt lgkmcnt(0)
	s_add_i32 s0, s13, s12
	s_add_i32 s7, s0, 7
	s_ashr_i32 s8, s7, 31
	s_lshr_b32 s8, s8, 29
	s_add_i32 s7, s7, s8
	s_ashr_i32 s20, s7, 3
	s_abs_i32 s7, s20
	v_cvt_f32_u32_e32 v2, s7
	s_bfe_u32 s1, s1, 0xb0005
	s_mul_i32 s6, s6, s1
	v_rcp_iflag_f32_e32 v3, v2
	v_add_u32_e32 v2, s6, v1
	s_sub_i32 s6, 0, s7
	v_sub_u32_e32 v4, 0, v2
	v_mul_f32_e32 v3, 0x4f7ffffe, v3
	v_cvt_u32_f32_e32 v3, v3
	v_max_i32_e32 v4, v2, v4
	v_xor_b32_e32 v5, s20, v2
	v_ashrrev_i32_e32 v5, 31, v5
	v_mul_lo_u32 v6, s6, v3
	v_mul_hi_u32 v6, v3, v6
	v_add_u32_e32 v3, v3, v6
	v_mul_hi_u32 v3, v4, v3
	v_mul_lo_u32 v6, v3, s7
	v_sub_u32_e32 v4, v4, v6
	v_add_u32_e32 v6, 1, v3
	v_cmp_le_u32_e32 vcc, s7, v4
	v_cndmask_b32_e32 v3, v3, v6, vcc
	v_subrev_u32_e32 v6, s7, v4
	v_cndmask_b32_e32 v4, v4, v6, vcc
	v_add_u32_e32 v6, 1, v3
	v_cmp_le_u32_e32 vcc, s7, v4
	v_cndmask_b32_e32 v3, v3, v6, vcc
	v_xor_b32_e32 v3, v3, v5
	v_sub_u32_e32 v8, v3, v5
	v_cmp_gt_i32_e32 vcc, s2, v8
	s_and_saveexec_b64 s[6:7], vcc
	s_cbranch_execz .LBB94_44
; %bb.1:
	v_mul_lo_u32 v3, v8, s20
	v_sub_u32_e32 v3, v2, v3
	s_load_dwordx2 s[16:17], s[4:5], 0x0
	v_lshlrev_b32_e32 v18, 3, v3
	v_add_u32_e32 v3, 8, v18
	v_sub_u32_e32 v4, s0, v18
	v_cmp_lt_i32_e32 vcc, s0, v3
	v_and_b32_e32 v10, 31, v0
	v_cndmask_b32_e32 v19, 8, v4, vcc
	s_lshl_b32 s18, s3, 2
	s_mul_i32 s2, s18, s1
	v_lshlrev_b32_e32 v13, 12, v1
	v_cmp_lt_i32_e64 s[0:1], 0, v19
	v_lshlrev_b32_e32 v12, 4, v10
	v_lshlrev_b32_e32 v11, 11, v2
	s_and_saveexec_b64 s[6:7], s[0:1]
	s_cbranch_execz .LBB94_4
; %bb.2:
	s_add_i32 s8, s2, 0
	v_add3_u32 v4, s8, v13, v12
	s_add_i32 s8, s14, s13
	s_add_i32 s8, s8, s12
	s_lshl_b32 s9, s20, 3
	s_sub_i32 s8, s8, s9
	v_mul_lo_u32 v2, s8, v8
	v_lshl_add_u32 v2, v2, 8, v11
	s_mov_b32 s10, 0
	v_lshl_or_b32 v2, v10, 3, v2
	s_mov_b64 s[8:9], 0
	s_waitcnt lgkmcnt(0)
	v_mov_b32_e32 v5, s17
.LBB94_3:                               ; =>This Inner Loop Header: Depth=1
	v_ashrrev_i32_e32 v3, 31, v2
	v_lshlrev_b64 v[6:7], 1, v[2:3]
	v_add_co_u32_e32 v6, vcc, s16, v6
	v_addc_co_u32_e32 v7, vcc, v5, v7, vcc
	global_load_dwordx4 v[14:17], v[6:7], off
	s_add_i32 s10, s10, 1
	v_cmp_ge_i32_e32 vcc, s10, v19
	v_add_u32_e32 v2, 0x100, v2
	s_or_b64 s[8:9], vcc, s[8:9]
	s_waitcnt vmcnt(0)
	ds_write_b128 v4, v[14:17]
	v_add_u32_e32 v4, 0x200, v4
	s_andn2_b64 exec, exec, s[8:9]
	s_cbranch_execnz .LBB94_3
.LBB94_4:
	s_or_b64 exec, exec, s[6:7]
	s_add_i32 s18, s18, 15
	s_load_dwordx8 s[4:11], s[4:5], 0x18
	s_ashr_i32 s19, s18, 31
	s_lshr_b32 s19, s19, 28
	s_add_i32 s18, s18, s19
	s_ashr_i32 s21, s18, 4
	v_mul_lo_u32 v1, v1, s3
	v_cmp_gt_i32_e32 vcc, s21, v10
	v_lshlrev_b32_e32 v14, 2, v1
	s_and_saveexec_b64 s[18:19], vcc
	s_cbranch_execz .LBB94_7
; %bb.5:
	v_ashrrev_i32_e32 v9, 31, v8
	v_lshlrev_b64 v[2:3], 3, v[8:9]
	s_waitcnt lgkmcnt(0)
	v_mov_b32_e32 v1, s11
	v_add_co_u32_e32 v2, vcc, s10, v2
	v_addc_co_u32_e32 v3, vcc, v1, v3, vcc
	global_load_dwordx2 v[4:5], v[2:3], off
	s_ashr_i32 s22, s3, 31
	v_and_b32_e32 v0, 31, v0
	v_lshlrev_b32_e32 v6, 4, v0
	v_mov_b32_e32 v3, s9
	v_add3_u32 v2, v14, v12, 0
	s_mov_b64 s[10:11], 0
	s_waitcnt vmcnt(0)
	v_mul_lo_u32 v5, v5, s3
	v_mul_lo_u32 v7, v4, s22
	v_mad_u64_u32 v[0:1], s[22:23], v4, s3, 0
	v_add3_u32 v1, v1, v7, v5
	v_lshlrev_b64 v[0:1], 2, v[0:1]
	v_add_co_u32_e32 v0, vcc, v0, v6
	v_addc_co_u32_e32 v1, vcc, 0, v1, vcc
	v_add_co_u32_e32 v0, vcc, s8, v0
	v_addc_co_u32_e32 v1, vcc, v3, v1, vcc
	v_mov_b32_e32 v3, v10
.LBB94_6:                               ; =>This Inner Loop Header: Depth=1
	global_load_dwordx4 v[4:7], v[0:1], off
	v_add_co_u32_e32 v0, vcc, 0x200, v0
	v_add_u32_e32 v3, 32, v3
	v_addc_co_u32_e32 v1, vcc, 0, v1, vcc
	v_cmp_le_i32_e32 vcc, s21, v3
	s_or_b64 s[10:11], vcc, s[10:11]
	s_waitcnt vmcnt(0)
	ds_write_b128 v2, v[4:7]
	v_add_u32_e32 v2, 0x200, v2
	s_andn2_b64 exec, exec, s[10:11]
	s_cbranch_execnz .LBB94_6
.LBB94_7:
	s_or_b64 exec, exec, s[18:19]
	s_and_b64 exec, exec, s[0:1]
	s_cbranch_execz .LBB94_44
; %bb.8:
	s_waitcnt lgkmcnt(0)
	global_load_dwordx4 v[0:3], v12, s[4:5]
	global_load_dwordx4 v[4:7], v12, s[6:7]
	v_mbcnt_lo_u32_b32 v9, -1, 0
	v_add_u32_e32 v13, s2, v13
	v_mbcnt_hi_u32_b32 v9, -1, v9
	v_add3_u32 v20, 0, v14, v12
	v_add3_u32 v22, v13, v12, 0
	v_and_b32_e32 v12, 0x60, v9
	v_xor_b32_e32 v13, 16, v9
	v_add_u32_e32 v12, 32, v12
	v_xor_b32_e32 v14, 8, v9
	v_cmp_lt_i32_e32 vcc, v13, v12
	s_add_i32 s11, s14, s13
	v_xor_b32_e32 v15, 4, v9
	v_cndmask_b32_e32 v13, v9, v13, vcc
	v_cmp_lt_i32_e32 vcc, v14, v12
	s_lshr_b32 s0, s3, 31
	s_ashr_i32 s1, s3, 31
	s_lshl_b32 s13, s20, 3
	s_add_i32 s11, s11, s12
	v_xor_b32_e32 v16, 2, v9
	v_cndmask_b32_e32 v14, v9, v14, vcc
	v_cmp_lt_i32_e32 vcc, v15, v12
	s_add_i32 s0, s3, s0
	s_lshr_b32 s1, s1, 29
	v_xor_b32_e32 v17, 1, v9
	s_sub_i32 s2, s11, s13
	v_cndmask_b32_e32 v15, v9, v15, vcc
	v_cmp_lt_i32_e32 vcc, v16, v12
	s_lshl_b32 s0, s0, 1
	s_add_i32 s1, s3, s1
	v_mul_lo_u32 v8, s2, v8
	v_cndmask_b32_e32 v16, v9, v16, vcc
	v_cmp_lt_i32_e32 vcc, v17, v12
	s_and_b32 s0, s0, -4
	s_ashr_i32 s1, s1, 3
	v_cndmask_b32_e32 v9, v9, v17, vcc
	v_lshl_add_u32 v8, v8, 8, v11
	s_mov_b32 s6, 0
	s_mov_b64 s[4:5], 0
	v_mov_b32_e32 v21, s15
	s_mov_b32 s7, 0x800000
	s_mov_b32 s8, 0x7f800000
	s_movk_i32 s9, 0x7fff
	s_mov_b32 s10, 0x7060302
	v_cmp_gt_i32_e32 vcc, s1, v10
	v_add_u32_e32 v23, s0, v20
	v_lshlrev_b32_e32 v24, 2, v13
	v_lshlrev_b32_e32 v25, 2, v14
	;; [unrolled: 1-line block ×5, first 2 shown]
	v_lshl_or_b32 v8, v10, 3, v8
	v_mov_b32_e32 v37, 0
	s_waitcnt vmcnt(1)
	v_lshrrev_b32_e32 v29, 16, v0
	s_waitcnt vmcnt(0)
	v_lshrrev_b32_e32 v30, 16, v4
	v_lshrrev_b32_e32 v31, 16, v1
	;; [unrolled: 1-line block ×7, first 2 shown]
	s_branch .LBB94_10
.LBB94_9:                               ;   in Loop: Header=BB94_10 Depth=1
	s_or_b64 exec, exec, s[2:3]
	v_ashrrev_i32_e32 v9, 31, v8
	v_lshlrev_b64 v[40:41], 1, v[8:9]
	v_mov_b32_e32 v9, s17
	v_add_co_u32_e64 v40, s[0:1], s16, v40
	v_addc_co_u32_e64 v41, s[0:1], v9, v41, s[0:1]
	s_add_i32 s6, s6, 1
	v_cmp_ge_i32_e64 s[0:1], s6, v19
	v_perm_b32 v13, v10, v13, s10
	v_perm_b32 v12, v12, v15, s10
	;; [unrolled: 1-line block ×4, first 2 shown]
	v_add_u32_e32 v8, 0x100, v8
	s_or_b64 s[4:5], s[0:1], s[4:5]
	v_add_u32_e32 v22, 0x200, v22
	global_store_dwordx4 v[40:41], v[10:13], off
	s_andn2_b64 exec, exec, s[4:5]
	s_cbranch_execz .LBB94_44
.LBB94_10:                              ; =>This Inner Loop Header: Depth=1
	ds_read_b128 v[10:13], v22
	s_waitcnt lgkmcnt(0)
	v_and_b32_e32 v15, 0xffff0000, v10
	v_lshlrev_b32_e32 v14, 16, v10
	v_pk_mul_f32 v[40:41], v[14:15], v[14:15]
	v_and_b32_e32 v43, 0xffff0000, v11
	v_lshlrev_b32_e32 v42, 16, v11
	v_pk_mul_f32 v[10:11], v[42:43], v[42:43]
	v_add_f32_e32 v9, v40, v41
	v_and_b32_e32 v39, 0xffff0000, v13
	v_lshlrev_b32_e32 v38, 16, v13
	v_and_b32_e32 v13, 0xffff0000, v12
	v_lshlrev_b32_e32 v12, 16, v12
	v_add_f32_e32 v9, v9, v10
	v_pk_mul_f32 v[44:45], v[12:13], v[12:13]
	v_add_f32_e32 v9, v9, v11
	v_add_f32_e32 v9, v9, v44
	v_pk_mul_f32 v[16:17], v[38:39], v[38:39]
	v_add_f32_e32 v9, v9, v45
	v_add_f32_e32 v9, v9, v16
	;; [unrolled: 1-line block ×3, first 2 shown]
	ds_bpermute_b32 v10, v24, v9
	v_mov_b32_e32 v16, v21
	v_add_u32_e32 v11, s6, v18
	v_cmp_gt_i32_e64 s[0:1], s12, v11
	v_cndmask_b32_e64 v11, v30, v29, s[0:1]
	s_waitcnt lgkmcnt(0)
	v_add_f32_e32 v9, v9, v10
	ds_bpermute_b32 v10, v25, v9
	v_cndmask_b32_e64 v17, v4, v0, s[0:1]
	v_lshlrev_b32_e32 v11, 16, v11
	v_cndmask_b32_e64 v40, v32, v31, s[0:1]
	v_cndmask_b32_e64 v41, v5, v1, s[0:1]
	s_waitcnt lgkmcnt(0)
	v_add_f32_e32 v9, v9, v10
	ds_bpermute_b32 v10, v26, v9
	v_cndmask_b32_e64 v45, v34, v33, s[0:1]
	v_cndmask_b32_e64 v46, v6, v2, s[0:1]
	s_waitcnt lgkmcnt(0)
	v_add_f32_e32 v9, v9, v10
	ds_bpermute_b32 v10, v27, v9
	s_waitcnt lgkmcnt(0)
	v_add_f32_e32 v9, v9, v10
	ds_bpermute_b32 v44, v28, v9
	v_lshlrev_b32_e32 v10, 16, v17
	v_lshlrev_b32_e32 v17, 16, v40
	;; [unrolled: 1-line block ×3, first 2 shown]
	s_waitcnt lgkmcnt(0)
	v_add_f32_e32 v9, v9, v44
	v_fmac_f32_e32 v16, 0x3b800000, v9
	v_mul_f32_e32 v9, 0x4b800000, v16
	v_cmp_gt_f32_e64 s[2:3], s7, v16
	v_cndmask_b32_e64 v9, v16, v9, s[2:3]
	v_rsq_f32_e32 v9, v9
	v_lshlrev_b32_e32 v16, 16, v41
	v_lshlrev_b32_e32 v41, 16, v45
	v_mul_f32_e32 v44, 0x45800000, v9
	v_cndmask_b32_e64 v44, v9, v44, s[2:3]
	v_pk_mul_f32 v[10:11], v[44:45], v[10:11] op_sel_hi:[0,1]
	v_pk_mul_f32 v[46:47], v[44:45], v[16:17] op_sel_hi:[0,1]
	v_pk_mul_f32 v[16:17], v[10:11], v[14:15]
	v_pk_mul_f32 v[10:11], v[44:45], v[40:41] op_sel_hi:[0,1]
	v_pk_mul_f32 v[12:13], v[10:11], v[12:13]
	v_cndmask_b32_e64 v9, v36, v35, s[0:1]
	v_cndmask_b32_e64 v10, v7, v3, s[0:1]
	v_lshlrev_b32_e32 v11, 16, v9
	v_lshlrev_b32_e32 v10, 16, v10
	v_pk_mul_f32 v[10:11], v[44:45], v[10:11] op_sel_hi:[0,1]
	v_pk_mul_f32 v[14:15], v[46:47], v[42:43]
	v_pk_mul_f32 v[10:11], v[10:11], v[38:39]
	s_and_saveexec_b64 s[0:1], vcc
	s_cbranch_execz .LBB94_12
; %bb.11:                               ;   in Loop: Header=BB94_10 Depth=1
	ds_read2_b32 v[38:39], v23 offset1:1
	ds_read2_b32 v[40:41], v20 offset1:1
	ds_read2_b32 v[42:43], v23 offset0:2 offset1:3
	ds_read2_b32 v[44:45], v20 offset0:2 offset1:3
	s_waitcnt lgkmcnt(3)
	v_pk_mul_f32 v[46:47], v[16:17], v[38:39] op_sel_hi:[1,0]
	v_pk_mul_f32 v[38:39], v[14:15], v[38:39] op_sel:[0,1]
	s_waitcnt lgkmcnt(2)
	v_pk_fma_f32 v[50:51], v[14:15], v[40:41], v[38:39] op_sel:[0,1,1] op_sel_hi:[1,1,0] neg_lo:[0,0,1] neg_hi:[0,0,1]
	v_pk_fma_f32 v[14:15], v[14:15], v[40:41], v[38:39] op_sel:[0,1,1] op_sel_hi:[1,1,0]
	s_waitcnt lgkmcnt(1)
	v_pk_mul_f32 v[38:39], v[12:13], v[42:43] op_sel_hi:[1,0]
	v_pk_mul_f32 v[48:49], v[16:17], v[40:41] op_sel_hi:[1,0]
	v_pk_fma_f32 v[16:17], v[16:17], v[40:41], v[46:47] op_sel:[0,0,1] op_sel_hi:[1,0,0]
	s_waitcnt lgkmcnt(0)
	v_pk_fma_f32 v[40:41], v[12:13], v[44:45], v[38:39] op_sel:[0,0,1] op_sel_hi:[1,0,0] neg_lo:[0,0,1] neg_hi:[0,0,1]
	v_pk_fma_f32 v[12:13], v[12:13], v[44:45], v[38:39] op_sel:[0,0,1] op_sel_hi:[1,0,0]
	v_mov_b32_e32 v44, v43
	v_pk_mul_f32 v[38:39], v[10:11], v[44:45]
	v_mul_f32_e32 v9, v11, v43
	v_mov_b32_e32 v12, v39
	v_fma_f32 v9, v10, v45, -v9
	v_pk_fma_f32 v[38:39], v[10:11], v[44:45], v[12:13]
	v_sub_f32_e32 v16, v48, v47
	v_mov_b32_e32 v14, v50
	v_mov_b32_e32 v12, v40
	;; [unrolled: 1-line block ×4, first 2 shown]
.LBB94_12:                              ;   in Loop: Header=BB94_10 Depth=1
	s_or_b64 exec, exec, s[0:1]
	v_and_b32_e32 v9, 0x7f800000, v16
	v_cmp_ne_u32_e64 s[0:1], s8, v9
                                        ; implicit-def: $vgpr38
	s_and_saveexec_b64 s[2:3], s[0:1]
	s_xor_b64 s[0:1], exec, s[2:3]
; %bb.13:                               ;   in Loop: Header=BB94_10 Depth=1
	v_bfe_u32 v9, v16, 16, 1
	v_add3_u32 v38, v16, v9, s9
; %bb.14:                               ;   in Loop: Header=BB94_10 Depth=1
	s_andn2_saveexec_b64 s[2:3], s[0:1]
; %bb.15:                               ;   in Loop: Header=BB94_10 Depth=1
	v_or_b32_e32 v9, 0x10000, v16
	v_cmp_eq_u32_sdwa s[0:1], v16, v37 src0_sel:WORD_0 src1_sel:DWORD
	v_cndmask_b32_e64 v38, v9, v16, s[0:1]
; %bb.16:                               ;   in Loop: Header=BB94_10 Depth=1
	s_or_b64 exec, exec, s[2:3]
	v_and_b32_e32 v9, 0x7f800000, v17
	v_cmp_ne_u32_e64 s[0:1], s8, v9
                                        ; implicit-def: $vgpr16
	s_and_saveexec_b64 s[2:3], s[0:1]
	s_xor_b64 s[0:1], exec, s[2:3]
; %bb.17:                               ;   in Loop: Header=BB94_10 Depth=1
	v_bfe_u32 v9, v17, 16, 1
	v_add3_u32 v16, v17, v9, s9
                                        ; implicit-def: $vgpr17
; %bb.18:                               ;   in Loop: Header=BB94_10 Depth=1
	s_andn2_saveexec_b64 s[2:3], s[0:1]
; %bb.19:                               ;   in Loop: Header=BB94_10 Depth=1
	v_or_b32_e32 v9, 0x10000, v17
	v_cmp_eq_u32_sdwa s[0:1], v17, v37 src0_sel:WORD_0 src1_sel:DWORD
	v_cndmask_b32_e64 v16, v9, v17, s[0:1]
; %bb.20:                               ;   in Loop: Header=BB94_10 Depth=1
	s_or_b64 exec, exec, s[2:3]
	v_and_b32_e32 v9, 0x7f800000, v14
	v_cmp_ne_u32_e64 s[0:1], s8, v9
                                        ; implicit-def: $vgpr17
	s_and_saveexec_b64 s[2:3], s[0:1]
	s_xor_b64 s[0:1], exec, s[2:3]
; %bb.21:                               ;   in Loop: Header=BB94_10 Depth=1
	v_bfe_u32 v9, v14, 16, 1
	v_add3_u32 v17, v14, v9, s9
; %bb.22:                               ;   in Loop: Header=BB94_10 Depth=1
	s_andn2_saveexec_b64 s[2:3], s[0:1]
; %bb.23:                               ;   in Loop: Header=BB94_10 Depth=1
	v_or_b32_e32 v9, 0x10000, v14
	v_cmp_eq_u32_sdwa s[0:1], v14, v37 src0_sel:WORD_0 src1_sel:DWORD
	v_cndmask_b32_e64 v17, v9, v14, s[0:1]
; %bb.24:                               ;   in Loop: Header=BB94_10 Depth=1
	s_or_b64 exec, exec, s[2:3]
	v_and_b32_e32 v9, 0x7f800000, v15
	v_cmp_ne_u32_e64 s[0:1], s8, v9
                                        ; implicit-def: $vgpr14
	s_and_saveexec_b64 s[2:3], s[0:1]
	s_xor_b64 s[0:1], exec, s[2:3]
; %bb.25:                               ;   in Loop: Header=BB94_10 Depth=1
	v_bfe_u32 v9, v15, 16, 1
	v_add3_u32 v14, v15, v9, s9
                                        ; implicit-def: $vgpr15
; %bb.26:                               ;   in Loop: Header=BB94_10 Depth=1
	s_andn2_saveexec_b64 s[2:3], s[0:1]
; %bb.27:                               ;   in Loop: Header=BB94_10 Depth=1
	v_or_b32_e32 v9, 0x10000, v15
	v_cmp_eq_u32_sdwa s[0:1], v15, v37 src0_sel:WORD_0 src1_sel:DWORD
	v_cndmask_b32_e64 v14, v9, v15, s[0:1]
; %bb.28:                               ;   in Loop: Header=BB94_10 Depth=1
	s_or_b64 exec, exec, s[2:3]
	v_and_b32_e32 v9, 0x7f800000, v12
	v_cmp_ne_u32_e64 s[0:1], s8, v9
                                        ; implicit-def: $vgpr15
	s_and_saveexec_b64 s[2:3], s[0:1]
	s_xor_b64 s[0:1], exec, s[2:3]
; %bb.29:                               ;   in Loop: Header=BB94_10 Depth=1
	v_bfe_u32 v9, v12, 16, 1
	v_add3_u32 v15, v12, v9, s9
; %bb.30:                               ;   in Loop: Header=BB94_10 Depth=1
	s_andn2_saveexec_b64 s[2:3], s[0:1]
; %bb.31:                               ;   in Loop: Header=BB94_10 Depth=1
	v_or_b32_e32 v9, 0x10000, v12
	v_cmp_eq_u32_sdwa s[0:1], v12, v37 src0_sel:WORD_0 src1_sel:DWORD
	v_cndmask_b32_e64 v15, v9, v12, s[0:1]
; %bb.32:                               ;   in Loop: Header=BB94_10 Depth=1
	s_or_b64 exec, exec, s[2:3]
	v_and_b32_e32 v9, 0x7f800000, v13
	v_cmp_ne_u32_e64 s[0:1], s8, v9
                                        ; implicit-def: $vgpr12
	s_and_saveexec_b64 s[2:3], s[0:1]
	s_xor_b64 s[0:1], exec, s[2:3]
; %bb.33:                               ;   in Loop: Header=BB94_10 Depth=1
	v_bfe_u32 v9, v13, 16, 1
	v_add3_u32 v12, v13, v9, s9
                                        ; implicit-def: $vgpr13
; %bb.34:                               ;   in Loop: Header=BB94_10 Depth=1
	s_andn2_saveexec_b64 s[2:3], s[0:1]
; %bb.35:                               ;   in Loop: Header=BB94_10 Depth=1
	v_or_b32_e32 v9, 0x10000, v13
	v_cmp_eq_u32_sdwa s[0:1], v13, v37 src0_sel:WORD_0 src1_sel:DWORD
	v_cndmask_b32_e64 v12, v9, v13, s[0:1]
; %bb.36:                               ;   in Loop: Header=BB94_10 Depth=1
	s_or_b64 exec, exec, s[2:3]
	v_and_b32_e32 v9, 0x7f800000, v10
	v_cmp_ne_u32_e64 s[0:1], s8, v9
                                        ; implicit-def: $vgpr13
	s_and_saveexec_b64 s[2:3], s[0:1]
	s_xor_b64 s[0:1], exec, s[2:3]
; %bb.37:                               ;   in Loop: Header=BB94_10 Depth=1
	v_bfe_u32 v9, v10, 16, 1
	v_add3_u32 v13, v10, v9, s9
; %bb.38:                               ;   in Loop: Header=BB94_10 Depth=1
	s_andn2_saveexec_b64 s[2:3], s[0:1]
; %bb.39:                               ;   in Loop: Header=BB94_10 Depth=1
	v_or_b32_e32 v9, 0x10000, v10
	v_cmp_eq_u32_sdwa s[0:1], v10, v37 src0_sel:WORD_0 src1_sel:DWORD
	v_cndmask_b32_e64 v13, v9, v10, s[0:1]
; %bb.40:                               ;   in Loop: Header=BB94_10 Depth=1
	s_or_b64 exec, exec, s[2:3]
	v_and_b32_e32 v9, 0x7f800000, v11
	v_cmp_ne_u32_e64 s[0:1], s8, v9
                                        ; implicit-def: $vgpr10
	s_and_saveexec_b64 s[2:3], s[0:1]
	s_xor_b64 s[0:1], exec, s[2:3]
; %bb.41:                               ;   in Loop: Header=BB94_10 Depth=1
	v_bfe_u32 v9, v11, 16, 1
	v_add3_u32 v10, v11, v9, s9
                                        ; implicit-def: $vgpr11
; %bb.42:                               ;   in Loop: Header=BB94_10 Depth=1
	s_andn2_saveexec_b64 s[2:3], s[0:1]
	s_cbranch_execz .LBB94_9
; %bb.43:                               ;   in Loop: Header=BB94_10 Depth=1
	v_or_b32_e32 v9, 0x10000, v11
	v_cmp_eq_u32_sdwa s[0:1], v11, v37 src0_sel:WORD_0 src1_sel:DWORD
	v_cndmask_b32_e64 v10, v9, v11, s[0:1]
	s_branch .LBB94_9
.LBB94_44:
	s_endpgm
	.section	.rodata,"a",@progbits
	.p2align	6, 0x0
	.amdhsa_kernel _ZN12tensorrt_llm7kernels32fusedQKNormRopeKernelNTokenHeadsIN3c108BFloat16EfLi256ELb1ELi8EEEvPviiifPKvS6_S6_PKlii
		.amdhsa_group_segment_fixed_size 0
		.amdhsa_private_segment_fixed_size 0
		.amdhsa_kernarg_size 320
		.amdhsa_user_sgpr_count 6
		.amdhsa_user_sgpr_private_segment_buffer 1
		.amdhsa_user_sgpr_dispatch_ptr 0
		.amdhsa_user_sgpr_queue_ptr 0
		.amdhsa_user_sgpr_kernarg_segment_ptr 1
		.amdhsa_user_sgpr_dispatch_id 0
		.amdhsa_user_sgpr_flat_scratch_init 0
		.amdhsa_user_sgpr_kernarg_preload_length 0
		.amdhsa_user_sgpr_kernarg_preload_offset 0
		.amdhsa_user_sgpr_private_segment_size 0
		.amdhsa_uses_dynamic_stack 0
		.amdhsa_system_sgpr_private_segment_wavefront_offset 0
		.amdhsa_system_sgpr_workgroup_id_x 1
		.amdhsa_system_sgpr_workgroup_id_y 0
		.amdhsa_system_sgpr_workgroup_id_z 0
		.amdhsa_system_sgpr_workgroup_info 0
		.amdhsa_system_vgpr_workitem_id 0
		.amdhsa_next_free_vgpr 52
		.amdhsa_next_free_sgpr 24
		.amdhsa_accum_offset 52
		.amdhsa_reserve_vcc 1
		.amdhsa_reserve_flat_scratch 0
		.amdhsa_float_round_mode_32 0
		.amdhsa_float_round_mode_16_64 0
		.amdhsa_float_denorm_mode_32 3
		.amdhsa_float_denorm_mode_16_64 3
		.amdhsa_dx10_clamp 1
		.amdhsa_ieee_mode 1
		.amdhsa_fp16_overflow 0
		.amdhsa_tg_split 0
		.amdhsa_exception_fp_ieee_invalid_op 0
		.amdhsa_exception_fp_denorm_src 0
		.amdhsa_exception_fp_ieee_div_zero 0
		.amdhsa_exception_fp_ieee_overflow 0
		.amdhsa_exception_fp_ieee_underflow 0
		.amdhsa_exception_fp_ieee_inexact 0
		.amdhsa_exception_int_div_zero 0
	.end_amdhsa_kernel
	.section	.text._ZN12tensorrt_llm7kernels32fusedQKNormRopeKernelNTokenHeadsIN3c108BFloat16EfLi256ELb1ELi8EEEvPviiifPKvS6_S6_PKlii,"axG",@progbits,_ZN12tensorrt_llm7kernels32fusedQKNormRopeKernelNTokenHeadsIN3c108BFloat16EfLi256ELb1ELi8EEEvPviiifPKvS6_S6_PKlii,comdat
.Lfunc_end94:
	.size	_ZN12tensorrt_llm7kernels32fusedQKNormRopeKernelNTokenHeadsIN3c108BFloat16EfLi256ELb1ELi8EEEvPviiifPKvS6_S6_PKlii, .Lfunc_end94-_ZN12tensorrt_llm7kernels32fusedQKNormRopeKernelNTokenHeadsIN3c108BFloat16EfLi256ELb1ELi8EEEvPviiifPKvS6_S6_PKlii
                                        ; -- End function
	.section	.AMDGPU.csdata,"",@progbits
; Kernel info:
; codeLenInByte = 2320
; NumSgprs: 28
; NumVgprs: 52
; NumAgprs: 0
; TotalNumVgprs: 52
; ScratchSize: 0
; MemoryBound: 0
; FloatMode: 240
; IeeeMode: 1
; LDSByteSize: 0 bytes/workgroup (compile time only)
; SGPRBlocks: 3
; VGPRBlocks: 6
; NumSGPRsForWavesPerEU: 28
; NumVGPRsForWavesPerEU: 52
; AccumOffset: 52
; Occupancy: 8
; WaveLimiterHint : 0
; COMPUTE_PGM_RSRC2:SCRATCH_EN: 0
; COMPUTE_PGM_RSRC2:USER_SGPR: 6
; COMPUTE_PGM_RSRC2:TRAP_HANDLER: 0
; COMPUTE_PGM_RSRC2:TGID_X_EN: 1
; COMPUTE_PGM_RSRC2:TGID_Y_EN: 0
; COMPUTE_PGM_RSRC2:TGID_Z_EN: 0
; COMPUTE_PGM_RSRC2:TIDIG_COMP_CNT: 0
; COMPUTE_PGM_RSRC3_GFX90A:ACCUM_OFFSET: 12
; COMPUTE_PGM_RSRC3_GFX90A:TG_SPLIT: 0
	.section	.text._ZN12tensorrt_llm7kernels32fusedQKNormRopeKernelNTokenHeadsIN3c108BFloat16EfLi256ELb0ELi8EEEvPviiifPKvS6_S6_PKlii,"axG",@progbits,_ZN12tensorrt_llm7kernels32fusedQKNormRopeKernelNTokenHeadsIN3c108BFloat16EfLi256ELb0ELi8EEEvPviiifPKvS6_S6_PKlii,comdat
	.protected	_ZN12tensorrt_llm7kernels32fusedQKNormRopeKernelNTokenHeadsIN3c108BFloat16EfLi256ELb0ELi8EEEvPviiifPKvS6_S6_PKlii ; -- Begin function _ZN12tensorrt_llm7kernels32fusedQKNormRopeKernelNTokenHeadsIN3c108BFloat16EfLi256ELb0ELi8EEEvPviiifPKvS6_S6_PKlii
	.globl	_ZN12tensorrt_llm7kernels32fusedQKNormRopeKernelNTokenHeadsIN3c108BFloat16EfLi256ELb0ELi8EEEvPviiifPKvS6_S6_PKlii
	.p2align	8
	.type	_ZN12tensorrt_llm7kernels32fusedQKNormRopeKernelNTokenHeadsIN3c108BFloat16EfLi256ELb0ELi8EEEvPviiifPKvS6_S6_PKlii,@function
_ZN12tensorrt_llm7kernels32fusedQKNormRopeKernelNTokenHeadsIN3c108BFloat16EfLi256ELb0ELi8EEEvPviiifPKvS6_S6_PKlii: ; @_ZN12tensorrt_llm7kernels32fusedQKNormRopeKernelNTokenHeadsIN3c108BFloat16EfLi256ELb0ELi8EEEvPviiifPKvS6_S6_PKlii
; %bb.0:
	s_load_dwordx4 s[12:15], s[4:5], 0x8
	s_load_dwordx2 s[2:3], s[4:5], 0x38
	s_load_dword s1, s[4:5], 0x4c
	v_lshrrev_b32_e32 v1, 5, v0
	s_waitcnt lgkmcnt(0)
	s_add_i32 s0, s13, s12
	s_add_i32 s7, s0, 7
	s_ashr_i32 s8, s7, 31
	s_lshr_b32 s8, s8, 29
	s_add_i32 s7, s7, s8
	s_ashr_i32 s20, s7, 3
	s_abs_i32 s7, s20
	v_cvt_f32_u32_e32 v2, s7
	s_bfe_u32 s1, s1, 0xb0005
	s_mul_i32 s6, s6, s1
	v_add_u32_e32 v3, s6, v1
	v_rcp_iflag_f32_e32 v2, v2
	s_sub_i32 s6, 0, s7
	v_sub_u32_e32 v4, 0, v3
	v_max_i32_e32 v4, v3, v4
	v_mul_f32_e32 v2, 0x4f7ffffe, v2
	v_cvt_u32_f32_e32 v2, v2
	v_xor_b32_e32 v5, s20, v3
	v_ashrrev_i32_e32 v5, 31, v5
	v_mul_lo_u32 v6, s6, v2
	v_mul_hi_u32 v6, v2, v6
	v_add_u32_e32 v2, v2, v6
	v_mul_hi_u32 v2, v4, v2
	v_mul_lo_u32 v6, v2, s7
	v_sub_u32_e32 v4, v4, v6
	v_add_u32_e32 v6, 1, v2
	v_cmp_le_u32_e32 vcc, s7, v4
	v_cndmask_b32_e32 v2, v2, v6, vcc
	v_subrev_u32_e32 v6, s7, v4
	v_cndmask_b32_e32 v4, v4, v6, vcc
	v_add_u32_e32 v6, 1, v2
	v_cmp_le_u32_e32 vcc, s7, v4
	v_cndmask_b32_e32 v2, v2, v6, vcc
	v_xor_b32_e32 v2, v2, v5
	v_sub_u32_e32 v2, v2, v5
	v_cmp_gt_i32_e32 vcc, s2, v2
	s_and_saveexec_b64 s[6:7], vcc
	s_cbranch_execz .LBB95_44
; %bb.1:
	v_mul_lo_u32 v4, v2, s20
	v_sub_u32_e32 v4, v3, v4
	s_load_dwordx2 s[16:17], s[4:5], 0x0
	v_lshlrev_b32_e32 v18, 3, v4
	v_add_u32_e32 v4, 8, v18
	v_sub_u32_e32 v5, s0, v18
	v_cmp_lt_i32_e32 vcc, s0, v4
	v_and_b32_e32 v6, 31, v0
	v_cndmask_b32_e32 v19, 8, v5, vcc
	s_lshl_b32 s2, s3, 2
	s_mul_i32 s21, s2, s1
	v_lshlrev_b32_e32 v7, 12, v1
	v_cmp_lt_i32_e64 s[0:1], 0, v19
	v_lshlrev_b32_e32 v17, 4, v6
	v_lshlrev_b32_e32 v16, 11, v3
	s_and_saveexec_b64 s[6:7], s[0:1]
	s_cbranch_execz .LBB95_4
; %bb.2:
	s_add_i32 s8, s21, 0
	v_add3_u32 v3, s8, v7, v17
	s_add_i32 s8, s14, s13
	s_add_i32 s8, s8, s12
	s_lshl_b32 s9, s20, 3
	s_sub_i32 s8, s8, s9
	v_mul_lo_u32 v4, s8, v2
	v_lshl_add_u32 v4, v4, 8, v16
	s_mov_b32 s10, 0
	v_lshl_or_b32 v4, v6, 3, v4
	s_mov_b64 s[8:9], 0
	s_waitcnt lgkmcnt(0)
	v_mov_b32_e32 v8, s17
.LBB95_3:                               ; =>This Inner Loop Header: Depth=1
	v_ashrrev_i32_e32 v5, 31, v4
	v_lshlrev_b64 v[10:11], 1, v[4:5]
	v_add_co_u32_e32 v10, vcc, s16, v10
	v_addc_co_u32_e32 v11, vcc, v8, v11, vcc
	global_load_dwordx4 v[10:13], v[10:11], off
	s_add_i32 s10, s10, 1
	v_cmp_ge_i32_e32 vcc, s10, v19
	v_add_u32_e32 v4, 0x100, v4
	s_or_b64 s[8:9], vcc, s[8:9]
	s_waitcnt vmcnt(0)
	ds_write_b128 v3, v[10:13]
	v_add_u32_e32 v3, 0x200, v3
	s_andn2_b64 exec, exec, s[8:9]
	s_cbranch_execnz .LBB95_3
.LBB95_4:
	s_or_b64 exec, exec, s[6:7]
	s_add_i32 s2, s2, 15
	s_load_dwordx8 s[4:11], s[4:5], 0x18
	s_ashr_i32 s18, s2, 31
	s_lshr_b32 s18, s18, 28
	s_add_i32 s2, s2, s18
	s_ashr_i32 s2, s2, 4
	v_cmp_gt_i32_e32 vcc, s2, v6
	v_mul_lo_u32 v4, v1, s3
	s_and_saveexec_b64 s[18:19], vcc
	s_cbranch_execz .LBB95_7
; %bb.5:
	v_ashrrev_i32_e32 v3, 31, v2
	v_lshlrev_b64 v[8:9], 3, v[2:3]
	s_waitcnt lgkmcnt(0)
	v_mov_b32_e32 v1, s11
	v_add_co_u32_e32 v8, vcc, s10, v8
	v_addc_co_u32_e32 v9, vcc, v1, v9, vcc
	global_load_dwordx2 v[8:9], v[8:9], off
	s_ashr_i32 s22, s3, 31
	v_lshlrev_b32_e32 v1, 2, v4
	v_and_b32_e32 v0, 31, v0
	v_add3_u32 v3, v1, v17, 0
	v_lshlrev_b32_e32 v10, 4, v0
	v_mov_b32_e32 v5, s9
	s_mov_b64 s[10:11], 0
	s_waitcnt vmcnt(0)
	v_mul_lo_u32 v9, v9, s3
	v_mul_lo_u32 v11, v8, s22
	v_mad_u64_u32 v[0:1], s[22:23], v8, s3, 0
	v_add3_u32 v1, v1, v11, v9
	v_lshlrev_b64 v[0:1], 2, v[0:1]
	v_add_co_u32_e32 v0, vcc, v0, v10
	v_addc_co_u32_e32 v1, vcc, 0, v1, vcc
	v_add_co_u32_e32 v0, vcc, s8, v0
	v_addc_co_u32_e32 v1, vcc, v5, v1, vcc
	v_mov_b32_e32 v5, v6
.LBB95_6:                               ; =>This Inner Loop Header: Depth=1
	global_load_dwordx4 v[8:11], v[0:1], off
	v_add_co_u32_e32 v0, vcc, 0x200, v0
	v_add_u32_e32 v5, 32, v5
	v_addc_co_u32_e32 v1, vcc, 0, v1, vcc
	v_cmp_le_i32_e32 vcc, s2, v5
	s_or_b64 s[10:11], vcc, s[10:11]
	s_waitcnt vmcnt(0)
	ds_write_b128 v3, v[8:11]
	v_add_u32_e32 v3, 0x200, v3
	s_andn2_b64 exec, exec, s[10:11]
	s_cbranch_execnz .LBB95_6
.LBB95_7:
	s_or_b64 exec, exec, s[18:19]
	s_and_b64 exec, exec, s[0:1]
	s_cbranch_execz .LBB95_44
; %bb.8:
	s_waitcnt lgkmcnt(0)
	global_load_dwordx4 v[8:11], v17, s[4:5]
	global_load_dwordx4 v[12:15], v17, s[6:7]
	v_mbcnt_lo_u32_b32 v1, -1, 0
	s_abs_i32 s4, s3
	v_mbcnt_hi_u32_b32 v1, -1, v1
	v_cvt_f32_u32_e32 v22, s4
	v_and_b32_e32 v20, 0x60, v1
	v_xor_b32_e32 v21, 16, v1
	v_add_u32_e32 v20, 32, v20
	v_xor_b32_e32 v23, 8, v1
	v_cmp_lt_i32_e32 vcc, v21, v20
	v_xor_b32_e32 v24, 4, v1
	v_cndmask_b32_e32 v21, v1, v21, vcc
	v_cmp_lt_i32_e32 vcc, v23, v20
	v_rcp_iflag_f32_e32 v29, v22
	v_xor_b32_e32 v25, 2, v1
	v_cndmask_b32_e32 v23, v1, v23, vcc
	v_cmp_lt_i32_e32 vcc, v24, v20
	s_ashr_i32 s1, s3, 31
	v_xor_b32_e32 v26, 1, v1
	v_cndmask_b32_e32 v24, v1, v24, vcc
	v_cmp_lt_i32_e32 vcc, v25, v20
	s_lshr_b32 s2, s1, 29
	s_lshr_b32 s1, s1, 28
	v_cndmask_b32_e32 v25, v1, v25, vcc
	v_cmp_lt_i32_e32 vcc, v26, v20
	s_add_i32 s1, s3, s1
	v_cndmask_b32_e32 v26, v1, v26, vcc
	v_lshlrev_b32_e32 v20, 2, v21
	v_lshlrev_b32_e32 v21, 2, v23
	;; [unrolled: 1-line block ×3, first 2 shown]
	v_mul_f32_e32 v25, 0x4f7ffffe, v29
	s_add_i32 s2, s3, s2
	v_and_b32_e32 v27, 64, v1
	s_ashr_i32 s1, s1, 4
	v_lshlrev_b32_e32 v22, 2, v24
	v_lshlrev_b32_e32 v24, 2, v26
	v_cvt_u32_f32_e32 v26, v25
	s_lshr_b32 s0, s3, 31
	s_ashr_i32 s2, s2, 3
	v_add_u32_e32 v27, 64, v27
	v_xor_b32_e32 v28, s1, v1
	s_add_i32 s0, s3, s0
	v_cmp_gt_i32_e32 vcc, s2, v6
	v_cmp_lt_i32_e64 s[2:3], v28, v27
	s_sub_i32 s5, 0, s4
	v_cndmask_b32_e64 v1, v1, v28, s[2:3]
	v_lshlrev_b32_e32 v25, 2, v1
	v_mul_lo_u32 v1, s5, v26
	v_mul_hi_u32 v1, v26, v1
	v_add_u32_e32 v1, v26, v1
	v_mul_hi_u32 v26, v17, v1
	v_mul_lo_u32 v26, v26, s4
	v_or_b32_e32 v3, 2, v17
	v_sub_u32_e32 v26, v17, v26
	v_subrev_u32_e32 v27, s4, v26
	v_cmp_le_u32_e64 s[2:3], s4, v26
	v_mul_hi_u32 v36, v3, v1
	v_cndmask_b32_e64 v26, v26, v27, s[2:3]
	v_mul_lo_u32 v36, v36, s4
	v_subrev_u32_e32 v27, s4, v26
	v_cmp_le_u32_e64 s[2:3], s4, v26
	v_sub_u32_e32 v3, v3, v36
	v_cndmask_b32_e64 v34, v26, v27, s[2:3]
	v_subrev_u32_e32 v36, s4, v3
	v_cmp_le_u32_e64 s[2:3], s4, v3
	v_cndmask_b32_e64 v3, v3, v36, s[2:3]
	v_subrev_u32_e32 v36, s4, v3
	v_cmp_le_u32_e64 s[2:3], s4, v3
	s_lshl_b32 s0, s0, 1
	v_cndmask_b32_e64 v3, v3, v36, s[2:3]
	v_lshl_add_u32 v0, v4, 2, 0
	s_and_b32 s0, s0, -4
	v_lshlrev_b32_e32 v3, 1, v3
	v_or_b32_e32 v4, 4, v17
	v_add_u32_e32 v49, s0, v0
	v_and_b32_e32 v3, -4, v3
	v_add_u32_e32 v36, v0, v3
	v_add_u32_e32 v37, v49, v3
	v_mul_hi_u32 v3, v4, v1
	v_mul_lo_u32 v3, v3, s4
	v_sub_u32_e32 v3, v4, v3
	v_subrev_u32_e32 v4, s4, v3
	v_cmp_le_u32_e64 s[2:3], s4, v3
	v_cndmask_b32_e64 v3, v3, v4, s[2:3]
	v_subrev_u32_e32 v4, s4, v3
	v_cmp_le_u32_e64 s[2:3], s4, v3
	v_cndmask_b32_e64 v3, v3, v4, s[2:3]
	v_lshlrev_b32_e32 v3, 1, v3
	v_or_b32_e32 v5, 6, v17
	v_and_b32_e32 v3, -4, v3
	v_add_u32_e32 v38, v0, v3
	v_add_u32_e32 v39, v49, v3
	v_mul_hi_u32 v3, v5, v1
	v_mul_lo_u32 v3, v3, s4
	v_sub_u32_e32 v3, v5, v3
	v_subrev_u32_e32 v4, s4, v3
	v_cmp_le_u32_e64 s[2:3], s4, v3
	v_cndmask_b32_e64 v3, v3, v4, s[2:3]
	v_subrev_u32_e32 v4, s4, v3
	v_cmp_le_u32_e64 s[2:3], s4, v3
	v_cndmask_b32_e64 v3, v3, v4, s[2:3]
	v_lshlrev_b32_e32 v3, 1, v3
	v_or_b32_e32 v42, 8, v17
	;; [unrolled: 14-line block ×4, first 2 shown]
	v_and_b32_e32 v3, -4, v3
	v_add_u32_e32 v44, v0, v3
	v_add_u32_e32 v45, v49, v3
	v_mul_hi_u32 v3, v46, v1
	v_mul_lo_u32 v3, v3, s4
	v_sub_u32_e32 v3, v46, v3
	v_subrev_u32_e32 v4, s4, v3
	v_cmp_le_u32_e64 s[2:3], s4, v3
	v_cndmask_b32_e64 v3, v3, v4, s[2:3]
	v_or_b32_e32 v48, 14, v17
	v_subrev_u32_e32 v4, s4, v3
	v_cmp_le_u32_e64 s[2:3], s4, v3
	v_cndmask_b32_e64 v3, v3, v4, s[2:3]
	v_mul_hi_u32 v1, v48, v1
	v_lshlrev_b32_e32 v3, 1, v3
	v_mul_lo_u32 v1, v1, s4
	v_and_b32_e32 v3, -4, v3
	v_sub_u32_e32 v1, v48, v1
	v_add_u32_e32 v46, v0, v3
	v_add_u32_e32 v47, v49, v3
	v_subrev_u32_e32 v3, s4, v1
	v_cmp_le_u32_e64 s[2:3], s4, v1
	v_cndmask_b32_e64 v1, v1, v3, s[2:3]
	v_subrev_u32_e32 v3, s4, v1
	v_cmp_le_u32_e64 s[2:3], s4, v1
	v_cndmask_b32_e64 v1, v1, v3, s[2:3]
	s_add_i32 s2, s14, s13
	v_lshlrev_b32_e32 v34, 1, v34
	v_lshlrev_b32_e32 v1, 1, v1
	s_add_i32 s2, s2, s12
	s_lshl_b32 s3, s20, 3
	v_and_b32_e32 v35, -4, v34
	v_and_b32_e32 v1, -4, v1
	s_sub_i32 s2, s2, s3
	v_add_u32_e32 v34, v0, v35
	v_add_u32_e32 v48, v0, v1
	v_mul_lo_u32 v0, s2, v2
	v_lshl_add_u32 v0, v0, 8, v16
	v_lshl_or_b32 v16, v6, 3, v0
	v_add_u32_e32 v0, s21, v7
	s_mov_b32 s8, 0
	v_cmp_gt_i32_e64 s[0:1], s1, v6
	s_waitcnt vmcnt(1)
	v_lshrrev_b32_e32 v26, 16, v8
	v_lshrrev_b32_e32 v27, 16, v9
	;; [unrolled: 1-line block ×4, first 2 shown]
	s_waitcnt vmcnt(0)
	v_lshrrev_b32_e32 v30, 16, v12
	v_lshrrev_b32_e32 v31, 16, v13
	;; [unrolled: 1-line block ×4, first 2 shown]
	v_add_u32_e32 v35, v49, v35
	v_add_u32_e32 v49, v49, v1
	v_add3_u32 v50, v0, v17, 0
	s_mov_b64 s[6:7], 0
	s_mov_b32 s9, 0x800000
	s_mov_b32 s10, 0x7f800000
	s_movk_i32 s11, 0x7fff
	s_mov_b32 s13, 0x7060302
	v_mov_b32_e32 v51, 0
	s_branch .LBB95_10
.LBB95_9:                               ;   in Loop: Header=BB95_10 Depth=1
	s_or_b64 exec, exec, s[4:5]
	v_ashrrev_i32_e32 v17, 31, v16
	v_lshlrev_b64 v[0:1], 1, v[16:17]
	v_mov_b32_e32 v2, s17
	v_add_co_u32_e64 v4, s[2:3], s16, v0
	v_addc_co_u32_e64 v5, s[2:3], v2, v1, s[2:3]
	s_add_i32 s8, s8, 1
	v_cmp_ge_i32_e64 s[2:3], s8, v19
	v_perm_b32 v3, v59, v58, s13
	v_perm_b32 v2, v57, v56, s13
	;; [unrolled: 1-line block ×4, first 2 shown]
	v_add_u32_e32 v16, 0x100, v16
	s_or_b64 s[6:7], s[2:3], s[6:7]
	v_add_u32_e32 v50, 0x200, v50
	global_store_dwordx4 v[4:5], v[0:3], off
	s_andn2_b64 exec, exec, s[6:7]
	s_cbranch_execz .LBB95_44
.LBB95_10:                              ; =>This Inner Loop Header: Depth=1
	ds_read_b128 v[0:3], v50
	s_waitcnt lgkmcnt(0)
	v_and_b32_e32 v54, 0xffff0000, v0
	v_lshlrev_b32_e32 v17, 16, v0
	v_and_b32_e32 v5, 0xffff0000, v1
	v_lshlrev_b32_e32 v4, 16, v1
	v_mul_f32_e32 v6, v54, v54
	v_pk_mul_f32 v[0:1], v[4:5], v[4:5]
	v_fmac_f32_e32 v6, v17, v17
	v_add_f32_e32 v0, v6, v0
	v_and_b32_e32 v7, 0xffff0000, v2
	v_lshlrev_b32_e32 v6, 16, v2
	v_add_f32_e32 v52, v0, v1
	v_pk_mul_f32 v[0:1], v[6:7], v[6:7]
	v_add_f32_e32 v0, v52, v0
	v_and_b32_e32 v53, 0xffff0000, v3
	v_lshlrev_b32_e32 v52, 16, v3
	v_add_f32_e32 v2, v0, v1
	v_pk_mul_f32 v[0:1], v[52:53], v[52:53]
	v_add_f32_e32 v0, v2, v0
	v_add_f32_e32 v0, v0, v1
	ds_bpermute_b32 v1, v20, v0
	v_mov_b32_e32 v3, s15
	v_add_u32_e32 v2, s8, v18
	v_cmp_gt_i32_e64 s[2:3], s12, v2
	v_cndmask_b32_e64 v56, v13, v9, s[2:3]
	s_waitcnt lgkmcnt(0)
	v_add_f32_e32 v0, v0, v1
	ds_bpermute_b32 v1, v21, v0
	v_cndmask_b32_e64 v2, v12, v8, s[2:3]
	v_cndmask_b32_e64 v55, v30, v26, s[2:3]
	;; [unrolled: 1-line block ×3, first 2 shown]
	v_lshlrev_b32_e32 v2, 16, v2
	s_waitcnt lgkmcnt(0)
	v_add_f32_e32 v0, v0, v1
	ds_bpermute_b32 v1, v22, v0
	s_waitcnt lgkmcnt(0)
	v_add_f32_e32 v0, v0, v1
	ds_bpermute_b32 v1, v23, v0
	s_waitcnt lgkmcnt(0)
	v_add_f32_e32 v0, v0, v1
	ds_bpermute_b32 v1, v24, v0
	s_waitcnt lgkmcnt(0)
	v_add_f32_e32 v0, v0, v1
	v_fmac_f32_e32 v3, 0x3b800000, v0
	v_mul_f32_e32 v0, 0x4b800000, v3
	v_cmp_gt_f32_e64 s[4:5], s9, v3
	v_cndmask_b32_e64 v0, v3, v0, s[4:5]
	v_rsq_f32_e32 v0, v0
	v_lshlrev_b32_e32 v3, 16, v56
	v_lshlrev_b32_e32 v1, 16, v55
	;; [unrolled: 1-line block ×3, first 2 shown]
	v_mul_f32_e32 v56, 0x45800000, v0
	v_cndmask_b32_e64 v56, v0, v56, s[4:5]
	v_mul_f32_e32 v0, v56, v2
	v_mul_f32_e32 v2, v56, v3
	;; [unrolled: 1-line block ×5, first 2 shown]
	v_cndmask_b32_e64 v4, v14, v10, s[2:3]
	v_cndmask_b32_e64 v5, v32, v28, s[2:3]
	v_lshlrev_b32_e32 v4, 16, v4
	v_lshlrev_b32_e32 v5, 16, v5
	v_mul_f32_e32 v4, v56, v4
	v_mul_f32_e32 v5, v56, v5
	;; [unrolled: 1-line block ×4, first 2 shown]
	v_cndmask_b32_e64 v6, v15, v11, s[2:3]
	v_cndmask_b32_e64 v7, v33, v29, s[2:3]
	v_lshlrev_b32_e32 v6, 16, v6
	v_lshlrev_b32_e32 v7, 16, v7
	v_mul_f32_e32 v1, v56, v1
	v_mul_f32_e32 v6, v56, v6
	;; [unrolled: 1-line block ×7, first 2 shown]
	s_and_saveexec_b64 s[2:3], vcc
	s_cbranch_execz .LBB95_12
; %bb.11:                               ;   in Loop: Header=BB95_10 Depth=1
	ds_bpermute_b32 v17, v25, v0
	ds_bpermute_b32 v53, v25, v1
	; wave barrier
	ds_read_b32 v54, v34
	ds_read_b32 v52, v35
	ds_read_b32 v55, v36
	ds_read_b32 v56, v37
	ds_read_b32 v57, v38
	ds_read_b32 v58, v39
	ds_read_b32 v59, v40
	ds_read_b32 v60, v41
	s_waitcnt lgkmcnt(9)
	v_cndmask_b32_e64 v17, v17, -v17, s[0:1]
	s_waitcnt lgkmcnt(6)
	v_mul_f32_e32 v52, v17, v52
	v_cndmask_b32_e64 v17, v53, -v53, s[0:1]
	v_fmac_f32_e32 v52, v0, v54
	ds_bpermute_b32 v0, v25, v2
	s_waitcnt lgkmcnt(5)
	v_mul_f32_e32 v53, v17, v56
	v_fmac_f32_e32 v53, v1, v55
	ds_bpermute_b32 v1, v25, v3
	s_waitcnt lgkmcnt(1)
	v_cndmask_b32_e64 v0, v0, -v0, s[0:1]
	v_mul_f32_e32 v54, v0, v58
	ds_bpermute_b32 v0, v25, v4
	s_waitcnt lgkmcnt(1)
	v_cndmask_b32_e64 v1, v1, -v1, s[0:1]
	v_mul_f32_e32 v55, v1, v60
	ds_bpermute_b32 v1, v25, v5
	v_fmac_f32_e32 v54, v2, v57
	s_waitcnt lgkmcnt(1)
	v_cndmask_b32_e64 v0, v0, -v0, s[0:1]
	v_fmac_f32_e32 v55, v3, v59
	ds_read_b32 v2, v42
	ds_read_b32 v3, v43
	;; [unrolled: 1-line block ×8, first 2 shown]
	s_waitcnt lgkmcnt(6)
	v_mul_f32_e32 v56, v0, v3
	ds_bpermute_b32 v0, v25, v6
	v_cndmask_b32_e64 v1, v1, -v1, s[0:1]
	s_waitcnt lgkmcnt(5)
	v_mul_f32_e32 v57, v1, v57
	ds_bpermute_b32 v1, v25, v7
	v_fmac_f32_e32 v56, v4, v2
	s_waitcnt lgkmcnt(1)
	v_cndmask_b32_e64 v0, v0, -v0, s[0:1]
	v_mul_f32_e32 v58, v0, v58
	v_fmac_f32_e32 v58, v6, v59
	s_waitcnt lgkmcnt(0)
	v_cndmask_b32_e64 v0, v1, -v1, s[0:1]
	v_mul_f32_e32 v59, v0, v61
	v_fmac_f32_e32 v57, v5, v17
	v_fmac_f32_e32 v59, v7, v60
	v_pk_mov_b32 v[0:1], v[52:53], v[52:53] op_sel:[0,1]
	v_pk_mov_b32 v[2:3], v[54:55], v[54:55] op_sel:[0,1]
	;; [unrolled: 1-line block ×4, first 2 shown]
	; wave barrier
.LBB95_12:                              ;   in Loop: Header=BB95_10 Depth=1
	s_or_b64 exec, exec, s[2:3]
	v_and_b32_e32 v17, 0x7f800000, v0
	v_cmp_ne_u32_e64 s[2:3], s10, v17
                                        ; implicit-def: $vgpr52
	s_and_saveexec_b64 s[4:5], s[2:3]
	s_xor_b64 s[2:3], exec, s[4:5]
; %bb.13:                               ;   in Loop: Header=BB95_10 Depth=1
	v_bfe_u32 v17, v0, 16, 1
	v_add3_u32 v52, v0, v17, s11
; %bb.14:                               ;   in Loop: Header=BB95_10 Depth=1
	s_andn2_saveexec_b64 s[4:5], s[2:3]
; %bb.15:                               ;   in Loop: Header=BB95_10 Depth=1
	v_or_b32_e32 v17, 0x10000, v0
	v_cmp_eq_u32_sdwa s[2:3], v0, v51 src0_sel:WORD_0 src1_sel:DWORD
	v_cndmask_b32_e64 v52, v17, v0, s[2:3]
; %bb.16:                               ;   in Loop: Header=BB95_10 Depth=1
	s_or_b64 exec, exec, s[4:5]
	v_and_b32_e32 v0, 0x7f800000, v1
	v_cmp_ne_u32_e64 s[2:3], s10, v0
                                        ; implicit-def: $vgpr53
	s_and_saveexec_b64 s[4:5], s[2:3]
	s_xor_b64 s[2:3], exec, s[4:5]
; %bb.17:                               ;   in Loop: Header=BB95_10 Depth=1
	v_bfe_u32 v0, v1, 16, 1
	v_add3_u32 v53, v1, v0, s11
; %bb.18:                               ;   in Loop: Header=BB95_10 Depth=1
	s_andn2_saveexec_b64 s[4:5], s[2:3]
; %bb.19:                               ;   in Loop: Header=BB95_10 Depth=1
	v_or_b32_e32 v0, 0x10000, v1
	v_cmp_eq_u32_sdwa s[2:3], v1, v51 src0_sel:WORD_0 src1_sel:DWORD
	v_cndmask_b32_e64 v53, v0, v1, s[2:3]
; %bb.20:                               ;   in Loop: Header=BB95_10 Depth=1
	s_or_b64 exec, exec, s[4:5]
	v_and_b32_e32 v0, 0x7f800000, v2
	v_cmp_ne_u32_e64 s[2:3], s10, v0
                                        ; implicit-def: $vgpr54
	s_and_saveexec_b64 s[4:5], s[2:3]
	s_xor_b64 s[2:3], exec, s[4:5]
; %bb.21:                               ;   in Loop: Header=BB95_10 Depth=1
	v_bfe_u32 v0, v2, 16, 1
	v_add3_u32 v54, v2, v0, s11
; %bb.22:                               ;   in Loop: Header=BB95_10 Depth=1
	s_andn2_saveexec_b64 s[4:5], s[2:3]
; %bb.23:                               ;   in Loop: Header=BB95_10 Depth=1
	v_or_b32_e32 v0, 0x10000, v2
	v_cmp_eq_u32_sdwa s[2:3], v2, v51 src0_sel:WORD_0 src1_sel:DWORD
	v_cndmask_b32_e64 v54, v0, v2, s[2:3]
; %bb.24:                               ;   in Loop: Header=BB95_10 Depth=1
	s_or_b64 exec, exec, s[4:5]
	v_and_b32_e32 v0, 0x7f800000, v3
	v_cmp_ne_u32_e64 s[2:3], s10, v0
                                        ; implicit-def: $vgpr55
	s_and_saveexec_b64 s[4:5], s[2:3]
	s_xor_b64 s[2:3], exec, s[4:5]
; %bb.25:                               ;   in Loop: Header=BB95_10 Depth=1
	v_bfe_u32 v0, v3, 16, 1
	v_add3_u32 v55, v3, v0, s11
; %bb.26:                               ;   in Loop: Header=BB95_10 Depth=1
	s_andn2_saveexec_b64 s[4:5], s[2:3]
; %bb.27:                               ;   in Loop: Header=BB95_10 Depth=1
	v_or_b32_e32 v0, 0x10000, v3
	v_cmp_eq_u32_sdwa s[2:3], v3, v51 src0_sel:WORD_0 src1_sel:DWORD
	v_cndmask_b32_e64 v55, v0, v3, s[2:3]
; %bb.28:                               ;   in Loop: Header=BB95_10 Depth=1
	s_or_b64 exec, exec, s[4:5]
	v_and_b32_e32 v0, 0x7f800000, v4
	v_cmp_ne_u32_e64 s[2:3], s10, v0
                                        ; implicit-def: $vgpr56
	s_and_saveexec_b64 s[4:5], s[2:3]
	s_xor_b64 s[2:3], exec, s[4:5]
; %bb.29:                               ;   in Loop: Header=BB95_10 Depth=1
	v_bfe_u32 v0, v4, 16, 1
	v_add3_u32 v56, v4, v0, s11
; %bb.30:                               ;   in Loop: Header=BB95_10 Depth=1
	s_andn2_saveexec_b64 s[4:5], s[2:3]
; %bb.31:                               ;   in Loop: Header=BB95_10 Depth=1
	v_or_b32_e32 v0, 0x10000, v4
	v_cmp_eq_u32_sdwa s[2:3], v4, v51 src0_sel:WORD_0 src1_sel:DWORD
	v_cndmask_b32_e64 v56, v0, v4, s[2:3]
; %bb.32:                               ;   in Loop: Header=BB95_10 Depth=1
	s_or_b64 exec, exec, s[4:5]
	v_and_b32_e32 v0, 0x7f800000, v5
	v_cmp_ne_u32_e64 s[2:3], s10, v0
                                        ; implicit-def: $vgpr57
	s_and_saveexec_b64 s[4:5], s[2:3]
	s_xor_b64 s[2:3], exec, s[4:5]
; %bb.33:                               ;   in Loop: Header=BB95_10 Depth=1
	v_bfe_u32 v0, v5, 16, 1
	v_add3_u32 v57, v5, v0, s11
; %bb.34:                               ;   in Loop: Header=BB95_10 Depth=1
	s_andn2_saveexec_b64 s[4:5], s[2:3]
; %bb.35:                               ;   in Loop: Header=BB95_10 Depth=1
	v_or_b32_e32 v0, 0x10000, v5
	v_cmp_eq_u32_sdwa s[2:3], v5, v51 src0_sel:WORD_0 src1_sel:DWORD
	v_cndmask_b32_e64 v57, v0, v5, s[2:3]
; %bb.36:                               ;   in Loop: Header=BB95_10 Depth=1
	s_or_b64 exec, exec, s[4:5]
	v_and_b32_e32 v0, 0x7f800000, v6
	v_cmp_ne_u32_e64 s[2:3], s10, v0
                                        ; implicit-def: $vgpr58
	s_and_saveexec_b64 s[4:5], s[2:3]
	s_xor_b64 s[2:3], exec, s[4:5]
; %bb.37:                               ;   in Loop: Header=BB95_10 Depth=1
	v_bfe_u32 v0, v6, 16, 1
	v_add3_u32 v58, v6, v0, s11
; %bb.38:                               ;   in Loop: Header=BB95_10 Depth=1
	s_andn2_saveexec_b64 s[4:5], s[2:3]
; %bb.39:                               ;   in Loop: Header=BB95_10 Depth=1
	v_or_b32_e32 v0, 0x10000, v6
	v_cmp_eq_u32_sdwa s[2:3], v6, v51 src0_sel:WORD_0 src1_sel:DWORD
	v_cndmask_b32_e64 v58, v0, v6, s[2:3]
; %bb.40:                               ;   in Loop: Header=BB95_10 Depth=1
	s_or_b64 exec, exec, s[4:5]
	v_and_b32_e32 v0, 0x7f800000, v7
	v_cmp_ne_u32_e64 s[2:3], s10, v0
                                        ; implicit-def: $vgpr59
	s_and_saveexec_b64 s[4:5], s[2:3]
	s_xor_b64 s[2:3], exec, s[4:5]
; %bb.41:                               ;   in Loop: Header=BB95_10 Depth=1
	v_bfe_u32 v0, v7, 16, 1
	v_add3_u32 v59, v7, v0, s11
                                        ; implicit-def: $vgpr0_vgpr1_vgpr2_vgpr3_vgpr4_vgpr5_vgpr6_vgpr7
; %bb.42:                               ;   in Loop: Header=BB95_10 Depth=1
	s_andn2_saveexec_b64 s[4:5], s[2:3]
	s_cbranch_execz .LBB95_9
; %bb.43:                               ;   in Loop: Header=BB95_10 Depth=1
	v_or_b32_e32 v0, 0x10000, v7
	v_cmp_eq_u32_sdwa s[2:3], v7, v51 src0_sel:WORD_0 src1_sel:DWORD
	v_cndmask_b32_e64 v59, v0, v7, s[2:3]
	s_branch .LBB95_9
.LBB95_44:
	s_endpgm
	.section	.rodata,"a",@progbits
	.p2align	6, 0x0
	.amdhsa_kernel _ZN12tensorrt_llm7kernels32fusedQKNormRopeKernelNTokenHeadsIN3c108BFloat16EfLi256ELb0ELi8EEEvPviiifPKvS6_S6_PKlii
		.amdhsa_group_segment_fixed_size 0
		.amdhsa_private_segment_fixed_size 0
		.amdhsa_kernarg_size 320
		.amdhsa_user_sgpr_count 6
		.amdhsa_user_sgpr_private_segment_buffer 1
		.amdhsa_user_sgpr_dispatch_ptr 0
		.amdhsa_user_sgpr_queue_ptr 0
		.amdhsa_user_sgpr_kernarg_segment_ptr 1
		.amdhsa_user_sgpr_dispatch_id 0
		.amdhsa_user_sgpr_flat_scratch_init 0
		.amdhsa_user_sgpr_kernarg_preload_length 0
		.amdhsa_user_sgpr_kernarg_preload_offset 0
		.amdhsa_user_sgpr_private_segment_size 0
		.amdhsa_uses_dynamic_stack 0
		.amdhsa_system_sgpr_private_segment_wavefront_offset 0
		.amdhsa_system_sgpr_workgroup_id_x 1
		.amdhsa_system_sgpr_workgroup_id_y 0
		.amdhsa_system_sgpr_workgroup_id_z 0
		.amdhsa_system_sgpr_workgroup_info 0
		.amdhsa_system_vgpr_workitem_id 0
		.amdhsa_next_free_vgpr 62
		.amdhsa_next_free_sgpr 24
		.amdhsa_accum_offset 64
		.amdhsa_reserve_vcc 1
		.amdhsa_reserve_flat_scratch 0
		.amdhsa_float_round_mode_32 0
		.amdhsa_float_round_mode_16_64 0
		.amdhsa_float_denorm_mode_32 3
		.amdhsa_float_denorm_mode_16_64 3
		.amdhsa_dx10_clamp 1
		.amdhsa_ieee_mode 1
		.amdhsa_fp16_overflow 0
		.amdhsa_tg_split 0
		.amdhsa_exception_fp_ieee_invalid_op 0
		.amdhsa_exception_fp_denorm_src 0
		.amdhsa_exception_fp_ieee_div_zero 0
		.amdhsa_exception_fp_ieee_overflow 0
		.amdhsa_exception_fp_ieee_underflow 0
		.amdhsa_exception_fp_ieee_inexact 0
		.amdhsa_exception_int_div_zero 0
	.end_amdhsa_kernel
	.section	.text._ZN12tensorrt_llm7kernels32fusedQKNormRopeKernelNTokenHeadsIN3c108BFloat16EfLi256ELb0ELi8EEEvPviiifPKvS6_S6_PKlii,"axG",@progbits,_ZN12tensorrt_llm7kernels32fusedQKNormRopeKernelNTokenHeadsIN3c108BFloat16EfLi256ELb0ELi8EEEvPviiifPKvS6_S6_PKlii,comdat
.Lfunc_end95:
	.size	_ZN12tensorrt_llm7kernels32fusedQKNormRopeKernelNTokenHeadsIN3c108BFloat16EfLi256ELb0ELi8EEEvPviiifPKvS6_S6_PKlii, .Lfunc_end95-_ZN12tensorrt_llm7kernels32fusedQKNormRopeKernelNTokenHeadsIN3c108BFloat16EfLi256ELb0ELi8EEEvPviiifPKvS6_S6_PKlii
                                        ; -- End function
	.section	.AMDGPU.csdata,"",@progbits
; Kernel info:
; codeLenInByte = 3264
; NumSgprs: 28
; NumVgprs: 62
; NumAgprs: 0
; TotalNumVgprs: 62
; ScratchSize: 0
; MemoryBound: 0
; FloatMode: 240
; IeeeMode: 1
; LDSByteSize: 0 bytes/workgroup (compile time only)
; SGPRBlocks: 3
; VGPRBlocks: 7
; NumSGPRsForWavesPerEU: 28
; NumVGPRsForWavesPerEU: 62
; AccumOffset: 64
; Occupancy: 8
; WaveLimiterHint : 0
; COMPUTE_PGM_RSRC2:SCRATCH_EN: 0
; COMPUTE_PGM_RSRC2:USER_SGPR: 6
; COMPUTE_PGM_RSRC2:TRAP_HANDLER: 0
; COMPUTE_PGM_RSRC2:TGID_X_EN: 1
; COMPUTE_PGM_RSRC2:TGID_Y_EN: 0
; COMPUTE_PGM_RSRC2:TGID_Z_EN: 0
; COMPUTE_PGM_RSRC2:TIDIG_COMP_CNT: 0
; COMPUTE_PGM_RSRC3_GFX90A:ACCUM_OFFSET: 15
; COMPUTE_PGM_RSRC3_GFX90A:TG_SPLIT: 0
	.section	.text._ZN12tensorrt_llm7kernels21fusedQKNormRopeKernelIN3c108BFloat16ENS2_4HalfELi64ELb1EEEvPviiifPKvS7_S7_PKlii,"axG",@progbits,_ZN12tensorrt_llm7kernels21fusedQKNormRopeKernelIN3c108BFloat16ENS2_4HalfELi64ELb1EEEvPviiifPKvS7_S7_PKlii,comdat
	.protected	_ZN12tensorrt_llm7kernels21fusedQKNormRopeKernelIN3c108BFloat16ENS2_4HalfELi64ELb1EEEvPviiifPKvS7_S7_PKlii ; -- Begin function _ZN12tensorrt_llm7kernels21fusedQKNormRopeKernelIN3c108BFloat16ENS2_4HalfELi64ELb1EEEvPviiifPKvS7_S7_PKlii
	.globl	_ZN12tensorrt_llm7kernels21fusedQKNormRopeKernelIN3c108BFloat16ENS2_4HalfELi64ELb1EEEvPviiifPKvS7_S7_PKlii
	.p2align	8
	.type	_ZN12tensorrt_llm7kernels21fusedQKNormRopeKernelIN3c108BFloat16ENS2_4HalfELi64ELb1EEEvPviiifPKvS7_S7_PKlii,@function
_ZN12tensorrt_llm7kernels21fusedQKNormRopeKernelIN3c108BFloat16ENS2_4HalfELi64ELb1EEEvPviiifPKvS7_S7_PKlii: ; @_ZN12tensorrt_llm7kernels21fusedQKNormRopeKernelIN3c108BFloat16ENS2_4HalfELi64ELb1EEEvPviiifPKvS7_S7_PKlii
; %bb.0:
	s_load_dwordx4 s[8:11], s[4:5], 0x8
	s_load_dwordx2 s[12:13], s[4:5], 0x38
	s_load_dword s1, s[4:5], 0x4c
	v_lshrrev_b32_e32 v2, 5, v0
	s_waitcnt lgkmcnt(0)
	s_add_i32 s0, s9, s8
	s_abs_i32 s2, s0
	v_cvt_f32_u32_e32 v1, s2
	s_bfe_u32 s1, s1, 0xb0005
	s_mul_i32 s6, s6, s1
	s_sub_i32 s1, 0, s2
	v_rcp_iflag_f32_e32 v3, v1
	v_add_u32_e32 v1, s6, v2
	v_sub_u32_e32 v4, 0, v1
	v_max_i32_e32 v4, v1, v4
	v_mul_f32_e32 v3, 0x4f7ffffe, v3
	v_cvt_u32_f32_e32 v3, v3
	v_xor_b32_e32 v2, s0, v1
	v_ashrrev_i32_e32 v2, 31, v2
	v_mul_lo_u32 v5, s1, v3
	v_mul_hi_u32 v5, v3, v5
	v_add_u32_e32 v3, v3, v5
	v_mul_hi_u32 v3, v4, v3
	v_mul_lo_u32 v5, v3, s2
	v_sub_u32_e32 v4, v4, v5
	v_add_u32_e32 v5, 1, v3
	v_cmp_le_u32_e32 vcc, s2, v4
	v_cndmask_b32_e32 v3, v3, v5, vcc
	v_subrev_u32_e32 v5, s2, v4
	v_cndmask_b32_e32 v4, v4, v5, vcc
	v_add_u32_e32 v5, 1, v3
	v_cmp_le_u32_e32 vcc, s2, v4
	v_cndmask_b32_e32 v3, v3, v5, vcc
	v_xor_b32_e32 v3, v3, v2
	v_sub_u32_e32 v2, v3, v2
	v_cmp_gt_i32_e32 vcc, s12, v2
	s_and_saveexec_b64 s[2:3], vcc
	s_cbranch_execz .LBB96_12
; %bb.1:
	v_and_b32_e32 v3, 31, v0
	v_mul_lo_u32 v0, v2, s0
	v_sub_u32_e32 v0, v1, v0
	v_mov_b32_e32 v1, s8
	v_cmp_gt_i32_e32 vcc, s8, v0
	v_cndmask_b32_e64 v1, v1, 0, vcc
	s_add_i32 s0, s0, s10
	s_load_dwordx2 s[2:3], s[4:5], 0x0
	v_sub_u32_e32 v0, v0, v1
	v_mul_lo_u32 v4, v2, s0
	v_add3_u32 v0, v4, v1, v0
	v_lshlrev_b32_e32 v6, 1, v3
	v_lshl_or_b32 v0, v0, 6, v6
	v_ashrrev_i32_e32 v1, 31, v0
	v_lshlrev_b64 v[0:1], 1, v[0:1]
	s_waitcnt lgkmcnt(0)
	v_mov_b32_e32 v4, s3
	v_add_co_u32_e64 v0, s[0:1], s2, v0
	v_addc_co_u32_e64 v1, s[0:1], v4, v1, s[0:1]
	global_load_dword v7, v[0:1], off
	s_load_dwordx8 s[0:7], s[4:5], 0x18
	v_lshlrev_b32_e32 v4, 2, v3
	s_waitcnt lgkmcnt(0)
	v_mov_b32_e32 v5, s3
	v_mov_b32_e32 v8, s1
	;; [unrolled: 1-line block ×4, first 2 shown]
	v_cndmask_b32_e32 v5, v5, v8, vcc
	v_cndmask_b32_e32 v8, v9, v10, vcc
	v_add_co_u32_e32 v4, vcc, v8, v4
	v_addc_co_u32_e32 v5, vcc, 0, v5, vcc
	global_load_dword v10, v[4:5], off
	v_mbcnt_lo_u32_b32 v4, -1, 0
	v_mbcnt_hi_u32_b32 v11, -1, v4
	v_and_b32_e32 v4, 0x60, v11
	v_xor_b32_e32 v5, 16, v11
	v_add_u32_e32 v12, 32, v4
	v_cmp_lt_i32_e32 vcc, v5, v12
	v_cndmask_b32_e32 v4, v11, v5, vcc
	v_lshlrev_b32_e32 v13, 2, v4
	s_mov_b32 s0, 0x800000
	s_lshr_b32 s2, s13, 31
	s_add_i32 s2, s13, s2
	s_mov_b32 s1, 0
	s_waitcnt vmcnt(1)
	v_and_b32_e32 v5, 0xffff0000, v7
	v_lshlrev_b32_e32 v4, 16, v7
	v_pk_mul_f32 v[8:9], v[4:5], v[4:5]
	v_add_f32_e32 v7, v9, v8
	ds_bpermute_b32 v8, v13, v7
	v_xor_b32_e32 v9, 8, v11
	v_cmp_lt_i32_e32 vcc, v9, v12
	v_cndmask_b32_e32 v9, v11, v9, vcc
	v_lshlrev_b32_e32 v9, 2, v9
	s_waitcnt lgkmcnt(0)
	v_add_f32_e32 v7, v7, v8
	ds_bpermute_b32 v8, v9, v7
	v_xor_b32_e32 v9, 4, v11
	v_cmp_lt_i32_e32 vcc, v9, v12
	v_cndmask_b32_e32 v9, v11, v9, vcc
	v_lshlrev_b32_e32 v9, 2, v9
	s_waitcnt lgkmcnt(0)
	;; [unrolled: 7-line block ×4, first 2 shown]
	v_add_f32_e32 v7, v7, v8
	ds_bpermute_b32 v8, v9, v7
	v_mov_b32_e32 v9, s11
	s_waitcnt lgkmcnt(0)
	v_add_f32_e32 v7, v7, v8
	v_fmac_f32_e32 v9, 0x3c800000, v7
	v_mul_f32_e32 v7, 0x4b800000, v9
	v_cmp_gt_f32_e32 vcc, s0, v9
	v_cndmask_b32_e32 v7, v9, v7, vcc
	v_rsq_f32_e32 v7, v7
	s_waitcnt vmcnt(0)
	v_and_b32_e32 v9, 0xffff0000, v10
	v_lshlrev_b32_e32 v8, 16, v10
	s_ashr_i32 s0, s2, 1
	v_mul_f32_e32 v10, 0x45800000, v7
	v_cndmask_b32_e32 v10, v7, v10, vcc
	v_pk_mul_f32 v[8:9], v[10:11], v[8:9] op_sel_hi:[0,1]
	v_pk_mul_f32 v[4:5], v[8:9], v[4:5]
	v_cmp_gt_i32_e32 vcc, s0, v3
	s_and_saveexec_b64 s[2:3], vcc
	s_cbranch_execz .LBB96_3
; %bb.2:
	v_ashrrev_i32_e32 v3, 31, v2
	v_lshlrev_b64 v[2:3], 3, v[2:3]
	v_mov_b32_e32 v7, s7
	v_add_co_u32_e32 v2, vcc, s6, v2
	v_addc_co_u32_e32 v3, vcc, v7, v3, vcc
	global_load_dwordx2 v[2:3], v[2:3], off
	s_ashr_i32 s6, s13, 31
	v_mov_b32_e32 v7, s5
	s_lshl_b64 s[0:1], s[0:1], 1
	v_mov_b32_e32 v8, s1
	s_waitcnt vmcnt(0)
	v_mul_lo_u32 v9, v3, s13
	v_mul_lo_u32 v10, v2, s6
	v_mad_u64_u32 v[2:3], s[6:7], v2, s13, 0
	v_add3_u32 v3, v3, v10, v9
	v_lshlrev_b64 v[2:3], 1, v[2:3]
	v_add_co_u32_e32 v2, vcc, s4, v2
	v_addc_co_u32_e32 v3, vcc, v7, v3, vcc
	v_add_co_u32_e32 v2, vcc, v2, v6
	v_addc_co_u32_e32 v3, vcc, 0, v3, vcc
	v_add_co_u32_e32 v6, vcc, s0, v2
	v_addc_co_u32_e32 v7, vcc, v3, v8, vcc
	global_load_ushort v8, v[2:3], off
	global_load_ushort v9, v[6:7], off
	s_waitcnt vmcnt(1)
	v_cvt_f32_f16_e32 v3, v8
	s_waitcnt vmcnt(0)
	v_cvt_f32_f16_e32 v2, v9
	v_mul_f32_e32 v8, v4, v3
	v_pk_mul_f32 v[6:7], v[4:5], v[2:3]
	v_mov_b32_e32 v7, v6
	v_pk_fma_f32 v[2:3], v[4:5], v[2:3], v[6:7]
	v_fma_mix_f32 v4, -v5, v9, v8 op_sel_hi:[0,1,0]
	v_mov_b32_e32 v5, v3
.LBB96_3:
	s_or_b64 exec, exec, s[2:3]
	s_mov_b32 s0, 0x7f800000
	v_and_b32_e32 v2, 0x7f800000, v4
	v_cmp_ne_u32_e32 vcc, s0, v2
                                        ; implicit-def: $vgpr2
	s_and_saveexec_b64 s[0:1], vcc
	s_xor_b64 s[0:1], exec, s[0:1]
; %bb.4:
	v_bfe_u32 v2, v4, 16, 1
	s_movk_i32 s2, 0x7fff
	v_add3_u32 v2, v4, v2, s2
; %bb.5:
	s_andn2_saveexec_b64 s[0:1], s[0:1]
; %bb.6:
	v_mov_b32_e32 v2, 0
	v_or_b32_e32 v3, 0x10000, v4
	v_cmp_eq_u32_sdwa vcc, v4, v2 src0_sel:WORD_0 src1_sel:DWORD
	v_cndmask_b32_e32 v2, v3, v4, vcc
; %bb.7:
	s_or_b64 exec, exec, s[0:1]
	s_mov_b32 s0, 0x7f800000
	v_and_b32_e32 v3, 0x7f800000, v5
	v_cmp_ne_u32_e32 vcc, s0, v3
                                        ; implicit-def: $vgpr3
	s_and_saveexec_b64 s[0:1], vcc
	s_xor_b64 s[0:1], exec, s[0:1]
; %bb.8:
	v_bfe_u32 v3, v5, 16, 1
	s_movk_i32 s2, 0x7fff
	v_add3_u32 v3, v5, v3, s2
                                        ; implicit-def: $vgpr5
; %bb.9:
	s_andn2_saveexec_b64 s[0:1], s[0:1]
; %bb.10:
	v_mov_b32_e32 v3, 0
	v_or_b32_e32 v4, 0x10000, v5
	v_cmp_eq_u32_sdwa vcc, v5, v3 src0_sel:WORD_0 src1_sel:DWORD
	v_cndmask_b32_e32 v3, v4, v5, vcc
; %bb.11:
	s_or_b64 exec, exec, s[0:1]
	v_lshrrev_b32_e32 v2, 16, v2
	s_mov_b32 s0, 0xffff0000
	v_and_or_b32 v2, v3, s0, v2
	global_store_dword v[0:1], v2, off
.LBB96_12:
	s_endpgm
	.section	.rodata,"a",@progbits
	.p2align	6, 0x0
	.amdhsa_kernel _ZN12tensorrt_llm7kernels21fusedQKNormRopeKernelIN3c108BFloat16ENS2_4HalfELi64ELb1EEEvPviiifPKvS7_S7_PKlii
		.amdhsa_group_segment_fixed_size 0
		.amdhsa_private_segment_fixed_size 0
		.amdhsa_kernarg_size 320
		.amdhsa_user_sgpr_count 6
		.amdhsa_user_sgpr_private_segment_buffer 1
		.amdhsa_user_sgpr_dispatch_ptr 0
		.amdhsa_user_sgpr_queue_ptr 0
		.amdhsa_user_sgpr_kernarg_segment_ptr 1
		.amdhsa_user_sgpr_dispatch_id 0
		.amdhsa_user_sgpr_flat_scratch_init 0
		.amdhsa_user_sgpr_kernarg_preload_length 0
		.amdhsa_user_sgpr_kernarg_preload_offset 0
		.amdhsa_user_sgpr_private_segment_size 0
		.amdhsa_uses_dynamic_stack 0
		.amdhsa_system_sgpr_private_segment_wavefront_offset 0
		.amdhsa_system_sgpr_workgroup_id_x 1
		.amdhsa_system_sgpr_workgroup_id_y 0
		.amdhsa_system_sgpr_workgroup_id_z 0
		.amdhsa_system_sgpr_workgroup_info 0
		.amdhsa_system_vgpr_workitem_id 0
		.amdhsa_next_free_vgpr 14
		.amdhsa_next_free_sgpr 14
		.amdhsa_accum_offset 16
		.amdhsa_reserve_vcc 1
		.amdhsa_reserve_flat_scratch 0
		.amdhsa_float_round_mode_32 0
		.amdhsa_float_round_mode_16_64 0
		.amdhsa_float_denorm_mode_32 3
		.amdhsa_float_denorm_mode_16_64 3
		.amdhsa_dx10_clamp 1
		.amdhsa_ieee_mode 1
		.amdhsa_fp16_overflow 0
		.amdhsa_tg_split 0
		.amdhsa_exception_fp_ieee_invalid_op 0
		.amdhsa_exception_fp_denorm_src 0
		.amdhsa_exception_fp_ieee_div_zero 0
		.amdhsa_exception_fp_ieee_overflow 0
		.amdhsa_exception_fp_ieee_underflow 0
		.amdhsa_exception_fp_ieee_inexact 0
		.amdhsa_exception_int_div_zero 0
	.end_amdhsa_kernel
	.section	.text._ZN12tensorrt_llm7kernels21fusedQKNormRopeKernelIN3c108BFloat16ENS2_4HalfELi64ELb1EEEvPviiifPKvS7_S7_PKlii,"axG",@progbits,_ZN12tensorrt_llm7kernels21fusedQKNormRopeKernelIN3c108BFloat16ENS2_4HalfELi64ELb1EEEvPviiifPKvS7_S7_PKlii,comdat
.Lfunc_end96:
	.size	_ZN12tensorrt_llm7kernels21fusedQKNormRopeKernelIN3c108BFloat16ENS2_4HalfELi64ELb1EEEvPviiifPKvS7_S7_PKlii, .Lfunc_end96-_ZN12tensorrt_llm7kernels21fusedQKNormRopeKernelIN3c108BFloat16ENS2_4HalfELi64ELb1EEEvPviiifPKvS7_S7_PKlii
                                        ; -- End function
	.section	.AMDGPU.csdata,"",@progbits
; Kernel info:
; codeLenInByte = 1072
; NumSgprs: 18
; NumVgprs: 14
; NumAgprs: 0
; TotalNumVgprs: 14
; ScratchSize: 0
; MemoryBound: 0
; FloatMode: 240
; IeeeMode: 1
; LDSByteSize: 0 bytes/workgroup (compile time only)
; SGPRBlocks: 2
; VGPRBlocks: 1
; NumSGPRsForWavesPerEU: 18
; NumVGPRsForWavesPerEU: 14
; AccumOffset: 16
; Occupancy: 8
; WaveLimiterHint : 1
; COMPUTE_PGM_RSRC2:SCRATCH_EN: 0
; COMPUTE_PGM_RSRC2:USER_SGPR: 6
; COMPUTE_PGM_RSRC2:TRAP_HANDLER: 0
; COMPUTE_PGM_RSRC2:TGID_X_EN: 1
; COMPUTE_PGM_RSRC2:TGID_Y_EN: 0
; COMPUTE_PGM_RSRC2:TGID_Z_EN: 0
; COMPUTE_PGM_RSRC2:TIDIG_COMP_CNT: 0
; COMPUTE_PGM_RSRC3_GFX90A:ACCUM_OFFSET: 3
; COMPUTE_PGM_RSRC3_GFX90A:TG_SPLIT: 0
	.section	.text._ZN12tensorrt_llm7kernels21fusedQKNormRopeKernelIN3c108BFloat16ENS2_4HalfELi64ELb0EEEvPviiifPKvS7_S7_PKlii,"axG",@progbits,_ZN12tensorrt_llm7kernels21fusedQKNormRopeKernelIN3c108BFloat16ENS2_4HalfELi64ELb0EEEvPviiifPKvS7_S7_PKlii,comdat
	.protected	_ZN12tensorrt_llm7kernels21fusedQKNormRopeKernelIN3c108BFloat16ENS2_4HalfELi64ELb0EEEvPviiifPKvS7_S7_PKlii ; -- Begin function _ZN12tensorrt_llm7kernels21fusedQKNormRopeKernelIN3c108BFloat16ENS2_4HalfELi64ELb0EEEvPviiifPKvS7_S7_PKlii
	.globl	_ZN12tensorrt_llm7kernels21fusedQKNormRopeKernelIN3c108BFloat16ENS2_4HalfELi64ELb0EEEvPviiifPKvS7_S7_PKlii
	.p2align	8
	.type	_ZN12tensorrt_llm7kernels21fusedQKNormRopeKernelIN3c108BFloat16ENS2_4HalfELi64ELb0EEEvPviiifPKvS7_S7_PKlii,@function
_ZN12tensorrt_llm7kernels21fusedQKNormRopeKernelIN3c108BFloat16ENS2_4HalfELi64ELb0EEEvPviiifPKvS7_S7_PKlii: ; @_ZN12tensorrt_llm7kernels21fusedQKNormRopeKernelIN3c108BFloat16ENS2_4HalfELi64ELb0EEEvPviiifPKvS7_S7_PKlii
; %bb.0:
	s_load_dwordx4 s[8:11], s[4:5], 0x8
	s_load_dwordx2 s[12:13], s[4:5], 0x38
	s_load_dword s1, s[4:5], 0x4c
	v_lshrrev_b32_e32 v2, 5, v0
	s_waitcnt lgkmcnt(0)
	s_add_i32 s0, s9, s8
	s_abs_i32 s2, s0
	v_cvt_f32_u32_e32 v1, s2
	s_bfe_u32 s1, s1, 0xb0005
	s_mul_i32 s6, s6, s1
	s_sub_i32 s1, 0, s2
	v_rcp_iflag_f32_e32 v3, v1
	v_add_u32_e32 v1, s6, v2
	v_sub_u32_e32 v4, 0, v1
	v_max_i32_e32 v4, v1, v4
	v_mul_f32_e32 v3, 0x4f7ffffe, v3
	v_cvt_u32_f32_e32 v3, v3
	v_xor_b32_e32 v2, s0, v1
	v_ashrrev_i32_e32 v2, 31, v2
	v_mul_lo_u32 v5, s1, v3
	v_mul_hi_u32 v5, v3, v5
	v_add_u32_e32 v3, v3, v5
	v_mul_hi_u32 v3, v4, v3
	v_mul_lo_u32 v5, v3, s2
	v_sub_u32_e32 v4, v4, v5
	v_add_u32_e32 v5, 1, v3
	v_cmp_le_u32_e32 vcc, s2, v4
	v_cndmask_b32_e32 v3, v3, v5, vcc
	v_subrev_u32_e32 v5, s2, v4
	v_cndmask_b32_e32 v4, v4, v5, vcc
	v_add_u32_e32 v5, 1, v3
	v_cmp_le_u32_e32 vcc, s2, v4
	v_cndmask_b32_e32 v3, v3, v5, vcc
	v_xor_b32_e32 v3, v3, v2
	v_sub_u32_e32 v4, v3, v2
	v_cmp_gt_i32_e32 vcc, s12, v4
	s_and_saveexec_b64 s[2:3], vcc
	s_cbranch_execz .LBB97_12
; %bb.1:
	v_and_b32_e32 v6, 31, v0
	v_mul_lo_u32 v0, v4, s0
	v_sub_u32_e32 v0, v1, v0
	v_mov_b32_e32 v1, s8
	v_cmp_gt_i32_e32 vcc, s8, v0
	v_cndmask_b32_e64 v1, v1, 0, vcc
	s_add_i32 s0, s0, s10
	s_load_dwordx2 s[2:3], s[4:5], 0x0
	v_sub_u32_e32 v0, v0, v1
	v_mul_lo_u32 v2, v4, s0
	v_add3_u32 v0, v2, v1, v0
	v_lshlrev_b32_e32 v1, 1, v6
	v_lshl_or_b32 v0, v0, 6, v1
	v_ashrrev_i32_e32 v1, 31, v0
	v_lshlrev_b64 v[0:1], 1, v[0:1]
	s_waitcnt lgkmcnt(0)
	v_mov_b32_e32 v2, s3
	v_add_co_u32_e64 v0, s[0:1], s2, v0
	v_addc_co_u32_e64 v1, s[0:1], v2, v1, s[0:1]
	global_load_dword v5, v[0:1], off
	s_load_dwordx8 s[0:7], s[4:5], 0x18
	v_lshlrev_b32_e32 v8, 2, v6
	s_waitcnt lgkmcnt(0)
	v_mov_b32_e32 v2, s3
	v_mov_b32_e32 v3, s1
	;; [unrolled: 1-line block ×4, first 2 shown]
	v_cndmask_b32_e32 v3, v2, v3, vcc
	v_cndmask_b32_e32 v2, v7, v9, vcc
	v_add_co_u32_e32 v2, vcc, v2, v8
	v_addc_co_u32_e32 v3, vcc, 0, v3, vcc
	global_load_dword v9, v[2:3], off
	v_mbcnt_lo_u32_b32 v2, -1, 0
	v_mbcnt_hi_u32_b32 v7, -1, v2
	v_and_b32_e32 v2, 0x60, v7
	v_xor_b32_e32 v3, 16, v7
	v_add_u32_e32 v12, 32, v2
	v_cmp_lt_i32_e32 vcc, v3, v12
	v_cndmask_b32_e32 v2, v7, v3, vcc
	v_lshlrev_b32_e32 v13, 2, v2
	s_mov_b32 s0, 0x800000
	s_lshr_b32 s2, s13, 31
	s_add_i32 s2, s13, s2
	s_mov_b32 s1, 0
	s_waitcnt vmcnt(1)
	v_and_b32_e32 v10, 0xffff0000, v5
	v_lshlrev_b32_e32 v11, 16, v5
	v_pk_mul_f32 v[2:3], v[10:11], v[10:11]
	v_add_f32_e32 v2, v2, v3
	ds_bpermute_b32 v3, v13, v2
	v_xor_b32_e32 v5, 8, v7
	v_cmp_lt_i32_e32 vcc, v5, v12
	v_cndmask_b32_e32 v5, v7, v5, vcc
	v_lshlrev_b32_e32 v5, 2, v5
	s_waitcnt lgkmcnt(0)
	v_add_f32_e32 v2, v2, v3
	ds_bpermute_b32 v3, v5, v2
	v_xor_b32_e32 v5, 4, v7
	v_cmp_lt_i32_e32 vcc, v5, v12
	v_cndmask_b32_e32 v5, v7, v5, vcc
	v_lshlrev_b32_e32 v5, 2, v5
	s_waitcnt lgkmcnt(0)
	;; [unrolled: 7-line block ×4, first 2 shown]
	v_add_f32_e32 v2, v2, v3
	ds_bpermute_b32 v3, v5, v2
	v_mov_b32_e32 v5, s11
	s_waitcnt lgkmcnt(0)
	v_add_f32_e32 v2, v2, v3
	v_fmac_f32_e32 v5, 0x3c800000, v2
	v_mul_f32_e32 v2, 0x4b800000, v5
	v_cmp_gt_f32_e32 vcc, s0, v5
	v_cndmask_b32_e32 v2, v5, v2, vcc
	v_rsq_f32_e32 v2, v2
	s_waitcnt vmcnt(0)
	v_lshlrev_b32_e32 v3, 16, v9
	v_and_b32_e32 v5, 0xffff0000, v9
	s_ashr_i32 s0, s2, 1
	v_mul_f32_e32 v9, 0x45800000, v2
	v_cndmask_b32_e32 v2, v2, v9, vcc
	v_mul_f32_e32 v3, v2, v3
	v_mul_f32_e32 v5, v2, v5
	;; [unrolled: 1-line block ×4, first 2 shown]
	v_cmp_gt_i32_e32 vcc, s0, v6
	s_and_saveexec_b64 s[2:3], vcc
	s_cbranch_execz .LBB97_3
; %bb.2:
	v_ashrrev_i32_e32 v5, 31, v4
	v_lshlrev_b64 v[4:5], 3, v[4:5]
	v_mov_b32_e32 v9, s7
	v_add_co_u32_e32 v4, vcc, s6, v4
	v_addc_co_u32_e32 v5, vcc, v9, v5, vcc
	global_load_dwordx2 v[4:5], v[4:5], off
	s_abs_i32 s8, s13
	v_cvt_f32_u32_e32 v9, s8
	s_lshl_b64 s[6:7], s[0:1], 1
	s_sub_i32 s1, 0, s8
	v_or_b32_e32 v11, 2, v8
	v_rcp_iflag_f32_e32 v9, v9
	s_ashr_i32 s9, s13, 31
	v_mov_b32_e32 v10, s5
	v_mov_b32_e32 v12, s7
	v_mul_f32_e32 v9, 0x4f7ffffe, v9
	v_cvt_u32_f32_e32 v9, v9
	; wave barrier
	s_lshr_b32 s0, s0, 1
	v_mul_lo_u32 v13, s1, v9
	v_mul_hi_u32 v13, v9, v13
	v_add_u32_e32 v9, v9, v13
	v_mul_hi_u32 v13, v8, v9
	v_mul_hi_u32 v9, v11, v9
	v_mul_lo_u32 v13, v13, s8
	v_mul_lo_u32 v9, v9, s8
	v_sub_u32_e32 v8, v8, v13
	v_sub_u32_e32 v9, v11, v9
	v_subrev_u32_e32 v11, s8, v8
	v_cmp_le_u32_e32 vcc, s8, v8
	v_subrev_u32_e32 v13, s8, v9
	v_cndmask_b32_e32 v8, v8, v11, vcc
	v_cmp_le_u32_e32 vcc, s8, v9
	v_cndmask_b32_e32 v9, v9, v13, vcc
	v_subrev_u32_e32 v11, s8, v8
	v_cmp_le_u32_e32 vcc, s8, v8
	v_subrev_u32_e32 v13, s8, v9
	v_cndmask_b32_e32 v8, v8, v11, vcc
	v_cmp_le_u32_e32 vcc, s8, v9
	v_cndmask_b32_e32 v9, v9, v13, vcc
	v_and_b32_e32 v13, -2, v9
	v_and_b32_e32 v8, -2, v8
	s_waitcnt vmcnt(0)
	v_mul_lo_u32 v9, v5, s13
	v_mul_lo_u32 v11, v4, s9
	v_mad_u64_u32 v[4:5], s[8:9], v4, s13, 0
	v_add3_u32 v5, v5, v11, v9
	v_lshlrev_b64 v[4:5], 1, v[4:5]
	v_add_co_u32_e32 v14, vcc, s4, v4
	v_addc_co_u32_e32 v15, vcc, v10, v5, vcc
	v_add_co_u32_e32 v10, vcc, s6, v14
	v_addc_co_u32_e32 v11, vcc, v15, v12, vcc
	;; [unrolled: 2-line block ×5, first 2 shown]
	global_load_ushort v12, v[8:9], off
	global_load_ushort v16, v[10:11], off
	;; [unrolled: 1-line block ×3, first 2 shown]
	v_add_co_u32_e32 v4, vcc, v14, v13
	v_addc_co_u32_e32 v5, vcc, 0, v15, vcc
	global_load_ushort v4, v[4:5], off
	v_and_b32_e32 v5, 64, v7
	v_xor_b32_e32 v8, s0, v7
	v_add_u32_e32 v5, 64, v5
	v_cmp_lt_i32_e32 vcc, v8, v5
	v_cndmask_b32_e32 v5, v7, v8, vcc
	v_lshlrev_b32_e32 v5, 2, v5
	ds_bpermute_b32 v7, v5, v2
	ds_bpermute_b32 v5, v5, v3
	v_cmp_gt_u32_e32 vcc, s0, v6
	; wave barrier
	s_waitcnt lgkmcnt(1)
	v_cndmask_b32_e64 v6, v7, -v7, vcc
	s_waitcnt lgkmcnt(0)
	v_cndmask_b32_e64 v5, v5, -v5, vcc
	s_waitcnt vmcnt(3)
	v_cvt_f32_f16_e32 v7, v12
	s_waitcnt vmcnt(2)
	v_cvt_f32_f16_e32 v8, v16
	v_mul_f32_e32 v6, v6, v7
	v_mul_f32_e32 v5, v5, v8
	s_waitcnt vmcnt(1)
	v_fma_mix_f32 v2, v2, v17, v6 op_sel_hi:[0,1,0]
	s_waitcnt vmcnt(0)
	v_fma_mix_f32 v3, v3, v4, v5 op_sel_hi:[0,1,0]
.LBB97_3:
	s_or_b64 exec, exec, s[2:3]
	s_mov_b32 s0, 0x7f800000
	v_and_b32_e32 v4, 0x7f800000, v2
	v_cmp_ne_u32_e32 vcc, s0, v4
                                        ; implicit-def: $vgpr4
	s_and_saveexec_b64 s[0:1], vcc
	s_xor_b64 s[0:1], exec, s[0:1]
; %bb.4:
	v_bfe_u32 v4, v2, 16, 1
	s_movk_i32 s2, 0x7fff
	v_add3_u32 v4, v2, v4, s2
; %bb.5:
	s_andn2_saveexec_b64 s[0:1], s[0:1]
; %bb.6:
	v_mov_b32_e32 v4, 0
	v_or_b32_e32 v5, 0x10000, v2
	v_cmp_eq_u32_sdwa vcc, v2, v4 src0_sel:WORD_0 src1_sel:DWORD
	v_cndmask_b32_e32 v4, v5, v2, vcc
; %bb.7:
	s_or_b64 exec, exec, s[0:1]
	s_mov_b32 s0, 0x7f800000
	v_and_b32_e32 v2, 0x7f800000, v3
	v_cmp_ne_u32_e32 vcc, s0, v2
                                        ; implicit-def: $vgpr5
	s_and_saveexec_b64 s[0:1], vcc
	s_xor_b64 s[0:1], exec, s[0:1]
; %bb.8:
	v_bfe_u32 v2, v3, 16, 1
	s_movk_i32 s2, 0x7fff
	v_add3_u32 v5, v3, v2, s2
                                        ; implicit-def: $vgpr2_vgpr3
; %bb.9:
	s_andn2_saveexec_b64 s[0:1], s[0:1]
; %bb.10:
	v_mov_b32_e32 v2, 0
	v_or_b32_e32 v5, 0x10000, v3
	v_cmp_eq_u32_sdwa vcc, v3, v2 src0_sel:WORD_0 src1_sel:DWORD
	v_cndmask_b32_e32 v5, v5, v3, vcc
; %bb.11:
	s_or_b64 exec, exec, s[0:1]
	v_lshrrev_b32_e32 v2, 16, v4
	s_mov_b32 s0, 0xffff0000
	v_and_or_b32 v2, v5, s0, v2
	global_store_dword v[0:1], v2, off
.LBB97_12:
	s_endpgm
	.section	.rodata,"a",@progbits
	.p2align	6, 0x0
	.amdhsa_kernel _ZN12tensorrt_llm7kernels21fusedQKNormRopeKernelIN3c108BFloat16ENS2_4HalfELi64ELb0EEEvPviiifPKvS7_S7_PKlii
		.amdhsa_group_segment_fixed_size 0
		.amdhsa_private_segment_fixed_size 0
		.amdhsa_kernarg_size 320
		.amdhsa_user_sgpr_count 6
		.amdhsa_user_sgpr_private_segment_buffer 1
		.amdhsa_user_sgpr_dispatch_ptr 0
		.amdhsa_user_sgpr_queue_ptr 0
		.amdhsa_user_sgpr_kernarg_segment_ptr 1
		.amdhsa_user_sgpr_dispatch_id 0
		.amdhsa_user_sgpr_flat_scratch_init 0
		.amdhsa_user_sgpr_kernarg_preload_length 0
		.amdhsa_user_sgpr_kernarg_preload_offset 0
		.amdhsa_user_sgpr_private_segment_size 0
		.amdhsa_uses_dynamic_stack 0
		.amdhsa_system_sgpr_private_segment_wavefront_offset 0
		.amdhsa_system_sgpr_workgroup_id_x 1
		.amdhsa_system_sgpr_workgroup_id_y 0
		.amdhsa_system_sgpr_workgroup_id_z 0
		.amdhsa_system_sgpr_workgroup_info 0
		.amdhsa_system_vgpr_workitem_id 0
		.amdhsa_next_free_vgpr 18
		.amdhsa_next_free_sgpr 14
		.amdhsa_accum_offset 20
		.amdhsa_reserve_vcc 1
		.amdhsa_reserve_flat_scratch 0
		.amdhsa_float_round_mode_32 0
		.amdhsa_float_round_mode_16_64 0
		.amdhsa_float_denorm_mode_32 3
		.amdhsa_float_denorm_mode_16_64 3
		.amdhsa_dx10_clamp 1
		.amdhsa_ieee_mode 1
		.amdhsa_fp16_overflow 0
		.amdhsa_tg_split 0
		.amdhsa_exception_fp_ieee_invalid_op 0
		.amdhsa_exception_fp_denorm_src 0
		.amdhsa_exception_fp_ieee_div_zero 0
		.amdhsa_exception_fp_ieee_overflow 0
		.amdhsa_exception_fp_ieee_underflow 0
		.amdhsa_exception_fp_ieee_inexact 0
		.amdhsa_exception_int_div_zero 0
	.end_amdhsa_kernel
	.section	.text._ZN12tensorrt_llm7kernels21fusedQKNormRopeKernelIN3c108BFloat16ENS2_4HalfELi64ELb0EEEvPviiifPKvS7_S7_PKlii,"axG",@progbits,_ZN12tensorrt_llm7kernels21fusedQKNormRopeKernelIN3c108BFloat16ENS2_4HalfELi64ELb0EEEvPviiifPKvS7_S7_PKlii,comdat
.Lfunc_end97:
	.size	_ZN12tensorrt_llm7kernels21fusedQKNormRopeKernelIN3c108BFloat16ENS2_4HalfELi64ELb0EEEvPviiifPKvS7_S7_PKlii, .Lfunc_end97-_ZN12tensorrt_llm7kernels21fusedQKNormRopeKernelIN3c108BFloat16ENS2_4HalfELi64ELb0EEEvPviiifPKvS7_S7_PKlii
                                        ; -- End function
	.section	.AMDGPU.csdata,"",@progbits
; Kernel info:
; codeLenInByte = 1328
; NumSgprs: 18
; NumVgprs: 18
; NumAgprs: 0
; TotalNumVgprs: 18
; ScratchSize: 0
; MemoryBound: 0
; FloatMode: 240
; IeeeMode: 1
; LDSByteSize: 0 bytes/workgroup (compile time only)
; SGPRBlocks: 2
; VGPRBlocks: 2
; NumSGPRsForWavesPerEU: 18
; NumVGPRsForWavesPerEU: 18
; AccumOffset: 20
; Occupancy: 8
; WaveLimiterHint : 1
; COMPUTE_PGM_RSRC2:SCRATCH_EN: 0
; COMPUTE_PGM_RSRC2:USER_SGPR: 6
; COMPUTE_PGM_RSRC2:TRAP_HANDLER: 0
; COMPUTE_PGM_RSRC2:TGID_X_EN: 1
; COMPUTE_PGM_RSRC2:TGID_Y_EN: 0
; COMPUTE_PGM_RSRC2:TGID_Z_EN: 0
; COMPUTE_PGM_RSRC2:TIDIG_COMP_CNT: 0
; COMPUTE_PGM_RSRC3_GFX90A:ACCUM_OFFSET: 4
; COMPUTE_PGM_RSRC3_GFX90A:TG_SPLIT: 0
	.section	.text._ZN12tensorrt_llm7kernels21fusedQKNormRopeKernelIN3c108BFloat16ENS2_4HalfELi128ELb1EEEvPviiifPKvS7_S7_PKlii,"axG",@progbits,_ZN12tensorrt_llm7kernels21fusedQKNormRopeKernelIN3c108BFloat16ENS2_4HalfELi128ELb1EEEvPviiifPKvS7_S7_PKlii,comdat
	.protected	_ZN12tensorrt_llm7kernels21fusedQKNormRopeKernelIN3c108BFloat16ENS2_4HalfELi128ELb1EEEvPviiifPKvS7_S7_PKlii ; -- Begin function _ZN12tensorrt_llm7kernels21fusedQKNormRopeKernelIN3c108BFloat16ENS2_4HalfELi128ELb1EEEvPviiifPKvS7_S7_PKlii
	.globl	_ZN12tensorrt_llm7kernels21fusedQKNormRopeKernelIN3c108BFloat16ENS2_4HalfELi128ELb1EEEvPviiifPKvS7_S7_PKlii
	.p2align	8
	.type	_ZN12tensorrt_llm7kernels21fusedQKNormRopeKernelIN3c108BFloat16ENS2_4HalfELi128ELb1EEEvPviiifPKvS7_S7_PKlii,@function
_ZN12tensorrt_llm7kernels21fusedQKNormRopeKernelIN3c108BFloat16ENS2_4HalfELi128ELb1EEEvPviiifPKvS7_S7_PKlii: ; @_ZN12tensorrt_llm7kernels21fusedQKNormRopeKernelIN3c108BFloat16ENS2_4HalfELi128ELb1EEEvPviiifPKvS7_S7_PKlii
; %bb.0:
	s_load_dwordx4 s[8:11], s[4:5], 0x8
	s_load_dwordx2 s[12:13], s[4:5], 0x38
	s_load_dword s1, s[4:5], 0x4c
	v_lshrrev_b32_e32 v2, 5, v0
	s_waitcnt lgkmcnt(0)
	s_add_i32 s0, s9, s8
	s_abs_i32 s2, s0
	v_cvt_f32_u32_e32 v1, s2
	s_bfe_u32 s1, s1, 0xb0005
	s_mul_i32 s6, s6, s1
	s_sub_i32 s1, 0, s2
	v_rcp_iflag_f32_e32 v3, v1
	v_add_u32_e32 v1, s6, v2
	v_sub_u32_e32 v4, 0, v1
	v_max_i32_e32 v4, v1, v4
	v_mul_f32_e32 v3, 0x4f7ffffe, v3
	v_cvt_u32_f32_e32 v3, v3
	v_xor_b32_e32 v2, s0, v1
	v_ashrrev_i32_e32 v2, 31, v2
	v_mul_lo_u32 v5, s1, v3
	v_mul_hi_u32 v5, v3, v5
	v_add_u32_e32 v3, v3, v5
	v_mul_hi_u32 v3, v4, v3
	v_mul_lo_u32 v5, v3, s2
	v_sub_u32_e32 v4, v4, v5
	v_add_u32_e32 v5, 1, v3
	v_cmp_le_u32_e32 vcc, s2, v4
	v_cndmask_b32_e32 v3, v3, v5, vcc
	v_subrev_u32_e32 v5, s2, v4
	v_cndmask_b32_e32 v4, v4, v5, vcc
	v_add_u32_e32 v5, 1, v3
	v_cmp_le_u32_e32 vcc, s2, v4
	v_cndmask_b32_e32 v3, v3, v5, vcc
	v_xor_b32_e32 v3, v3, v2
	v_sub_u32_e32 v4, v3, v2
	v_cmp_gt_i32_e32 vcc, s12, v4
	s_and_saveexec_b64 s[2:3], vcc
	s_cbranch_execz .LBB98_20
; %bb.1:
	v_and_b32_e32 v5, 31, v0
	v_mul_lo_u32 v0, v4, s0
	v_sub_u32_e32 v0, v1, v0
	v_mov_b32_e32 v1, s8
	v_cmp_gt_i32_e32 vcc, s8, v0
	v_cndmask_b32_e64 v1, v1, 0, vcc
	s_add_i32 s0, s0, s10
	s_load_dwordx2 s[2:3], s[4:5], 0x0
	v_sub_u32_e32 v0, v0, v1
	v_mul_lo_u32 v2, v4, s0
	v_add3_u32 v0, v2, v1, v0
	v_lshlrev_b32_e32 v8, 2, v5
	v_lshl_or_b32 v0, v0, 7, v8
	v_ashrrev_i32_e32 v1, 31, v0
	v_lshlrev_b64 v[0:1], 1, v[0:1]
	s_waitcnt lgkmcnt(0)
	v_mov_b32_e32 v2, s3
	v_add_co_u32_e64 v0, s[0:1], s2, v0
	v_addc_co_u32_e64 v1, s[0:1], v2, v1, s[0:1]
	global_load_dwordx2 v[2:3], v[0:1], off
	s_load_dwordx8 s[0:7], s[4:5], 0x18
	v_lshlrev_b32_e32 v6, 3, v5
	v_mov_b32_e32 v16, s11
	s_waitcnt lgkmcnt(0)
	v_mov_b32_e32 v7, s3
	v_mov_b32_e32 v9, s1
	;; [unrolled: 1-line block ×4, first 2 shown]
	v_cndmask_b32_e32 v7, v7, v9, vcc
	v_cndmask_b32_e32 v9, v10, v11, vcc
	v_add_co_u32_e32 v6, vcc, v9, v6
	v_addc_co_u32_e32 v7, vcc, 0, v7, vcc
	global_load_dwordx2 v[6:7], v[6:7], off
	v_mbcnt_lo_u32_b32 v9, -1, 0
	v_mbcnt_hi_u32_b32 v9, -1, v9
	v_and_b32_e32 v10, 0x60, v9
	v_xor_b32_e32 v11, 16, v9
	v_add_u32_e32 v17, 32, v10
	v_cmp_lt_i32_e32 vcc, v11, v17
	v_cndmask_b32_e32 v10, v9, v11, vcc
	v_lshlrev_b32_e32 v18, 2, v10
	s_mov_b32 s0, 0x800000
	s_ashr_i32 s2, s13, 31
	s_lshr_b32 s1, s2, 30
	s_add_i32 s1, s13, s1
	s_ashr_i32 s1, s1, 2
	s_waitcnt vmcnt(1)
	v_alignbit_b32 v12, v3, v2, 16
	v_lshlrev_b32_e32 v10, 16, v2
	v_and_b32_e32 v11, 0xffff0000, v2
	v_and_b32_e32 v3, 0xffff0000, v3
	;; [unrolled: 1-line block ×3, first 2 shown]
	v_pk_mul_f32 v[12:13], v[10:11], v[10:11]
	v_pk_mul_f32 v[14:15], v[2:3], v[2:3]
	v_add_f32_e32 v12, v12, v13
	v_add_f32_e32 v12, v12, v14
	;; [unrolled: 1-line block ×3, first 2 shown]
	ds_bpermute_b32 v13, v18, v12
	v_xor_b32_e32 v14, 8, v9
	v_cmp_lt_i32_e32 vcc, v14, v17
	v_cndmask_b32_e32 v14, v9, v14, vcc
	v_lshlrev_b32_e32 v14, 2, v14
	s_waitcnt lgkmcnt(0)
	v_add_f32_e32 v12, v12, v13
	ds_bpermute_b32 v13, v14, v12
	v_xor_b32_e32 v14, 4, v9
	v_cmp_lt_i32_e32 vcc, v14, v17
	v_cndmask_b32_e32 v14, v9, v14, vcc
	v_lshlrev_b32_e32 v14, 2, v14
	s_waitcnt lgkmcnt(0)
	v_add_f32_e32 v12, v12, v13
	;; [unrolled: 7-line block ×4, first 2 shown]
	ds_bpermute_b32 v9, v9, v12
	s_waitcnt vmcnt(0)
	v_and_b32_e32 v13, 0xffff0000, v6
	v_and_b32_e32 v15, 0xffff0000, v7
	v_lshlrev_b32_e32 v14, 16, v7
	s_waitcnt lgkmcnt(0)
	v_add_f32_e32 v9, v12, v9
	v_fmac_f32_e32 v16, 0x3c000000, v9
	v_mul_f32_e32 v9, 0x4b800000, v16
	v_cmp_gt_f32_e32 vcc, s0, v16
	v_cndmask_b32_e32 v9, v16, v9, vcc
	v_rsq_f32_e32 v9, v9
	v_lshlrev_b32_e32 v12, 16, v6
	v_mul_f32_e32 v6, 0x45800000, v9
	v_cndmask_b32_e32 v6, v9, v6, vcc
	v_pk_mul_f32 v[12:13], v[6:7], v[12:13] op_sel_hi:[0,1]
	v_pk_mul_f32 v[14:15], v[6:7], v[14:15] op_sel_hi:[0,1]
	v_pk_mul_f32 v[6:7], v[12:13], v[10:11]
	v_pk_mul_f32 v[2:3], v[14:15], v[2:3]
	v_cmp_gt_i32_e32 vcc, s1, v5
	s_and_saveexec_b64 s[0:1], vcc
	s_cbranch_execz .LBB98_3
; %bb.2:
	v_ashrrev_i32_e32 v5, 31, v4
	v_lshlrev_b64 v[4:5], 3, v[4:5]
	v_mov_b32_e32 v9, s7
	v_add_co_u32_e32 v4, vcc, s6, v4
	v_addc_co_u32_e32 v5, vcc, v9, v5, vcc
	global_load_dwordx2 v[4:5], v[4:5], off
	s_lshr_b32 s3, s13, 31
	s_add_i32 s3, s13, s3
	s_ashr_i32 s6, s3, 1
	v_mov_b32_e32 v9, s5
	s_ashr_i32 s7, s6, 31
	s_lshl_b64 s[6:7], s[6:7], 1
	v_mov_b32_e32 v10, s7
	s_waitcnt vmcnt(0)
	v_mul_lo_u32 v11, v5, s13
	v_mul_lo_u32 v12, v4, s2
	v_mad_u64_u32 v[4:5], s[2:3], v4, s13, 0
	v_add3_u32 v5, v5, v12, v11
	v_lshlrev_b64 v[4:5], 1, v[4:5]
	v_add_co_u32_e32 v4, vcc, s4, v4
	v_addc_co_u32_e32 v5, vcc, v9, v5, vcc
	v_add_co_u32_e32 v4, vcc, v4, v8
	v_addc_co_u32_e32 v5, vcc, 0, v5, vcc
	global_load_dword v9, v[4:5], off
	v_add_co_u32_e32 v4, vcc, s6, v4
	v_addc_co_u32_e32 v5, vcc, v5, v10, vcc
	global_load_dword v5, v[4:5], off
	v_mov_b32_e32 v4, v3
	s_waitcnt vmcnt(1)
	v_cvt_f32_f16_e32 v8, v9
	v_cvt_f32_f16_sdwa v11, v9 dst_sel:DWORD dst_unused:UNUSED_PAD src0_sel:WORD_1
	v_pk_mul_f32 v[14:15], v[6:7], v[8:9] op_sel_hi:[1,0]
	s_waitcnt vmcnt(0)
	v_cvt_f32_f16_e32 v12, v5
	v_cvt_f32_f16_sdwa v10, v5 dst_sel:DWORD dst_unused:UNUSED_PAD src0_sel:WORD_1
	v_mov_b32_e32 v16, v11
	v_pk_mul_f32 v[12:13], v[6:7], v[12:13] op_sel_hi:[1,0]
	v_pk_mul_f32 v[18:19], v[2:3], v[10:11]
	v_pk_fma_f32 v[6:7], v[6:7], v[8:9], v[12:13] op_sel:[0,0,1] op_sel_hi:[1,0,0]
	v_pk_mul_f32 v[4:5], v[4:5], v[10:11]
	v_mov_b32_e32 v6, v19
	v_pk_fma_f32 v[4:5], v[2:3], v[16:17], v[4:5] op_sel_hi:[1,0,1] neg_lo:[0,0,1] neg_hi:[0,0,1]
	v_pk_fma_f32 v[8:9], v[2:3], v[10:11], v[6:7]
	v_sub_f32_e32 v6, v14, v13
	v_mov_b32_e32 v2, v4
	v_mov_b32_e32 v3, v8
.LBB98_3:
	s_or_b64 exec, exec, s[0:1]
	s_mov_b32 s0, 0x7f800000
	v_and_b32_e32 v4, 0x7f800000, v6
	v_cmp_ne_u32_e32 vcc, s0, v4
                                        ; implicit-def: $vgpr4
	s_and_saveexec_b64 s[0:1], vcc
	s_xor_b64 s[0:1], exec, s[0:1]
; %bb.4:
	v_bfe_u32 v4, v6, 16, 1
	s_movk_i32 s2, 0x7fff
	v_add3_u32 v4, v6, v4, s2
; %bb.5:
	s_andn2_saveexec_b64 s[0:1], s[0:1]
; %bb.6:
	v_mov_b32_e32 v4, 0
	v_or_b32_e32 v5, 0x10000, v6
	v_cmp_eq_u32_sdwa vcc, v6, v4 src0_sel:WORD_0 src1_sel:DWORD
	v_cndmask_b32_e32 v4, v5, v6, vcc
; %bb.7:
	s_or_b64 exec, exec, s[0:1]
	s_mov_b32 s0, 0x7f800000
	v_and_b32_e32 v5, 0x7f800000, v7
	v_cmp_ne_u32_e32 vcc, s0, v5
                                        ; implicit-def: $vgpr5
	s_and_saveexec_b64 s[0:1], vcc
	s_xor_b64 s[0:1], exec, s[0:1]
; %bb.8:
	v_bfe_u32 v5, v7, 16, 1
	s_movk_i32 s2, 0x7fff
	v_add3_u32 v5, v7, v5, s2
                                        ; implicit-def: $vgpr7
; %bb.9:
	s_andn2_saveexec_b64 s[0:1], s[0:1]
; %bb.10:
	v_mov_b32_e32 v5, 0
	v_or_b32_e32 v6, 0x10000, v7
	v_cmp_eq_u32_sdwa vcc, v7, v5 src0_sel:WORD_0 src1_sel:DWORD
	v_cndmask_b32_e32 v5, v6, v7, vcc
; %bb.11:
	s_or_b64 exec, exec, s[0:1]
	s_mov_b32 s0, 0x7f800000
	v_and_b32_e32 v6, 0x7f800000, v2
	v_cmp_ne_u32_e32 vcc, s0, v6
                                        ; implicit-def: $vgpr6
	s_and_saveexec_b64 s[0:1], vcc
	s_xor_b64 s[0:1], exec, s[0:1]
; %bb.12:
	v_bfe_u32 v6, v2, 16, 1
	s_movk_i32 s2, 0x7fff
	v_add3_u32 v6, v2, v6, s2
; %bb.13:
	s_andn2_saveexec_b64 s[0:1], s[0:1]
; %bb.14:
	v_mov_b32_e32 v6, 0
	v_or_b32_e32 v7, 0x10000, v2
	v_cmp_eq_u32_sdwa vcc, v2, v6 src0_sel:WORD_0 src1_sel:DWORD
	v_cndmask_b32_e32 v6, v7, v2, vcc
; %bb.15:
	s_or_b64 exec, exec, s[0:1]
	s_mov_b32 s0, 0x7f800000
	v_and_b32_e32 v2, 0x7f800000, v3
	v_cmp_ne_u32_e32 vcc, s0, v2
                                        ; implicit-def: $vgpr2
	s_and_saveexec_b64 s[0:1], vcc
	s_xor_b64 s[0:1], exec, s[0:1]
; %bb.16:
	v_bfe_u32 v2, v3, 16, 1
	s_movk_i32 s2, 0x7fff
	v_add3_u32 v2, v3, v2, s2
                                        ; implicit-def: $vgpr3
; %bb.17:
	s_andn2_saveexec_b64 s[0:1], s[0:1]
; %bb.18:
	v_mov_b32_e32 v2, 0
	v_or_b32_e32 v7, 0x10000, v3
	v_cmp_eq_u32_sdwa vcc, v3, v2 src0_sel:WORD_0 src1_sel:DWORD
	v_cndmask_b32_e32 v2, v7, v3, vcc
; %bb.19:
	s_or_b64 exec, exec, s[0:1]
	v_lshrrev_b32_e32 v4, 16, v4
	s_mov_b32 s0, 0xffff0000
	v_and_b32_e32 v2, 0xffff0000, v2
	v_or_b32_sdwa v3, v2, v6 dst_sel:DWORD dst_unused:UNUSED_PAD src0_sel:DWORD src1_sel:WORD_1
	v_and_or_b32 v2, v5, s0, v4
	global_store_dwordx2 v[0:1], v[2:3], off
.LBB98_20:
	s_endpgm
	.section	.rodata,"a",@progbits
	.p2align	6, 0x0
	.amdhsa_kernel _ZN12tensorrt_llm7kernels21fusedQKNormRopeKernelIN3c108BFloat16ENS2_4HalfELi128ELb1EEEvPviiifPKvS7_S7_PKlii
		.amdhsa_group_segment_fixed_size 0
		.amdhsa_private_segment_fixed_size 0
		.amdhsa_kernarg_size 320
		.amdhsa_user_sgpr_count 6
		.amdhsa_user_sgpr_private_segment_buffer 1
		.amdhsa_user_sgpr_dispatch_ptr 0
		.amdhsa_user_sgpr_queue_ptr 0
		.amdhsa_user_sgpr_kernarg_segment_ptr 1
		.amdhsa_user_sgpr_dispatch_id 0
		.amdhsa_user_sgpr_flat_scratch_init 0
		.amdhsa_user_sgpr_kernarg_preload_length 0
		.amdhsa_user_sgpr_kernarg_preload_offset 0
		.amdhsa_user_sgpr_private_segment_size 0
		.amdhsa_uses_dynamic_stack 0
		.amdhsa_system_sgpr_private_segment_wavefront_offset 0
		.amdhsa_system_sgpr_workgroup_id_x 1
		.amdhsa_system_sgpr_workgroup_id_y 0
		.amdhsa_system_sgpr_workgroup_id_z 0
		.amdhsa_system_sgpr_workgroup_info 0
		.amdhsa_system_vgpr_workitem_id 0
		.amdhsa_next_free_vgpr 20
		.amdhsa_next_free_sgpr 14
		.amdhsa_accum_offset 20
		.amdhsa_reserve_vcc 1
		.amdhsa_reserve_flat_scratch 0
		.amdhsa_float_round_mode_32 0
		.amdhsa_float_round_mode_16_64 0
		.amdhsa_float_denorm_mode_32 3
		.amdhsa_float_denorm_mode_16_64 3
		.amdhsa_dx10_clamp 1
		.amdhsa_ieee_mode 1
		.amdhsa_fp16_overflow 0
		.amdhsa_tg_split 0
		.amdhsa_exception_fp_ieee_invalid_op 0
		.amdhsa_exception_fp_denorm_src 0
		.amdhsa_exception_fp_ieee_div_zero 0
		.amdhsa_exception_fp_ieee_overflow 0
		.amdhsa_exception_fp_ieee_underflow 0
		.amdhsa_exception_fp_ieee_inexact 0
		.amdhsa_exception_int_div_zero 0
	.end_amdhsa_kernel
	.section	.text._ZN12tensorrt_llm7kernels21fusedQKNormRopeKernelIN3c108BFloat16ENS2_4HalfELi128ELb1EEEvPviiifPKvS7_S7_PKlii,"axG",@progbits,_ZN12tensorrt_llm7kernels21fusedQKNormRopeKernelIN3c108BFloat16ENS2_4HalfELi128ELb1EEEvPviiifPKvS7_S7_PKlii,comdat
.Lfunc_end98:
	.size	_ZN12tensorrt_llm7kernels21fusedQKNormRopeKernelIN3c108BFloat16ENS2_4HalfELi128ELb1EEEvPviiifPKvS7_S7_PKlii, .Lfunc_end98-_ZN12tensorrt_llm7kernels21fusedQKNormRopeKernelIN3c108BFloat16ENS2_4HalfELi128ELb1EEEvPviiifPKvS7_S7_PKlii
                                        ; -- End function
	.section	.AMDGPU.csdata,"",@progbits
; Kernel info:
; codeLenInByte = 1388
; NumSgprs: 18
; NumVgprs: 20
; NumAgprs: 0
; TotalNumVgprs: 20
; ScratchSize: 0
; MemoryBound: 0
; FloatMode: 240
; IeeeMode: 1
; LDSByteSize: 0 bytes/workgroup (compile time only)
; SGPRBlocks: 2
; VGPRBlocks: 2
; NumSGPRsForWavesPerEU: 18
; NumVGPRsForWavesPerEU: 20
; AccumOffset: 20
; Occupancy: 8
; WaveLimiterHint : 1
; COMPUTE_PGM_RSRC2:SCRATCH_EN: 0
; COMPUTE_PGM_RSRC2:USER_SGPR: 6
; COMPUTE_PGM_RSRC2:TRAP_HANDLER: 0
; COMPUTE_PGM_RSRC2:TGID_X_EN: 1
; COMPUTE_PGM_RSRC2:TGID_Y_EN: 0
; COMPUTE_PGM_RSRC2:TGID_Z_EN: 0
; COMPUTE_PGM_RSRC2:TIDIG_COMP_CNT: 0
; COMPUTE_PGM_RSRC3_GFX90A:ACCUM_OFFSET: 4
; COMPUTE_PGM_RSRC3_GFX90A:TG_SPLIT: 0
	.section	.text._ZN12tensorrt_llm7kernels21fusedQKNormRopeKernelIN3c108BFloat16ENS2_4HalfELi128ELb0EEEvPviiifPKvS7_S7_PKlii,"axG",@progbits,_ZN12tensorrt_llm7kernels21fusedQKNormRopeKernelIN3c108BFloat16ENS2_4HalfELi128ELb0EEEvPviiifPKvS7_S7_PKlii,comdat
	.protected	_ZN12tensorrt_llm7kernels21fusedQKNormRopeKernelIN3c108BFloat16ENS2_4HalfELi128ELb0EEEvPviiifPKvS7_S7_PKlii ; -- Begin function _ZN12tensorrt_llm7kernels21fusedQKNormRopeKernelIN3c108BFloat16ENS2_4HalfELi128ELb0EEEvPviiifPKvS7_S7_PKlii
	.globl	_ZN12tensorrt_llm7kernels21fusedQKNormRopeKernelIN3c108BFloat16ENS2_4HalfELi128ELb0EEEvPviiifPKvS7_S7_PKlii
	.p2align	8
	.type	_ZN12tensorrt_llm7kernels21fusedQKNormRopeKernelIN3c108BFloat16ENS2_4HalfELi128ELb0EEEvPviiifPKvS7_S7_PKlii,@function
_ZN12tensorrt_llm7kernels21fusedQKNormRopeKernelIN3c108BFloat16ENS2_4HalfELi128ELb0EEEvPviiifPKvS7_S7_PKlii: ; @_ZN12tensorrt_llm7kernels21fusedQKNormRopeKernelIN3c108BFloat16ENS2_4HalfELi128ELb0EEEvPviiifPKvS7_S7_PKlii
; %bb.0:
	s_load_dwordx4 s[8:11], s[4:5], 0x8
	s_load_dwordx2 s[12:13], s[4:5], 0x38
	s_load_dword s1, s[4:5], 0x4c
	v_lshrrev_b32_e32 v2, 5, v0
	s_waitcnt lgkmcnt(0)
	s_add_i32 s0, s9, s8
	s_abs_i32 s2, s0
	v_cvt_f32_u32_e32 v1, s2
	s_bfe_u32 s1, s1, 0xb0005
	s_mul_i32 s6, s6, s1
	s_sub_i32 s1, 0, s2
	v_rcp_iflag_f32_e32 v3, v1
	v_add_u32_e32 v1, s6, v2
	v_sub_u32_e32 v4, 0, v1
	v_max_i32_e32 v4, v1, v4
	v_mul_f32_e32 v3, 0x4f7ffffe, v3
	v_cvt_u32_f32_e32 v3, v3
	v_xor_b32_e32 v2, s0, v1
	v_ashrrev_i32_e32 v2, 31, v2
	v_mul_lo_u32 v5, s1, v3
	v_mul_hi_u32 v5, v3, v5
	v_add_u32_e32 v3, v3, v5
	v_mul_hi_u32 v3, v4, v3
	v_mul_lo_u32 v5, v3, s2
	v_sub_u32_e32 v4, v4, v5
	v_add_u32_e32 v5, 1, v3
	v_cmp_le_u32_e32 vcc, s2, v4
	v_cndmask_b32_e32 v3, v3, v5, vcc
	v_subrev_u32_e32 v5, s2, v4
	v_cndmask_b32_e32 v4, v4, v5, vcc
	v_add_u32_e32 v5, 1, v3
	v_cmp_le_u32_e32 vcc, s2, v4
	v_cndmask_b32_e32 v3, v3, v5, vcc
	v_xor_b32_e32 v3, v3, v2
	v_sub_u32_e32 v6, v3, v2
	v_cmp_gt_i32_e32 vcc, s12, v6
	s_and_saveexec_b64 s[2:3], vcc
	s_cbranch_execz .LBB99_20
; %bb.1:
	v_and_b32_e32 v8, 31, v0
	v_mul_lo_u32 v0, v6, s0
	v_sub_u32_e32 v0, v1, v0
	v_mov_b32_e32 v1, s8
	v_cmp_gt_i32_e32 vcc, s8, v0
	v_cndmask_b32_e64 v1, v1, 0, vcc
	s_add_i32 s0, s0, s10
	s_load_dwordx2 s[2:3], s[4:5], 0x0
	v_sub_u32_e32 v0, v0, v1
	v_mul_lo_u32 v2, v6, s0
	v_add3_u32 v0, v2, v1, v0
	v_lshlrev_b32_e32 v1, 2, v8
	v_lshl_or_b32 v0, v0, 7, v1
	v_ashrrev_i32_e32 v1, 31, v0
	v_lshlrev_b64 v[0:1], 1, v[0:1]
	s_waitcnt lgkmcnt(0)
	v_mov_b32_e32 v2, s3
	v_add_co_u32_e64 v4, s[0:1], s2, v0
	v_addc_co_u32_e64 v5, s[0:1], v2, v1, s[0:1]
	global_load_dwordx2 v[0:1], v[4:5], off
	s_load_dwordx8 s[0:7], s[4:5], 0x18
	v_lshlrev_b32_e32 v10, 3, v8
	v_mov_b32_e32 v11, s11
	s_waitcnt lgkmcnt(0)
	v_mov_b32_e32 v2, s3
	v_mov_b32_e32 v3, s1
	;; [unrolled: 1-line block ×4, first 2 shown]
	v_cndmask_b32_e32 v3, v2, v3, vcc
	v_cndmask_b32_e32 v2, v7, v9, vcc
	v_add_co_u32_e32 v2, vcc, v2, v10
	v_addc_co_u32_e32 v3, vcc, 0, v3, vcc
	global_load_dwordx2 v[2:3], v[2:3], off
	v_mbcnt_lo_u32_b32 v7, -1, 0
	v_mbcnt_hi_u32_b32 v9, -1, v7
	v_and_b32_e32 v7, 0x60, v9
	v_xor_b32_e32 v12, 16, v9
	v_add_u32_e32 v7, 32, v7
	v_cmp_lt_i32_e32 vcc, v12, v7
	v_cndmask_b32_e32 v12, v9, v12, vcc
	v_lshlrev_b32_e32 v12, 2, v12
	s_mov_b32 s0, 0x800000
	s_ashr_i32 s2, s13, 31
	s_lshr_b32 s1, s2, 30
	s_add_i32 s1, s13, s1
	s_ashr_i32 s1, s1, 2
	s_waitcnt vmcnt(1)
	v_and_b32_e32 v13, 0xffff0000, v0
	v_lshlrev_b32_e32 v14, 16, v0
	v_alignbit_b32 v0, v1, v0, 16
	v_and_b32_e32 v15, 0xffff0000, v1
	v_mul_f32_e32 v1, v13, v13
	v_and_b32_e32 v16, 0xffff0000, v0
	v_fmac_f32_e32 v1, v14, v14
	v_fmac_f32_e32 v1, v16, v16
	v_fmac_f32_e32 v1, v15, v15
	ds_bpermute_b32 v0, v12, v1
	v_xor_b32_e32 v12, 8, v9
	v_cmp_lt_i32_e32 vcc, v12, v7
	v_cndmask_b32_e32 v12, v9, v12, vcc
	v_lshlrev_b32_e32 v12, 2, v12
	s_waitcnt lgkmcnt(0)
	v_add_f32_e32 v0, v1, v0
	ds_bpermute_b32 v1, v12, v0
	v_xor_b32_e32 v12, 4, v9
	v_cmp_lt_i32_e32 vcc, v12, v7
	v_cndmask_b32_e32 v12, v9, v12, vcc
	v_lshlrev_b32_e32 v12, 2, v12
	s_waitcnt lgkmcnt(0)
	v_add_f32_e32 v0, v0, v1
	;; [unrolled: 7-line block ×4, first 2 shown]
	ds_bpermute_b32 v1, v7, v0
	s_waitcnt vmcnt(0)
	v_lshlrev_b32_e32 v7, 16, v2
	s_waitcnt lgkmcnt(0)
	v_add_f32_e32 v0, v0, v1
	v_fmac_f32_e32 v11, 0x3c000000, v0
	v_mul_f32_e32 v0, 0x4b800000, v11
	v_cmp_gt_f32_e32 vcc, s0, v11
	v_cndmask_b32_e32 v0, v11, v0, vcc
	v_rsq_f32_e32 v0, v0
	v_and_b32_e32 v1, 0xffff0000, v2
	v_lshlrev_b32_e32 v2, 16, v3
	v_and_b32_e32 v3, 0xffff0000, v3
	v_mul_f32_e32 v11, 0x45800000, v0
	v_cndmask_b32_e32 v0, v0, v11, vcc
	v_mul_f32_e32 v7, v0, v7
	v_mul_f32_e32 v1, v0, v1
	;; [unrolled: 1-line block ×8, first 2 shown]
	v_cmp_gt_i32_e32 vcc, s1, v8
	s_and_saveexec_b64 s[0:1], vcc
	s_cbranch_execz .LBB99_3
; %bb.2:
	v_ashrrev_i32_e32 v7, 31, v6
	v_lshlrev_b64 v[6:7], 3, v[6:7]
	v_mov_b32_e32 v11, s7
	v_add_co_u32_e32 v6, vcc, s6, v6
	v_addc_co_u32_e32 v7, vcc, v11, v7, vcc
	global_load_dwordx2 v[6:7], v[6:7], off
	v_mov_b32_e32 v11, s5
	s_abs_i32 s5, s13
	v_cvt_f32_u32_e32 v13, s5
	s_sub_i32 s8, 0, s5
	v_or_b32_e32 v12, 2, v10
	v_or_b32_e32 v14, 4, v10
	v_rcp_iflag_f32_e32 v13, v13
	s_lshr_b32 s3, s13, 31
	s_add_i32 s3, s13, s3
	s_ashr_i32 s6, s3, 1
	v_mul_f32_e32 v13, 0x4f7ffffe, v13
	v_cvt_u32_f32_e32 v13, v13
	s_ashr_i32 s7, s6, 31
	s_lshl_b64 s[6:7], s[6:7], 1
	v_mov_b32_e32 v15, s7
	v_mul_lo_u32 v16, s8, v13
	v_mul_hi_u32 v16, v13, v16
	v_add_u32_e32 v18, v13, v16
	v_mul_hi_u32 v13, v10, v18
	v_mul_hi_u32 v16, v12, v18
	v_mul_lo_u32 v13, v13, s5
	v_mul_hi_u32 v17, v14, v18
	v_mul_lo_u32 v16, v16, s5
	v_sub_u32_e32 v13, v10, v13
	v_mul_lo_u32 v17, v17, s5
	v_sub_u32_e32 v12, v12, v16
	v_subrev_u32_e32 v16, s5, v13
	v_cmp_le_u32_e32 vcc, s5, v13
	v_sub_u32_e32 v14, v14, v17
	v_subrev_u32_e32 v17, s5, v12
	v_cndmask_b32_e32 v13, v13, v16, vcc
	v_cmp_le_u32_e32 vcc, s5, v12
	v_subrev_u32_e32 v19, s5, v14
	v_cndmask_b32_e32 v12, v12, v17, vcc
	v_cmp_le_u32_e32 vcc, s5, v14
	v_cndmask_b32_e32 v19, v14, v19, vcc
	v_subrev_u32_e32 v14, s5, v13
	v_cmp_le_u32_e32 vcc, s5, v13
	v_subrev_u32_e32 v16, s5, v12
	v_cndmask_b32_e32 v13, v13, v14, vcc
	v_cmp_le_u32_e32 vcc, s5, v12
	v_cndmask_b32_e32 v12, v12, v16, vcc
	v_and_b32_e32 v14, -2, v13
	v_and_b32_e32 v16, -2, v12
	v_subrev_u32_e32 v20, s5, v19
	; wave barrier
	s_waitcnt vmcnt(0)
	v_mul_lo_u32 v12, v7, s13
	v_mul_lo_u32 v13, v6, s2
	v_mad_u64_u32 v[6:7], s[8:9], v6, s13, 0
	v_add3_u32 v7, v7, v13, v12
	v_lshlrev_b64 v[6:7], 1, v[6:7]
	v_add_co_u32_e32 v21, vcc, s4, v6
	v_addc_co_u32_e32 v11, vcc, v11, v7, vcc
	v_add_co_u32_e32 v22, vcc, s6, v21
	v_addc_co_u32_e32 v23, vcc, v11, v15, vcc
	;; [unrolled: 2-line block ×6, first 2 shown]
	v_cmp_le_u32_e32 vcc, s5, v19
	global_load_ushort v24, v[6:7], off
	global_load_ushort v25, v[14:15], off
	global_load_ushort v26, v[12:13], off
	global_load_ushort v27, v[16:17], off
	v_cndmask_b32_e32 v6, v19, v20, vcc
	v_and_b32_e32 v12, -2, v6
	v_add_co_u32_e32 v6, vcc, v22, v12
	v_addc_co_u32_e32 v7, vcc, 0, v23, vcc
	global_load_ushort v13, v[6:7], off
	v_or_b32_e32 v6, 6, v10
	v_mul_hi_u32 v7, v6, v18
	v_mul_lo_u32 v7, v7, s5
	v_sub_u32_e32 v6, v6, v7
	v_subrev_u32_e32 v7, s5, v6
	v_cmp_le_u32_e32 vcc, s5, v6
	v_cndmask_b32_e32 v6, v6, v7, vcc
	v_subrev_u32_e32 v7, s5, v6
	v_cmp_le_u32_e32 vcc, s5, v6
	v_cndmask_b32_e32 v6, v6, v7, vcc
	v_and_b32_e32 v10, -2, v6
	v_add_co_u32_e32 v6, vcc, v22, v10
	v_addc_co_u32_e32 v7, vcc, 0, v23, vcc
	global_load_ushort v14, v[6:7], off
	v_add_co_u32_e32 v6, vcc, v21, v12
	v_addc_co_u32_e32 v7, vcc, 0, v11, vcc
	global_load_ushort v12, v[6:7], off
	;; [unrolled: 3-line block ×3, first 2 shown]
	s_lshr_b32 s2, s2, 29
	s_add_i32 s2, s13, s2
	v_and_b32_e32 v7, 64, v9
	s_ashr_i32 s2, s2, 3
	v_add_u32_e32 v7, 64, v7
	v_xor_b32_e32 v10, s2, v9
	v_cmp_lt_i32_e32 vcc, v10, v7
	v_cndmask_b32_e32 v7, v9, v10, vcc
	v_lshlrev_b32_e32 v7, 2, v7
	ds_bpermute_b32 v9, v7, v0
	ds_bpermute_b32 v10, v7, v1
	;; [unrolled: 1-line block ×4, first 2 shown]
	v_cmp_gt_i32_e32 vcc, s2, v8
	s_waitcnt lgkmcnt(3)
	v_cndmask_b32_e64 v8, v9, -v9, vcc
	s_waitcnt lgkmcnt(2)
	v_cndmask_b32_e64 v9, v10, -v10, vcc
	;; [unrolled: 2-line block ×4, first 2 shown]
	; wave barrier
	s_waitcnt vmcnt(6)
	v_cvt_f32_f16_e32 v11, v25
	s_waitcnt vmcnt(4)
	v_cvt_f32_f16_e32 v15, v27
	v_mul_f32_e32 v8, v8, v11
	v_fma_mix_f32 v0, v0, v24, v8 op_sel_hi:[0,1,0]
	v_mul_f32_e32 v9, v9, v15
	v_fma_mix_f32 v1, v1, v26, v9 op_sel_hi:[0,1,0]
	s_waitcnt vmcnt(3)
	v_cvt_f32_f16_e32 v13, v13
	v_mul_f32_e32 v10, v10, v13
	s_waitcnt vmcnt(2)
	v_cvt_f32_f16_e32 v14, v14
	v_mul_f32_e32 v7, v7, v14
	s_waitcnt vmcnt(1)
	v_fma_mix_f32 v2, v2, v12, v10 op_sel_hi:[0,1,0]
	s_waitcnt vmcnt(0)
	v_fma_mix_f32 v3, v3, v6, v7 op_sel_hi:[0,1,0]
.LBB99_3:
	s_or_b64 exec, exec, s[0:1]
	s_mov_b32 s0, 0x7f800000
	v_and_b32_e32 v6, 0x7f800000, v0
	v_cmp_ne_u32_e32 vcc, s0, v6
                                        ; implicit-def: $vgpr6
	s_and_saveexec_b64 s[0:1], vcc
	s_xor_b64 s[0:1], exec, s[0:1]
; %bb.4:
	v_bfe_u32 v6, v0, 16, 1
	s_movk_i32 s2, 0x7fff
	v_add3_u32 v6, v0, v6, s2
; %bb.5:
	s_andn2_saveexec_b64 s[0:1], s[0:1]
; %bb.6:
	v_mov_b32_e32 v6, 0
	v_or_b32_e32 v7, 0x10000, v0
	v_cmp_eq_u32_sdwa vcc, v0, v6 src0_sel:WORD_0 src1_sel:DWORD
	v_cndmask_b32_e32 v6, v7, v0, vcc
; %bb.7:
	s_or_b64 exec, exec, s[0:1]
	s_mov_b32 s0, 0x7f800000
	v_and_b32_e32 v0, 0x7f800000, v1
	v_cmp_ne_u32_e32 vcc, s0, v0
                                        ; implicit-def: $vgpr7
	s_and_saveexec_b64 s[0:1], vcc
	s_xor_b64 s[0:1], exec, s[0:1]
; %bb.8:
	v_bfe_u32 v0, v1, 16, 1
	s_movk_i32 s2, 0x7fff
	v_add3_u32 v7, v1, v0, s2
; %bb.9:
	s_andn2_saveexec_b64 s[0:1], s[0:1]
; %bb.10:
	v_mov_b32_e32 v0, 0
	v_or_b32_e32 v7, 0x10000, v1
	v_cmp_eq_u32_sdwa vcc, v1, v0 src0_sel:WORD_0 src1_sel:DWORD
	v_cndmask_b32_e32 v7, v7, v1, vcc
; %bb.11:
	s_or_b64 exec, exec, s[0:1]
	s_mov_b32 s0, 0x7f800000
	v_and_b32_e32 v0, 0x7f800000, v2
	v_cmp_ne_u32_e32 vcc, s0, v0
                                        ; implicit-def: $vgpr8
	s_and_saveexec_b64 s[0:1], vcc
	s_xor_b64 s[0:1], exec, s[0:1]
; %bb.12:
	v_bfe_u32 v0, v2, 16, 1
	s_movk_i32 s2, 0x7fff
	v_add3_u32 v8, v2, v0, s2
; %bb.13:
	s_andn2_saveexec_b64 s[0:1], s[0:1]
; %bb.14:
	v_mov_b32_e32 v0, 0
	v_or_b32_e32 v1, 0x10000, v2
	v_cmp_eq_u32_sdwa vcc, v2, v0 src0_sel:WORD_0 src1_sel:DWORD
	v_cndmask_b32_e32 v8, v1, v2, vcc
; %bb.15:
	s_or_b64 exec, exec, s[0:1]
	s_mov_b32 s0, 0x7f800000
	v_and_b32_e32 v0, 0x7f800000, v3
	v_cmp_ne_u32_e32 vcc, s0, v0
                                        ; implicit-def: $vgpr9
	s_and_saveexec_b64 s[0:1], vcc
	s_xor_b64 s[0:1], exec, s[0:1]
; %bb.16:
	v_bfe_u32 v0, v3, 16, 1
	s_movk_i32 s2, 0x7fff
	v_add3_u32 v9, v3, v0, s2
                                        ; implicit-def: $vgpr0_vgpr1_vgpr2_vgpr3
; %bb.17:
	s_andn2_saveexec_b64 s[0:1], s[0:1]
; %bb.18:
	v_mov_b32_e32 v0, 0
	v_or_b32_e32 v1, 0x10000, v3
	v_cmp_eq_u32_sdwa vcc, v3, v0 src0_sel:WORD_0 src1_sel:DWORD
	v_cndmask_b32_e32 v9, v1, v3, vcc
; %bb.19:
	s_or_b64 exec, exec, s[0:1]
	v_lshrrev_b32_e32 v0, 16, v6
	s_mov_b32 s0, 0xffff0000
	v_and_b32_e32 v1, 0xffff0000, v9
	v_or_b32_sdwa v1, v1, v8 dst_sel:DWORD dst_unused:UNUSED_PAD src0_sel:DWORD src1_sel:WORD_1
	v_and_or_b32 v0, v7, s0, v0
	global_store_dwordx2 v[4:5], v[0:1], off
.LBB99_20:
	s_endpgm
	.section	.rodata,"a",@progbits
	.p2align	6, 0x0
	.amdhsa_kernel _ZN12tensorrt_llm7kernels21fusedQKNormRopeKernelIN3c108BFloat16ENS2_4HalfELi128ELb0EEEvPviiifPKvS7_S7_PKlii
		.amdhsa_group_segment_fixed_size 0
		.amdhsa_private_segment_fixed_size 0
		.amdhsa_kernarg_size 320
		.amdhsa_user_sgpr_count 6
		.amdhsa_user_sgpr_private_segment_buffer 1
		.amdhsa_user_sgpr_dispatch_ptr 0
		.amdhsa_user_sgpr_queue_ptr 0
		.amdhsa_user_sgpr_kernarg_segment_ptr 1
		.amdhsa_user_sgpr_dispatch_id 0
		.amdhsa_user_sgpr_flat_scratch_init 0
		.amdhsa_user_sgpr_kernarg_preload_length 0
		.amdhsa_user_sgpr_kernarg_preload_offset 0
		.amdhsa_user_sgpr_private_segment_size 0
		.amdhsa_uses_dynamic_stack 0
		.amdhsa_system_sgpr_private_segment_wavefront_offset 0
		.amdhsa_system_sgpr_workgroup_id_x 1
		.amdhsa_system_sgpr_workgroup_id_y 0
		.amdhsa_system_sgpr_workgroup_id_z 0
		.amdhsa_system_sgpr_workgroup_info 0
		.amdhsa_system_vgpr_workitem_id 0
		.amdhsa_next_free_vgpr 28
		.amdhsa_next_free_sgpr 14
		.amdhsa_accum_offset 28
		.amdhsa_reserve_vcc 1
		.amdhsa_reserve_flat_scratch 0
		.amdhsa_float_round_mode_32 0
		.amdhsa_float_round_mode_16_64 0
		.amdhsa_float_denorm_mode_32 3
		.amdhsa_float_denorm_mode_16_64 3
		.amdhsa_dx10_clamp 1
		.amdhsa_ieee_mode 1
		.amdhsa_fp16_overflow 0
		.amdhsa_tg_split 0
		.amdhsa_exception_fp_ieee_invalid_op 0
		.amdhsa_exception_fp_denorm_src 0
		.amdhsa_exception_fp_ieee_div_zero 0
		.amdhsa_exception_fp_ieee_overflow 0
		.amdhsa_exception_fp_ieee_underflow 0
		.amdhsa_exception_fp_ieee_inexact 0
		.amdhsa_exception_int_div_zero 0
	.end_amdhsa_kernel
	.section	.text._ZN12tensorrt_llm7kernels21fusedQKNormRopeKernelIN3c108BFloat16ENS2_4HalfELi128ELb0EEEvPviiifPKvS7_S7_PKlii,"axG",@progbits,_ZN12tensorrt_llm7kernels21fusedQKNormRopeKernelIN3c108BFloat16ENS2_4HalfELi128ELb0EEEvPviiifPKvS7_S7_PKlii,comdat
.Lfunc_end99:
	.size	_ZN12tensorrt_llm7kernels21fusedQKNormRopeKernelIN3c108BFloat16ENS2_4HalfELi128ELb0EEEvPviiifPKvS7_S7_PKlii, .Lfunc_end99-_ZN12tensorrt_llm7kernels21fusedQKNormRopeKernelIN3c108BFloat16ENS2_4HalfELi128ELb0EEEvPviiifPKvS7_S7_PKlii
                                        ; -- End function
	.section	.AMDGPU.csdata,"",@progbits
; Kernel info:
; codeLenInByte = 1828
; NumSgprs: 18
; NumVgprs: 28
; NumAgprs: 0
; TotalNumVgprs: 28
; ScratchSize: 0
; MemoryBound: 0
; FloatMode: 240
; IeeeMode: 1
; LDSByteSize: 0 bytes/workgroup (compile time only)
; SGPRBlocks: 2
; VGPRBlocks: 3
; NumSGPRsForWavesPerEU: 18
; NumVGPRsForWavesPerEU: 28
; AccumOffset: 28
; Occupancy: 8
; WaveLimiterHint : 1
; COMPUTE_PGM_RSRC2:SCRATCH_EN: 0
; COMPUTE_PGM_RSRC2:USER_SGPR: 6
; COMPUTE_PGM_RSRC2:TRAP_HANDLER: 0
; COMPUTE_PGM_RSRC2:TGID_X_EN: 1
; COMPUTE_PGM_RSRC2:TGID_Y_EN: 0
; COMPUTE_PGM_RSRC2:TGID_Z_EN: 0
; COMPUTE_PGM_RSRC2:TIDIG_COMP_CNT: 0
; COMPUTE_PGM_RSRC3_GFX90A:ACCUM_OFFSET: 6
; COMPUTE_PGM_RSRC3_GFX90A:TG_SPLIT: 0
	.section	.text._ZN12tensorrt_llm7kernels21fusedQKNormRopeKernelIN3c108BFloat16ENS2_4HalfELi256ELb1EEEvPviiifPKvS7_S7_PKlii,"axG",@progbits,_ZN12tensorrt_llm7kernels21fusedQKNormRopeKernelIN3c108BFloat16ENS2_4HalfELi256ELb1EEEvPviiifPKvS7_S7_PKlii,comdat
	.protected	_ZN12tensorrt_llm7kernels21fusedQKNormRopeKernelIN3c108BFloat16ENS2_4HalfELi256ELb1EEEvPviiifPKvS7_S7_PKlii ; -- Begin function _ZN12tensorrt_llm7kernels21fusedQKNormRopeKernelIN3c108BFloat16ENS2_4HalfELi256ELb1EEEvPviiifPKvS7_S7_PKlii
	.globl	_ZN12tensorrt_llm7kernels21fusedQKNormRopeKernelIN3c108BFloat16ENS2_4HalfELi256ELb1EEEvPviiifPKvS7_S7_PKlii
	.p2align	8
	.type	_ZN12tensorrt_llm7kernels21fusedQKNormRopeKernelIN3c108BFloat16ENS2_4HalfELi256ELb1EEEvPviiifPKvS7_S7_PKlii,@function
_ZN12tensorrt_llm7kernels21fusedQKNormRopeKernelIN3c108BFloat16ENS2_4HalfELi256ELb1EEEvPviiifPKvS7_S7_PKlii: ; @_ZN12tensorrt_llm7kernels21fusedQKNormRopeKernelIN3c108BFloat16ENS2_4HalfELi256ELb1EEEvPviiifPKvS7_S7_PKlii
; %bb.0:
	s_load_dwordx4 s[8:11], s[4:5], 0x8
	s_load_dwordx2 s[12:13], s[4:5], 0x38
	s_load_dword s1, s[4:5], 0x4c
	v_lshrrev_b32_e32 v2, 5, v0
	s_waitcnt lgkmcnt(0)
	s_add_i32 s0, s9, s8
	s_abs_i32 s2, s0
	v_cvt_f32_u32_e32 v1, s2
	s_bfe_u32 s1, s1, 0xb0005
	s_mul_i32 s6, s6, s1
	s_sub_i32 s1, 0, s2
	v_rcp_iflag_f32_e32 v3, v1
	v_add_u32_e32 v1, s6, v2
	v_sub_u32_e32 v4, 0, v1
	v_max_i32_e32 v4, v1, v4
	v_mul_f32_e32 v3, 0x4f7ffffe, v3
	v_cvt_u32_f32_e32 v3, v3
	v_xor_b32_e32 v2, s0, v1
	v_ashrrev_i32_e32 v2, 31, v2
	v_mul_lo_u32 v5, s1, v3
	v_mul_hi_u32 v5, v3, v5
	v_add_u32_e32 v3, v3, v5
	v_mul_hi_u32 v3, v4, v3
	v_mul_lo_u32 v5, v3, s2
	v_sub_u32_e32 v4, v4, v5
	v_add_u32_e32 v5, 1, v3
	v_cmp_le_u32_e32 vcc, s2, v4
	v_cndmask_b32_e32 v3, v3, v5, vcc
	v_subrev_u32_e32 v5, s2, v4
	v_cndmask_b32_e32 v4, v4, v5, vcc
	v_add_u32_e32 v5, 1, v3
	v_cmp_le_u32_e32 vcc, s2, v4
	v_cndmask_b32_e32 v3, v3, v5, vcc
	v_xor_b32_e32 v3, v3, v2
	v_sub_u32_e32 v8, v3, v2
	v_cmp_gt_i32_e32 vcc, s12, v8
	s_and_saveexec_b64 s[2:3], vcc
	s_cbranch_execz .LBB100_36
; %bb.1:
	v_and_b32_e32 v9, 31, v0
	v_mul_lo_u32 v0, v8, s0
	v_sub_u32_e32 v0, v1, v0
	v_mov_b32_e32 v1, s8
	v_cmp_gt_i32_e32 vcc, s8, v0
	v_cndmask_b32_e64 v1, v1, 0, vcc
	s_add_i32 s0, s0, s10
	s_load_dwordx2 s[2:3], s[4:5], 0x0
	v_sub_u32_e32 v0, v0, v1
	v_mul_lo_u32 v2, v8, s0
	v_add3_u32 v0, v2, v1, v0
	v_lshlrev_b32_e32 v12, 3, v9
	v_lshl_or_b32 v0, v0, 8, v12
	v_ashrrev_i32_e32 v1, 31, v0
	v_lshlrev_b64 v[0:1], 1, v[0:1]
	s_waitcnt lgkmcnt(0)
	v_mov_b32_e32 v2, s3
	v_add_co_u32_e64 v4, s[0:1], s2, v0
	v_addc_co_u32_e64 v5, s[0:1], v2, v1, s[0:1]
	global_load_dwordx4 v[14:17], v[4:5], off
	s_load_dwordx8 s[0:7], s[4:5], 0x18
	v_lshlrev_b32_e32 v0, 4, v9
	v_mov_b32_e32 v13, s11
	s_waitcnt lgkmcnt(0)
	v_mov_b32_e32 v1, s3
	v_mov_b32_e32 v2, s1
	;; [unrolled: 1-line block ×4, first 2 shown]
	v_cndmask_b32_e32 v1, v1, v2, vcc
	v_cndmask_b32_e32 v2, v3, v6, vcc
	v_add_co_u32_e32 v0, vcc, v2, v0
	v_addc_co_u32_e32 v1, vcc, 0, v1, vcc
	global_load_dwordx4 v[0:3], v[0:1], off
	v_mbcnt_lo_u32_b32 v6, -1, 0
	v_mbcnt_hi_u32_b32 v26, -1, v6
	v_and_b32_e32 v6, 0x60, v26
	v_xor_b32_e32 v7, 16, v26
	v_add_u32_e32 v30, 32, v6
	v_cmp_lt_i32_e32 vcc, v7, v30
	v_cndmask_b32_e32 v6, v26, v7, vcc
	v_lshlrev_b32_e32 v31, 2, v6
	v_xor_b32_e32 v27, 8, v26
	v_cmp_lt_i32_e32 vcc, v27, v30
	v_xor_b32_e32 v28, 4, v26
	v_xor_b32_e32 v29, 2, v26
	s_mov_b32 s0, 0x800000
	s_ashr_i32 s2, s13, 31
	s_lshr_b32 s1, s2, 29
	s_add_i32 s1, s13, s1
	s_ashr_i32 s1, s1, 3
	s_waitcnt vmcnt(1)
	v_and_b32_e32 v7, 0xffff0000, v14
	v_lshlrev_b32_e32 v6, 16, v14
	v_and_b32_e32 v19, 0xffff0000, v17
	v_lshlrev_b32_e32 v18, 16, v17
	v_and_b32_e32 v21, 0xffff0000, v15
	v_lshlrev_b32_e32 v20, 16, v15
	v_and_b32_e32 v15, 0xffff0000, v16
	v_lshlrev_b32_e32 v14, 16, v16
	v_pk_mul_f32 v[16:17], v[6:7], v[6:7]
	v_pk_mul_f32 v[22:23], v[20:21], v[20:21]
	v_add_f32_e32 v16, v16, v17
	v_add_f32_e32 v16, v16, v22
	v_pk_mul_f32 v[24:25], v[14:15], v[14:15]
	v_add_f32_e32 v16, v16, v23
	v_add_f32_e32 v16, v16, v24
	;; [unrolled: 3-line block ×3, first 2 shown]
	v_add_f32_e32 v10, v10, v11
	ds_bpermute_b32 v11, v31, v10
	v_cndmask_b32_e32 v17, v26, v27, vcc
	v_lshlrev_b32_e32 v17, 2, v17
	v_cmp_lt_i32_e32 vcc, v28, v30
	v_xor_b32_e32 v16, 1, v26
	s_waitcnt lgkmcnt(0)
	v_add_f32_e32 v10, v10, v11
	ds_bpermute_b32 v11, v17, v10
	v_cndmask_b32_e32 v17, v26, v28, vcc
	v_lshlrev_b32_e32 v17, 2, v17
	v_cmp_lt_i32_e32 vcc, v29, v30
	s_waitcnt lgkmcnt(0)
	v_add_f32_e32 v10, v10, v11
	ds_bpermute_b32 v11, v17, v10
	v_cndmask_b32_e32 v17, v26, v29, vcc
	v_lshlrev_b32_e32 v17, 2, v17
	v_cmp_lt_i32_e32 vcc, v16, v30
	s_waitcnt lgkmcnt(0)
	v_add_f32_e32 v10, v10, v11
	ds_bpermute_b32 v17, v17, v10
	v_cndmask_b32_e32 v11, v26, v16, vcc
	v_lshlrev_b32_e32 v16, 2, v11
	s_waitcnt vmcnt(0)
	v_and_b32_e32 v11, 0xffff0000, v0
	s_waitcnt lgkmcnt(0)
	v_add_f32_e32 v22, v10, v17
	ds_bpermute_b32 v23, v16, v22
	v_lshlrev_b32_e32 v10, 16, v0
	v_and_b32_e32 v17, 0xffff0000, v1
	v_lshlrev_b32_e32 v16, 16, v1
	v_and_b32_e32 v1, 0xffff0000, v2
	s_waitcnt lgkmcnt(0)
	v_add_f32_e32 v0, v22, v23
	v_fmac_f32_e32 v13, 0x3b800000, v0
	v_mul_f32_e32 v0, 0x4b800000, v13
	v_cmp_gt_f32_e32 vcc, s0, v13
	v_cndmask_b32_e32 v0, v13, v0, vcc
	v_rsq_f32_e32 v13, v0
	v_lshlrev_b32_e32 v0, 16, v2
	v_and_b32_e32 v23, 0xffff0000, v3
	v_lshlrev_b32_e32 v22, 16, v3
	v_mul_f32_e32 v2, 0x45800000, v13
	v_cndmask_b32_e32 v2, v13, v2, vcc
	v_pk_mul_f32 v[10:11], v[2:3], v[10:11] op_sel_hi:[0,1]
	v_pk_mul_f32 v[16:17], v[2:3], v[16:17] op_sel_hi:[0,1]
	;; [unrolled: 1-line block ×4, first 2 shown]
	v_pk_mul_f32 v[10:11], v[10:11], v[6:7]
	v_pk_mul_f32 v[6:7], v[16:17], v[20:21]
	;; [unrolled: 1-line block ×4, first 2 shown]
	v_cmp_gt_i32_e32 vcc, s1, v9
	s_and_saveexec_b64 s[0:1], vcc
	s_cbranch_execz .LBB100_3
; %bb.2:
	v_ashrrev_i32_e32 v9, 31, v8
	v_lshlrev_b64 v[8:9], 3, v[8:9]
	v_mov_b32_e32 v13, s7
	v_add_co_u32_e32 v8, vcc, s6, v8
	v_addc_co_u32_e32 v9, vcc, v13, v9, vcc
	global_load_dwordx2 v[8:9], v[8:9], off
	s_lshr_b32 s3, s13, 31
	s_add_i32 s3, s13, s3
	s_ashr_i32 s6, s3, 1
	v_mov_b32_e32 v13, s5
	s_ashr_i32 s7, s6, 31
	s_lshl_b64 s[6:7], s[6:7], 1
	v_mov_b32_e32 v14, s7
	s_waitcnt vmcnt(0)
	v_mul_lo_u32 v15, v9, s13
	v_mul_lo_u32 v16, v8, s2
	v_mad_u64_u32 v[8:9], s[2:3], v8, s13, 0
	v_add3_u32 v9, v9, v16, v15
	v_lshlrev_b64 v[8:9], 1, v[8:9]
	v_add_co_u32_e32 v8, vcc, s4, v8
	v_addc_co_u32_e32 v9, vcc, v13, v9, vcc
	v_add_co_u32_e32 v8, vcc, v8, v12
	v_addc_co_u32_e32 v9, vcc, 0, v9, vcc
	global_load_dwordx2 v[12:13], v[8:9], off
	v_add_co_u32_e32 v8, vcc, s6, v8
	v_addc_co_u32_e32 v9, vcc, v9, v14, vcc
	global_load_dwordx2 v[8:9], v[8:9], off
	v_mov_b32_e32 v14, v1
	s_waitcnt vmcnt(1)
	v_cvt_f32_f16_e32 v16, v12
	v_cvt_f32_f16_sdwa v12, v12 dst_sel:DWORD dst_unused:UNUSED_PAD src0_sel:WORD_1
	v_cvt_f32_f16_e32 v18, v13
	v_cvt_f32_f16_sdwa v21, v13 dst_sel:DWORD dst_unused:UNUSED_PAD src0_sel:WORD_1
	v_pk_mul_f32 v[26:27], v[10:11], v[16:17] op_sel_hi:[1,0]
	s_waitcnt vmcnt(0)
	v_cvt_f32_f16_e32 v22, v8
	v_cvt_f32_f16_sdwa v8, v8 dst_sel:DWORD dst_unused:UNUSED_PAD src0_sel:WORD_1
	v_cvt_f32_f16_e32 v24, v9
	v_cvt_f32_f16_sdwa v20, v9 dst_sel:DWORD dst_unused:UNUSED_PAD src0_sel:WORD_1
	v_pk_mul_f32 v[22:23], v[10:11], v[22:23] op_sel_hi:[1,0]
	v_pk_mul_f32 v[8:9], v[6:7], v[8:9] op_sel_hi:[1,0]
	;; [unrolled: 1-line block ×3, first 2 shown]
	v_pk_mul_f32 v[30:31], v[0:1], v[20:21]
	v_pk_fma_f32 v[10:11], v[10:11], v[16:17], v[22:23] op_sel:[0,0,1] op_sel_hi:[1,0,0]
	v_pk_fma_f32 v[16:17], v[6:7], v[12:13], v[8:9] op_sel:[0,0,1] op_sel_hi:[1,0,0] neg_lo:[0,0,1] neg_hi:[0,0,1]
	v_pk_fma_f32 v[6:7], v[6:7], v[12:13], v[8:9] op_sel:[0,0,1] op_sel_hi:[1,0,0]
	v_pk_fma_f32 v[8:9], v[2:3], v[18:19], v[24:25] op_sel:[0,0,1] op_sel_hi:[1,0,0] neg_lo:[0,0,1] neg_hi:[0,0,1]
	v_pk_fma_f32 v[2:3], v[2:3], v[18:19], v[24:25] op_sel:[0,0,1] op_sel_hi:[1,0,0]
	v_mov_b32_e32 v28, v21
	v_pk_mul_f32 v[14:15], v[14:15], v[20:21]
	v_mov_b32_e32 v2, v31
	v_pk_fma_f32 v[12:13], v[0:1], v[28:29], v[14:15] op_sel_hi:[1,0,1] neg_lo:[0,0,1] neg_hi:[0,0,1]
	v_pk_fma_f32 v[14:15], v[0:1], v[20:21], v[2:3]
	v_sub_f32_e32 v10, v26, v23
	v_mov_b32_e32 v6, v16
	v_mov_b32_e32 v2, v8
	;; [unrolled: 1-line block ×4, first 2 shown]
.LBB100_3:
	s_or_b64 exec, exec, s[0:1]
	s_mov_b32 s0, 0x7f800000
	v_and_b32_e32 v8, 0x7f800000, v10
	v_cmp_ne_u32_e32 vcc, s0, v8
                                        ; implicit-def: $vgpr8
	s_and_saveexec_b64 s[0:1], vcc
	s_xor_b64 s[0:1], exec, s[0:1]
; %bb.4:
	v_bfe_u32 v8, v10, 16, 1
	s_movk_i32 s2, 0x7fff
	v_add3_u32 v8, v10, v8, s2
; %bb.5:
	s_andn2_saveexec_b64 s[0:1], s[0:1]
; %bb.6:
	v_mov_b32_e32 v8, 0
	v_or_b32_e32 v9, 0x10000, v10
	v_cmp_eq_u32_sdwa vcc, v10, v8 src0_sel:WORD_0 src1_sel:DWORD
	v_cndmask_b32_e32 v8, v9, v10, vcc
; %bb.7:
	s_or_b64 exec, exec, s[0:1]
	s_mov_b32 s0, 0x7f800000
	v_and_b32_e32 v9, 0x7f800000, v11
	v_cmp_ne_u32_e32 vcc, s0, v9
                                        ; implicit-def: $vgpr9
	s_and_saveexec_b64 s[0:1], vcc
	s_xor_b64 s[0:1], exec, s[0:1]
; %bb.8:
	v_bfe_u32 v9, v11, 16, 1
	s_movk_i32 s2, 0x7fff
	v_add3_u32 v9, v11, v9, s2
                                        ; implicit-def: $vgpr11
; %bb.9:
	s_andn2_saveexec_b64 s[0:1], s[0:1]
; %bb.10:
	v_mov_b32_e32 v9, 0
	v_or_b32_e32 v10, 0x10000, v11
	v_cmp_eq_u32_sdwa vcc, v11, v9 src0_sel:WORD_0 src1_sel:DWORD
	v_cndmask_b32_e32 v9, v10, v11, vcc
; %bb.11:
	s_or_b64 exec, exec, s[0:1]
	s_mov_b32 s0, 0x7f800000
	v_and_b32_e32 v10, 0x7f800000, v6
	v_cmp_ne_u32_e32 vcc, s0, v10
                                        ; implicit-def: $vgpr10
	s_and_saveexec_b64 s[0:1], vcc
	s_xor_b64 s[0:1], exec, s[0:1]
; %bb.12:
	v_bfe_u32 v10, v6, 16, 1
	s_movk_i32 s2, 0x7fff
	v_add3_u32 v10, v6, v10, s2
; %bb.13:
	s_andn2_saveexec_b64 s[0:1], s[0:1]
; %bb.14:
	v_mov_b32_e32 v10, 0
	v_or_b32_e32 v11, 0x10000, v6
	v_cmp_eq_u32_sdwa vcc, v6, v10 src0_sel:WORD_0 src1_sel:DWORD
	v_cndmask_b32_e32 v10, v11, v6, vcc
; %bb.15:
	s_or_b64 exec, exec, s[0:1]
	s_mov_b32 s0, 0x7f800000
	v_and_b32_e32 v6, 0x7f800000, v7
	v_cmp_ne_u32_e32 vcc, s0, v6
                                        ; implicit-def: $vgpr6
	s_and_saveexec_b64 s[0:1], vcc
	s_xor_b64 s[0:1], exec, s[0:1]
; %bb.16:
	v_bfe_u32 v6, v7, 16, 1
	s_movk_i32 s2, 0x7fff
	v_add3_u32 v6, v7, v6, s2
                                        ; implicit-def: $vgpr7
; %bb.17:
	s_andn2_saveexec_b64 s[0:1], s[0:1]
; %bb.18:
	v_mov_b32_e32 v6, 0
	v_or_b32_e32 v11, 0x10000, v7
	v_cmp_eq_u32_sdwa vcc, v7, v6 src0_sel:WORD_0 src1_sel:DWORD
	v_cndmask_b32_e32 v6, v11, v7, vcc
; %bb.19:
	s_or_b64 exec, exec, s[0:1]
	s_mov_b32 s0, 0x7f800000
	v_and_b32_e32 v7, 0x7f800000, v2
	v_cmp_ne_u32_e32 vcc, s0, v7
                                        ; implicit-def: $vgpr7
	s_and_saveexec_b64 s[0:1], vcc
	s_xor_b64 s[0:1], exec, s[0:1]
; %bb.20:
	v_bfe_u32 v7, v2, 16, 1
	s_movk_i32 s2, 0x7fff
	v_add3_u32 v7, v2, v7, s2
; %bb.21:
	s_andn2_saveexec_b64 s[0:1], s[0:1]
; %bb.22:
	v_mov_b32_e32 v7, 0
	v_or_b32_e32 v11, 0x10000, v2
	v_cmp_eq_u32_sdwa vcc, v2, v7 src0_sel:WORD_0 src1_sel:DWORD
	v_cndmask_b32_e32 v7, v11, v2, vcc
; %bb.23:
	s_or_b64 exec, exec, s[0:1]
	s_mov_b32 s0, 0x7f800000
	v_and_b32_e32 v2, 0x7f800000, v3
	v_cmp_ne_u32_e32 vcc, s0, v2
                                        ; implicit-def: $vgpr2
	s_and_saveexec_b64 s[0:1], vcc
	s_xor_b64 s[0:1], exec, s[0:1]
; %bb.24:
	v_bfe_u32 v2, v3, 16, 1
	s_movk_i32 s2, 0x7fff
	v_add3_u32 v2, v3, v2, s2
                                        ; implicit-def: $vgpr3
; %bb.25:
	s_andn2_saveexec_b64 s[0:1], s[0:1]
; %bb.26:
	v_mov_b32_e32 v2, 0
	v_or_b32_e32 v11, 0x10000, v3
	v_cmp_eq_u32_sdwa vcc, v3, v2 src0_sel:WORD_0 src1_sel:DWORD
	v_cndmask_b32_e32 v2, v11, v3, vcc
; %bb.27:
	s_or_b64 exec, exec, s[0:1]
	s_mov_b32 s0, 0x7f800000
	v_and_b32_e32 v3, 0x7f800000, v0
	v_cmp_ne_u32_e32 vcc, s0, v3
                                        ; implicit-def: $vgpr3
	s_and_saveexec_b64 s[0:1], vcc
	s_xor_b64 s[0:1], exec, s[0:1]
; %bb.28:
	v_bfe_u32 v3, v0, 16, 1
	s_movk_i32 s2, 0x7fff
	v_add3_u32 v3, v0, v3, s2
; %bb.29:
	s_andn2_saveexec_b64 s[0:1], s[0:1]
; %bb.30:
	v_mov_b32_e32 v3, 0
	v_or_b32_e32 v11, 0x10000, v0
	v_cmp_eq_u32_sdwa vcc, v0, v3 src0_sel:WORD_0 src1_sel:DWORD
	v_cndmask_b32_e32 v3, v11, v0, vcc
; %bb.31:
	s_or_b64 exec, exec, s[0:1]
	s_mov_b32 s0, 0x7f800000
	v_and_b32_e32 v0, 0x7f800000, v1
	v_cmp_ne_u32_e32 vcc, s0, v0
                                        ; implicit-def: $vgpr0
	s_and_saveexec_b64 s[0:1], vcc
	s_xor_b64 s[0:1], exec, s[0:1]
; %bb.32:
	v_bfe_u32 v0, v1, 16, 1
	s_movk_i32 s2, 0x7fff
	v_add3_u32 v0, v1, v0, s2
                                        ; implicit-def: $vgpr1
; %bb.33:
	s_andn2_saveexec_b64 s[0:1], s[0:1]
; %bb.34:
	v_mov_b32_e32 v0, 0
	v_or_b32_e32 v11, 0x10000, v1
	v_cmp_eq_u32_sdwa vcc, v1, v0 src0_sel:WORD_0 src1_sel:DWORD
	v_cndmask_b32_e32 v0, v11, v1, vcc
; %bb.35:
	s_or_b64 exec, exec, s[0:1]
	s_mov_b32 s0, 0x7060302
	v_perm_b32 v3, v0, v3, s0
	v_perm_b32 v2, v2, v7, s0
	;; [unrolled: 1-line block ×4, first 2 shown]
	global_store_dwordx4 v[4:5], v[0:3], off
.LBB100_36:
	s_endpgm
	.section	.rodata,"a",@progbits
	.p2align	6, 0x0
	.amdhsa_kernel _ZN12tensorrt_llm7kernels21fusedQKNormRopeKernelIN3c108BFloat16ENS2_4HalfELi256ELb1EEEvPviiifPKvS7_S7_PKlii
		.amdhsa_group_segment_fixed_size 0
		.amdhsa_private_segment_fixed_size 0
		.amdhsa_kernarg_size 320
		.amdhsa_user_sgpr_count 6
		.amdhsa_user_sgpr_private_segment_buffer 1
		.amdhsa_user_sgpr_dispatch_ptr 0
		.amdhsa_user_sgpr_queue_ptr 0
		.amdhsa_user_sgpr_kernarg_segment_ptr 1
		.amdhsa_user_sgpr_dispatch_id 0
		.amdhsa_user_sgpr_flat_scratch_init 0
		.amdhsa_user_sgpr_kernarg_preload_length 0
		.amdhsa_user_sgpr_kernarg_preload_offset 0
		.amdhsa_user_sgpr_private_segment_size 0
		.amdhsa_uses_dynamic_stack 0
		.amdhsa_system_sgpr_private_segment_wavefront_offset 0
		.amdhsa_system_sgpr_workgroup_id_x 1
		.amdhsa_system_sgpr_workgroup_id_y 0
		.amdhsa_system_sgpr_workgroup_id_z 0
		.amdhsa_system_sgpr_workgroup_info 0
		.amdhsa_system_vgpr_workitem_id 0
		.amdhsa_next_free_vgpr 32
		.amdhsa_next_free_sgpr 14
		.amdhsa_accum_offset 32
		.amdhsa_reserve_vcc 1
		.amdhsa_reserve_flat_scratch 0
		.amdhsa_float_round_mode_32 0
		.amdhsa_float_round_mode_16_64 0
		.amdhsa_float_denorm_mode_32 3
		.amdhsa_float_denorm_mode_16_64 3
		.amdhsa_dx10_clamp 1
		.amdhsa_ieee_mode 1
		.amdhsa_fp16_overflow 0
		.amdhsa_tg_split 0
		.amdhsa_exception_fp_ieee_invalid_op 0
		.amdhsa_exception_fp_denorm_src 0
		.amdhsa_exception_fp_ieee_div_zero 0
		.amdhsa_exception_fp_ieee_overflow 0
		.amdhsa_exception_fp_ieee_underflow 0
		.amdhsa_exception_fp_ieee_inexact 0
		.amdhsa_exception_int_div_zero 0
	.end_amdhsa_kernel
	.section	.text._ZN12tensorrt_llm7kernels21fusedQKNormRopeKernelIN3c108BFloat16ENS2_4HalfELi256ELb1EEEvPviiifPKvS7_S7_PKlii,"axG",@progbits,_ZN12tensorrt_llm7kernels21fusedQKNormRopeKernelIN3c108BFloat16ENS2_4HalfELi256ELb1EEEvPviiifPKvS7_S7_PKlii,comdat
.Lfunc_end100:
	.size	_ZN12tensorrt_llm7kernels21fusedQKNormRopeKernelIN3c108BFloat16ENS2_4HalfELi256ELb1EEEvPviiifPKvS7_S7_PKlii, .Lfunc_end100-_ZN12tensorrt_llm7kernels21fusedQKNormRopeKernelIN3c108BFloat16ENS2_4HalfELi256ELb1EEEvPviiifPKvS7_S7_PKlii
                                        ; -- End function
	.section	.AMDGPU.csdata,"",@progbits
; Kernel info:
; codeLenInByte = 1892
; NumSgprs: 18
; NumVgprs: 32
; NumAgprs: 0
; TotalNumVgprs: 32
; ScratchSize: 0
; MemoryBound: 0
; FloatMode: 240
; IeeeMode: 1
; LDSByteSize: 0 bytes/workgroup (compile time only)
; SGPRBlocks: 2
; VGPRBlocks: 3
; NumSGPRsForWavesPerEU: 18
; NumVGPRsForWavesPerEU: 32
; AccumOffset: 32
; Occupancy: 8
; WaveLimiterHint : 1
; COMPUTE_PGM_RSRC2:SCRATCH_EN: 0
; COMPUTE_PGM_RSRC2:USER_SGPR: 6
; COMPUTE_PGM_RSRC2:TRAP_HANDLER: 0
; COMPUTE_PGM_RSRC2:TGID_X_EN: 1
; COMPUTE_PGM_RSRC2:TGID_Y_EN: 0
; COMPUTE_PGM_RSRC2:TGID_Z_EN: 0
; COMPUTE_PGM_RSRC2:TIDIG_COMP_CNT: 0
; COMPUTE_PGM_RSRC3_GFX90A:ACCUM_OFFSET: 7
; COMPUTE_PGM_RSRC3_GFX90A:TG_SPLIT: 0
	.section	.text._ZN12tensorrt_llm7kernels21fusedQKNormRopeKernelIN3c108BFloat16ENS2_4HalfELi256ELb0EEEvPviiifPKvS7_S7_PKlii,"axG",@progbits,_ZN12tensorrt_llm7kernels21fusedQKNormRopeKernelIN3c108BFloat16ENS2_4HalfELi256ELb0EEEvPviiifPKvS7_S7_PKlii,comdat
	.protected	_ZN12tensorrt_llm7kernels21fusedQKNormRopeKernelIN3c108BFloat16ENS2_4HalfELi256ELb0EEEvPviiifPKvS7_S7_PKlii ; -- Begin function _ZN12tensorrt_llm7kernels21fusedQKNormRopeKernelIN3c108BFloat16ENS2_4HalfELi256ELb0EEEvPviiifPKvS7_S7_PKlii
	.globl	_ZN12tensorrt_llm7kernels21fusedQKNormRopeKernelIN3c108BFloat16ENS2_4HalfELi256ELb0EEEvPviiifPKvS7_S7_PKlii
	.p2align	8
	.type	_ZN12tensorrt_llm7kernels21fusedQKNormRopeKernelIN3c108BFloat16ENS2_4HalfELi256ELb0EEEvPviiifPKvS7_S7_PKlii,@function
_ZN12tensorrt_llm7kernels21fusedQKNormRopeKernelIN3c108BFloat16ENS2_4HalfELi256ELb0EEEvPviiifPKvS7_S7_PKlii: ; @_ZN12tensorrt_llm7kernels21fusedQKNormRopeKernelIN3c108BFloat16ENS2_4HalfELi256ELb0EEEvPviiifPKvS7_S7_PKlii
; %bb.0:
	s_load_dwordx4 s[8:11], s[4:5], 0x8
	s_load_dwordx2 s[12:13], s[4:5], 0x38
	s_load_dword s1, s[4:5], 0x4c
	v_lshrrev_b32_e32 v2, 5, v0
	s_waitcnt lgkmcnt(0)
	s_add_i32 s0, s9, s8
	s_abs_i32 s2, s0
	v_cvt_f32_u32_e32 v1, s2
	s_bfe_u32 s1, s1, 0xb0005
	s_mul_i32 s6, s6, s1
	s_sub_i32 s1, 0, s2
	v_rcp_iflag_f32_e32 v3, v1
	v_add_u32_e32 v1, s6, v2
	v_sub_u32_e32 v4, 0, v1
	v_max_i32_e32 v4, v1, v4
	v_mul_f32_e32 v3, 0x4f7ffffe, v3
	v_cvt_u32_f32_e32 v3, v3
	v_xor_b32_e32 v2, s0, v1
	v_ashrrev_i32_e32 v2, 31, v2
	v_mul_lo_u32 v5, s1, v3
	v_mul_hi_u32 v5, v3, v5
	v_add_u32_e32 v3, v3, v5
	v_mul_hi_u32 v3, v4, v3
	v_mul_lo_u32 v5, v3, s2
	v_sub_u32_e32 v4, v4, v5
	v_add_u32_e32 v5, 1, v3
	v_cmp_le_u32_e32 vcc, s2, v4
	v_cndmask_b32_e32 v3, v3, v5, vcc
	v_subrev_u32_e32 v5, s2, v4
	v_cndmask_b32_e32 v4, v4, v5, vcc
	v_add_u32_e32 v5, 1, v3
	v_cmp_le_u32_e32 vcc, s2, v4
	v_cndmask_b32_e32 v3, v3, v5, vcc
	v_xor_b32_e32 v3, v3, v2
	v_sub_u32_e32 v10, v3, v2
	v_cmp_gt_i32_e32 vcc, s12, v10
	s_and_saveexec_b64 s[2:3], vcc
	s_cbranch_execz .LBB101_36
; %bb.1:
	v_and_b32_e32 v13, 31, v0
	v_mul_lo_u32 v0, v10, s0
	v_sub_u32_e32 v0, v1, v0
	v_mov_b32_e32 v1, s8
	v_cmp_gt_i32_e32 vcc, s8, v0
	v_cndmask_b32_e64 v1, v1, 0, vcc
	s_add_i32 s0, s0, s10
	s_load_dwordx2 s[2:3], s[4:5], 0x0
	v_sub_u32_e32 v0, v0, v1
	v_mul_lo_u32 v2, v10, s0
	v_add3_u32 v0, v2, v1, v0
	v_lshlrev_b32_e32 v1, 3, v13
	v_lshl_or_b32 v0, v0, 8, v1
	v_ashrrev_i32_e32 v1, 31, v0
	v_lshlrev_b64 v[0:1], 1, v[0:1]
	s_waitcnt lgkmcnt(0)
	v_mov_b32_e32 v2, s3
	v_add_co_u32_e64 v8, s[0:1], s2, v0
	v_addc_co_u32_e64 v9, s[0:1], v2, v1, s[0:1]
	global_load_dwordx4 v[0:3], v[8:9], off
	s_load_dwordx8 s[0:7], s[4:5], 0x18
	v_lshlrev_b32_e32 v12, 4, v13
	v_mbcnt_lo_u32_b32 v11, -1, 0
	v_mbcnt_hi_u32_b32 v14, -1, v11
	v_and_b32_e32 v11, 0x60, v14
	s_waitcnt lgkmcnt(0)
	v_mov_b32_e32 v4, s3
	v_mov_b32_e32 v5, s1
	;; [unrolled: 1-line block ×4, first 2 shown]
	v_cndmask_b32_e32 v5, v4, v5, vcc
	v_cndmask_b32_e32 v4, v6, v7, vcc
	v_add_co_u32_e32 v4, vcc, v4, v12
	v_addc_co_u32_e32 v5, vcc, 0, v5, vcc
	global_load_dwordx4 v[4:7], v[4:5], off
	v_xor_b32_e32 v16, 16, v14
	v_add_u32_e32 v11, 32, v11
	v_cmp_lt_i32_e32 vcc, v16, v11
	v_cndmask_b32_e32 v16, v14, v16, vcc
	v_lshlrev_b32_e32 v27, 2, v16
	v_xor_b32_e32 v24, 8, v14
	v_cmp_lt_i32_e32 vcc, v24, v11
	v_xor_b32_e32 v25, 4, v14
	v_xor_b32_e32 v26, 2, v14
	s_ashr_i32 s8, s13, 31
	s_lshr_b32 s1, s8, 29
	v_mov_b32_e32 v15, s11
	s_add_i32 s1, s13, s1
	s_mov_b32 s0, 0x800000
	s_ashr_i32 s1, s1, 3
	s_waitcnt vmcnt(1)
	v_and_b32_e32 v29, 0xffff0000, v0
	v_lshlrev_b32_e32 v28, 16, v0
	v_and_b32_e32 v17, 0xffff0000, v1
	v_lshlrev_b32_e32 v16, 16, v1
	v_mul_f32_e32 v30, v29, v29
	v_pk_mul_f32 v[0:1], v[16:17], v[16:17]
	v_fmac_f32_e32 v30, v28, v28
	v_and_b32_e32 v19, 0xffff0000, v2
	v_lshlrev_b32_e32 v18, 16, v2
	v_add_f32_e32 v0, v30, v0
	v_and_b32_e32 v21, 0xffff0000, v3
	v_lshlrev_b32_e32 v20, 16, v3
	v_pk_mul_f32 v[2:3], v[18:19], v[18:19]
	v_add_f32_e32 v0, v0, v1
	v_add_f32_e32 v0, v0, v2
	v_pk_mul_f32 v[22:23], v[20:21], v[20:21]
	v_add_f32_e32 v0, v0, v3
	v_add_f32_e32 v0, v0, v22
	v_add_f32_e32 v0, v0, v23
	ds_bpermute_b32 v1, v27, v0
	v_cndmask_b32_e32 v3, v14, v24, vcc
	v_lshlrev_b32_e32 v3, 2, v3
	v_cmp_lt_i32_e32 vcc, v25, v11
	v_xor_b32_e32 v2, 1, v14
	s_waitcnt lgkmcnt(0)
	v_add_f32_e32 v0, v0, v1
	ds_bpermute_b32 v1, v3, v0
	v_cndmask_b32_e32 v3, v14, v25, vcc
	v_lshlrev_b32_e32 v3, 2, v3
	v_cmp_lt_i32_e32 vcc, v26, v11
	s_waitcnt lgkmcnt(0)
	v_add_f32_e32 v0, v0, v1
	ds_bpermute_b32 v1, v3, v0
	v_cndmask_b32_e32 v3, v14, v26, vcc
	v_lshlrev_b32_e32 v3, 2, v3
	v_cmp_lt_i32_e32 vcc, v2, v11
	v_cndmask_b32_e32 v2, v14, v2, vcc
	s_waitcnt lgkmcnt(0)
	v_add_f32_e32 v0, v0, v1
	ds_bpermute_b32 v1, v3, v0
	v_lshlrev_b32_e32 v2, 2, v2
	v_cmp_gt_i32_e32 vcc, s1, v13
	s_waitcnt vmcnt(0)
	v_lshlrev_b32_e32 v3, 16, v4
	v_lshlrev_b32_e32 v11, 16, v6
	s_waitcnt lgkmcnt(0)
	v_add_f32_e32 v0, v0, v1
	ds_bpermute_b32 v1, v2, v0
	v_and_b32_e32 v2, 0xffff0000, v4
	v_lshlrev_b32_e32 v4, 16, v5
	v_and_b32_e32 v5, 0xffff0000, v5
	s_waitcnt lgkmcnt(0)
	v_add_f32_e32 v0, v0, v1
	v_fmac_f32_e32 v15, 0x3b800000, v0
	v_mul_f32_e32 v0, 0x4b800000, v15
	v_cmp_gt_f32_e64 s[0:1], s0, v15
	v_cndmask_b32_e64 v0, v15, v0, s[0:1]
	v_rsq_f32_e32 v0, v0
	v_and_b32_e32 v1, 0xffff0000, v6
	v_lshlrev_b32_e32 v6, 16, v7
	v_and_b32_e32 v7, 0xffff0000, v7
	v_mul_f32_e32 v15, 0x45800000, v0
	v_cndmask_b32_e64 v0, v0, v15, s[0:1]
	v_mul_f32_e32 v3, v0, v3
	v_mul_f32_e32 v15, v0, v2
	;; [unrolled: 1-line block ×16, first 2 shown]
	s_and_saveexec_b64 s[2:3], vcc
	s_cbranch_execz .LBB101_3
; %bb.2:
	v_ashrrev_i32_e32 v11, 31, v10
	v_lshlrev_b64 v[10:11], 3, v[10:11]
	v_mov_b32_e32 v15, s7
	v_add_co_u32_e32 v10, vcc, s6, v10
	v_addc_co_u32_e32 v11, vcc, v15, v11, vcc
	global_load_dwordx2 v[10:11], v[10:11], off
	; wave barrier
	s_waitcnt vmcnt(0)
	v_mul_lo_u32 v15, v11, s13
	v_mul_lo_u32 v16, v10, s8
	v_mad_u64_u32 v[10:11], s[0:1], v10, s13, 0
	v_add3_u32 v11, v11, v16, v15
	v_lshlrev_b64 v[10:11], 1, v[10:11]
	v_mov_b32_e32 v15, s5
	v_add_co_u32_e32 v10, vcc, s4, v10
	s_abs_i32 s4, s13
	v_addc_co_u32_e32 v11, vcc, v15, v11, vcc
	v_cvt_f32_u32_e32 v15, s4
	s_sub_i32 s0, 0, s4
	v_rcp_iflag_f32_e32 v15, v15
	v_mul_f32_e32 v15, 0x4f7ffffe, v15
	v_cvt_u32_f32_e32 v15, v15
	v_mul_lo_u32 v16, s0, v15
	v_mul_hi_u32 v16, v15, v16
	v_add_u32_e32 v15, v15, v16
	v_or_b32_e32 v16, 2, v12
	v_mul_hi_u32 v17, v16, v15
	v_mul_lo_u32 v17, v17, s4
	v_sub_u32_e32 v16, v16, v17
	v_or_b32_e32 v17, 4, v12
	v_mul_hi_u32 v18, v17, v15
	v_mul_lo_u32 v18, v18, s4
	v_sub_u32_e32 v17, v17, v18
	v_mul_hi_u32 v18, v12, v15
	v_mul_lo_u32 v18, v18, s4
	v_sub_u32_e32 v18, v12, v18
	v_subrev_u32_e32 v19, s4, v18
	v_cmp_le_u32_e32 vcc, s4, v18
	v_cndmask_b32_e32 v18, v18, v19, vcc
	v_subrev_u32_e32 v19, s4, v16
	v_cmp_le_u32_e32 vcc, s4, v16
	v_cndmask_b32_e32 v16, v16, v19, vcc
	;; [unrolled: 3-line block ×3, first 2 shown]
	v_subrev_u32_e32 v17, s4, v18
	v_cmp_le_u32_e32 vcc, s4, v18
	s_lshr_b32 s0, s13, 31
	v_cndmask_b32_e32 v17, v18, v17, vcc
	s_add_i32 s0, s13, s0
	v_subrev_u32_e32 v18, s4, v16
	v_cmp_le_u32_e32 vcc, s4, v16
	v_and_b32_e32 v20, -2, v17
	s_ashr_i32 s0, s0, 1
	v_cndmask_b32_e32 v18, v16, v18, vcc
	v_add_co_u32_e32 v16, vcc, v10, v20
	s_ashr_i32 s1, s0, 31
	v_addc_co_u32_e32 v17, vcc, 0, v11, vcc
	s_lshl_b64 s[0:1], s[0:1], 1
	global_load_ushort v21, v[16:17], off
	v_mov_b32_e32 v16, s1
	v_add_co_u32_e32 v22, vcc, s0, v10
	v_addc_co_u32_e32 v23, vcc, v11, v16, vcc
	v_add_co_u32_e32 v16, vcc, v22, v20
	v_addc_co_u32_e32 v17, vcc, 0, v23, vcc
	v_and_b32_e32 v18, -2, v18
	global_load_ushort v20, v[16:17], off
	v_add_co_u32_e32 v16, vcc, v10, v18
	v_addc_co_u32_e32 v17, vcc, 0, v11, vcc
	global_load_ushort v24, v[16:17], off
	v_add_co_u32_e32 v16, vcc, v22, v18
	v_addc_co_u32_e32 v17, vcc, 0, v23, vcc
	global_load_ushort v18, v[16:17], off
	v_subrev_u32_e32 v16, s4, v19
	v_cmp_le_u32_e32 vcc, s4, v19
	v_cndmask_b32_e32 v16, v19, v16, vcc
	v_and_b32_e32 v19, -2, v16
	v_add_co_u32_e32 v16, vcc, v10, v19
	v_addc_co_u32_e32 v17, vcc, 0, v11, vcc
	global_load_ushort v25, v[16:17], off
	v_add_co_u32_e32 v16, vcc, v22, v19
	v_addc_co_u32_e32 v17, vcc, 0, v23, vcc
	global_load_ushort v19, v[16:17], off
	v_or_b32_e32 v16, 6, v12
	v_mul_hi_u32 v17, v16, v15
	v_mul_lo_u32 v17, v17, s4
	v_sub_u32_e32 v16, v16, v17
	v_subrev_u32_e32 v17, s4, v16
	v_cmp_le_u32_e32 vcc, s4, v16
	v_cndmask_b32_e32 v16, v16, v17, vcc
	v_subrev_u32_e32 v17, s4, v16
	v_cmp_le_u32_e32 vcc, s4, v16
	v_cndmask_b32_e32 v16, v16, v17, vcc
	v_and_b32_e32 v26, -2, v16
	v_add_co_u32_e32 v16, vcc, v22, v26
	v_addc_co_u32_e32 v17, vcc, 0, v23, vcc
	global_load_ushort v27, v[16:17], off
	v_add_co_u32_e32 v16, vcc, v10, v26
	v_addc_co_u32_e32 v17, vcc, 0, v11, vcc
	global_load_ushort v16, v[16:17], off
	s_lshr_b32 s0, s8, 28
	s_add_i32 s0, s13, s0
	v_and_b32_e32 v17, 64, v14
	s_ashr_i32 s0, s0, 4
	v_add_u32_e32 v17, 64, v17
	v_xor_b32_e32 v26, s0, v14
	v_cmp_lt_i32_e32 vcc, v26, v17
	v_cndmask_b32_e32 v14, v14, v26, vcc
	v_lshlrev_b32_e32 v14, 2, v14
	ds_bpermute_b32 v17, v14, v0
	v_cmp_gt_i32_e32 vcc, s0, v13
	s_waitcnt lgkmcnt(0)
	v_cndmask_b32_e64 v17, v17, -v17, vcc
	s_waitcnt vmcnt(6)
	v_cvt_f32_f16_e32 v13, v20
	v_mul_f32_e32 v13, v17, v13
	ds_bpermute_b32 v17, v14, v1
	v_fma_mix_f32 v0, v0, v21, v13 op_sel_hi:[0,1,0]
	s_waitcnt vmcnt(4)
	v_cvt_f32_f16_e32 v13, v18
	s_waitcnt lgkmcnt(0)
	v_cndmask_b32_e64 v17, v17, -v17, vcc
	v_mul_f32_e32 v13, v17, v13
	ds_bpermute_b32 v17, v14, v2
	v_fma_mix_f32 v1, v1, v24, v13 op_sel_hi:[0,1,0]
	s_waitcnt lgkmcnt(0)
	v_cndmask_b32_e64 v17, v17, -v17, vcc
	s_waitcnt vmcnt(2)
	v_cvt_f32_f16_e32 v13, v19
	v_mul_f32_e32 v13, v17, v13
	ds_bpermute_b32 v17, v14, v3
	v_fma_mix_f32 v2, v2, v25, v13 op_sel_hi:[0,1,0]
	s_waitcnt lgkmcnt(0)
	v_cndmask_b32_e64 v17, v17, -v17, vcc
	s_waitcnt vmcnt(1)
	v_cvt_f32_f16_e32 v13, v27
	v_mul_f32_e32 v13, v17, v13
	s_waitcnt vmcnt(0)
	v_fma_mix_f32 v3, v3, v16, v13 op_sel_hi:[0,1,0]
	v_or_b32_e32 v13, 8, v12
	v_mul_hi_u32 v16, v13, v15
	v_mul_lo_u32 v16, v16, s4
	v_sub_u32_e32 v13, v13, v16
	v_subrev_u32_e32 v16, s4, v13
	v_cmp_le_u32_e64 s[0:1], s4, v13
	v_cndmask_b32_e64 v13, v13, v16, s[0:1]
	v_subrev_u32_e32 v16, s4, v13
	v_cmp_le_u32_e64 s[0:1], s4, v13
	v_cndmask_b32_e64 v13, v13, v16, s[0:1]
	v_and_b32_e32 v13, -2, v13
	v_add_co_u32_e64 v16, s[0:1], v10, v13
	v_addc_co_u32_e64 v17, s[0:1], 0, v11, s[0:1]
	global_load_ushort v18, v[16:17], off
	v_add_co_u32_e64 v16, s[0:1], v22, v13
	v_addc_co_u32_e64 v17, s[0:1], 0, v23, s[0:1]
	v_or_b32_e32 v13, 10, v12
	global_load_ushort v19, v[16:17], off
	v_mul_hi_u32 v16, v13, v15
	v_mul_lo_u32 v16, v16, s4
	v_sub_u32_e32 v13, v13, v16
	v_subrev_u32_e32 v16, s4, v13
	v_cmp_le_u32_e64 s[0:1], s4, v13
	v_cndmask_b32_e64 v13, v13, v16, s[0:1]
	v_subrev_u32_e32 v16, s4, v13
	v_cmp_le_u32_e64 s[0:1], s4, v13
	v_cndmask_b32_e64 v13, v13, v16, s[0:1]
	v_and_b32_e32 v13, -2, v13
	v_add_co_u32_e64 v16, s[0:1], v10, v13
	v_addc_co_u32_e64 v17, s[0:1], 0, v11, s[0:1]
	global_load_ushort v20, v[16:17], off
	v_add_co_u32_e64 v16, s[0:1], v22, v13
	v_addc_co_u32_e64 v17, s[0:1], 0, v23, s[0:1]
	v_or_b32_e32 v13, 12, v12
	global_load_ushort v21, v[16:17], off
	v_mul_hi_u32 v16, v13, v15
	v_mul_lo_u32 v16, v16, s4
	v_sub_u32_e32 v13, v13, v16
	v_subrev_u32_e32 v16, s4, v13
	v_cmp_le_u32_e64 s[0:1], s4, v13
	v_cndmask_b32_e64 v13, v13, v16, s[0:1]
	v_subrev_u32_e32 v16, s4, v13
	v_cmp_le_u32_e64 s[0:1], s4, v13
	v_cndmask_b32_e64 v13, v13, v16, s[0:1]
	v_and_b32_e32 v13, -2, v13
	v_add_co_u32_e64 v16, s[0:1], v10, v13
	v_addc_co_u32_e64 v17, s[0:1], 0, v11, s[0:1]
	v_or_b32_e32 v12, 14, v12
	global_load_ushort v24, v[16:17], off
	v_add_co_u32_e64 v16, s[0:1], v22, v13
	v_mul_hi_u32 v13, v12, v15
	v_mul_lo_u32 v13, v13, s4
	v_addc_co_u32_e64 v17, s[0:1], 0, v23, s[0:1]
	v_sub_u32_e32 v12, v12, v13
	global_load_ushort v16, v[16:17], off
	v_subrev_u32_e32 v13, s4, v12
	v_cmp_le_u32_e64 s[0:1], s4, v12
	v_cndmask_b32_e64 v12, v12, v13, s[0:1]
	v_subrev_u32_e32 v13, s4, v12
	v_cmp_le_u32_e64 s[0:1], s4, v12
	v_cndmask_b32_e64 v12, v12, v13, s[0:1]
	v_and_b32_e32 v15, -2, v12
	v_add_co_u32_e64 v12, s[0:1], v22, v15
	v_addc_co_u32_e64 v13, s[0:1], 0, v23, s[0:1]
	global_load_ushort v12, v[12:13], off
	v_add_co_u32_e64 v10, s[0:1], v10, v15
	v_addc_co_u32_e64 v11, s[0:1], 0, v11, s[0:1]
	global_load_ushort v10, v[10:11], off
	ds_bpermute_b32 v13, v14, v4
	; wave barrier
	s_waitcnt lgkmcnt(0)
	v_cndmask_b32_e64 v13, v13, -v13, vcc
	s_waitcnt vmcnt(6)
	v_cvt_f32_f16_e32 v11, v19
	v_mul_f32_e32 v11, v13, v11
	ds_bpermute_b32 v13, v14, v5
	v_fma_mix_f32 v4, v4, v18, v11 op_sel_hi:[0,1,0]
	s_waitcnt lgkmcnt(0)
	v_cndmask_b32_e64 v13, v13, -v13, vcc
	s_waitcnt vmcnt(4)
	v_cvt_f32_f16_e32 v11, v21
	v_mul_f32_e32 v11, v13, v11
	ds_bpermute_b32 v13, v14, v6
	v_fma_mix_f32 v5, v5, v20, v11 op_sel_hi:[0,1,0]
	s_waitcnt lgkmcnt(0)
	v_cndmask_b32_e64 v13, v13, -v13, vcc
	s_waitcnt vmcnt(2)
	v_cvt_f32_f16_e32 v11, v16
	v_mul_f32_e32 v11, v13, v11
	v_fma_mix_f32 v6, v6, v24, v11 op_sel_hi:[0,1,0]
	ds_bpermute_b32 v11, v14, v7
	s_waitcnt lgkmcnt(0)
	v_cndmask_b32_e64 v11, v11, -v11, vcc
	s_waitcnt vmcnt(1)
	v_cvt_f32_f16_e32 v12, v12
	v_mul_f32_e32 v11, v11, v12
	s_waitcnt vmcnt(0)
	v_fma_mix_f32 v7, v7, v10, v11 op_sel_hi:[0,1,0]
.LBB101_3:
	s_or_b64 exec, exec, s[2:3]
	s_mov_b32 s0, 0x7f800000
	v_and_b32_e32 v10, 0x7f800000, v0
	v_cmp_ne_u32_e32 vcc, s0, v10
                                        ; implicit-def: $vgpr10
	s_and_saveexec_b64 s[0:1], vcc
	s_xor_b64 s[0:1], exec, s[0:1]
; %bb.4:
	v_bfe_u32 v10, v0, 16, 1
	s_movk_i32 s2, 0x7fff
	v_add3_u32 v10, v0, v10, s2
; %bb.5:
	s_andn2_saveexec_b64 s[0:1], s[0:1]
; %bb.6:
	v_mov_b32_e32 v10, 0
	v_or_b32_e32 v11, 0x10000, v0
	v_cmp_eq_u32_sdwa vcc, v0, v10 src0_sel:WORD_0 src1_sel:DWORD
	v_cndmask_b32_e32 v10, v11, v0, vcc
; %bb.7:
	s_or_b64 exec, exec, s[0:1]
	s_mov_b32 s0, 0x7f800000
	v_and_b32_e32 v0, 0x7f800000, v1
	v_cmp_ne_u32_e32 vcc, s0, v0
                                        ; implicit-def: $vgpr11
	s_and_saveexec_b64 s[0:1], vcc
	s_xor_b64 s[0:1], exec, s[0:1]
; %bb.8:
	v_bfe_u32 v0, v1, 16, 1
	s_movk_i32 s2, 0x7fff
	v_add3_u32 v11, v1, v0, s2
; %bb.9:
	s_andn2_saveexec_b64 s[0:1], s[0:1]
; %bb.10:
	v_mov_b32_e32 v0, 0
	v_or_b32_e32 v11, 0x10000, v1
	v_cmp_eq_u32_sdwa vcc, v1, v0 src0_sel:WORD_0 src1_sel:DWORD
	v_cndmask_b32_e32 v11, v11, v1, vcc
; %bb.11:
	s_or_b64 exec, exec, s[0:1]
	s_mov_b32 s0, 0x7f800000
	v_and_b32_e32 v0, 0x7f800000, v2
	v_cmp_ne_u32_e32 vcc, s0, v0
                                        ; implicit-def: $vgpr12
	s_and_saveexec_b64 s[0:1], vcc
	s_xor_b64 s[0:1], exec, s[0:1]
; %bb.12:
	v_bfe_u32 v0, v2, 16, 1
	s_movk_i32 s2, 0x7fff
	v_add3_u32 v12, v2, v0, s2
; %bb.13:
	s_andn2_saveexec_b64 s[0:1], s[0:1]
; %bb.14:
	v_mov_b32_e32 v0, 0
	v_or_b32_e32 v1, 0x10000, v2
	v_cmp_eq_u32_sdwa vcc, v2, v0 src0_sel:WORD_0 src1_sel:DWORD
	v_cndmask_b32_e32 v12, v1, v2, vcc
; %bb.15:
	s_or_b64 exec, exec, s[0:1]
	s_mov_b32 s0, 0x7f800000
	v_and_b32_e32 v0, 0x7f800000, v3
	v_cmp_ne_u32_e32 vcc, s0, v0
                                        ; implicit-def: $vgpr13
	s_and_saveexec_b64 s[0:1], vcc
	s_xor_b64 s[0:1], exec, s[0:1]
; %bb.16:
	v_bfe_u32 v0, v3, 16, 1
	s_movk_i32 s2, 0x7fff
	v_add3_u32 v13, v3, v0, s2
; %bb.17:
	s_andn2_saveexec_b64 s[0:1], s[0:1]
; %bb.18:
	v_mov_b32_e32 v0, 0
	v_or_b32_e32 v1, 0x10000, v3
	v_cmp_eq_u32_sdwa vcc, v3, v0 src0_sel:WORD_0 src1_sel:DWORD
	v_cndmask_b32_e32 v13, v1, v3, vcc
; %bb.19:
	s_or_b64 exec, exec, s[0:1]
	s_mov_b32 s0, 0x7f800000
	v_and_b32_e32 v0, 0x7f800000, v4
	v_cmp_ne_u32_e32 vcc, s0, v0
                                        ; implicit-def: $vgpr14
	s_and_saveexec_b64 s[0:1], vcc
	s_xor_b64 s[0:1], exec, s[0:1]
; %bb.20:
	v_bfe_u32 v0, v4, 16, 1
	s_movk_i32 s2, 0x7fff
	v_add3_u32 v14, v4, v0, s2
; %bb.21:
	s_andn2_saveexec_b64 s[0:1], s[0:1]
; %bb.22:
	v_mov_b32_e32 v0, 0
	v_or_b32_e32 v1, 0x10000, v4
	v_cmp_eq_u32_sdwa vcc, v4, v0 src0_sel:WORD_0 src1_sel:DWORD
	v_cndmask_b32_e32 v14, v1, v4, vcc
; %bb.23:
	s_or_b64 exec, exec, s[0:1]
	s_mov_b32 s0, 0x7f800000
	v_and_b32_e32 v0, 0x7f800000, v5
	v_cmp_ne_u32_e32 vcc, s0, v0
                                        ; implicit-def: $vgpr15
	s_and_saveexec_b64 s[0:1], vcc
	s_xor_b64 s[0:1], exec, s[0:1]
; %bb.24:
	v_bfe_u32 v0, v5, 16, 1
	s_movk_i32 s2, 0x7fff
	v_add3_u32 v15, v5, v0, s2
; %bb.25:
	s_andn2_saveexec_b64 s[0:1], s[0:1]
; %bb.26:
	v_mov_b32_e32 v0, 0
	v_or_b32_e32 v1, 0x10000, v5
	v_cmp_eq_u32_sdwa vcc, v5, v0 src0_sel:WORD_0 src1_sel:DWORD
	v_cndmask_b32_e32 v15, v1, v5, vcc
; %bb.27:
	s_or_b64 exec, exec, s[0:1]
	s_mov_b32 s0, 0x7f800000
	v_and_b32_e32 v0, 0x7f800000, v6
	v_cmp_ne_u32_e32 vcc, s0, v0
                                        ; implicit-def: $vgpr16
	s_and_saveexec_b64 s[0:1], vcc
	s_xor_b64 s[0:1], exec, s[0:1]
; %bb.28:
	v_bfe_u32 v0, v6, 16, 1
	s_movk_i32 s2, 0x7fff
	v_add3_u32 v16, v6, v0, s2
; %bb.29:
	s_andn2_saveexec_b64 s[0:1], s[0:1]
; %bb.30:
	v_mov_b32_e32 v0, 0
	v_or_b32_e32 v1, 0x10000, v6
	v_cmp_eq_u32_sdwa vcc, v6, v0 src0_sel:WORD_0 src1_sel:DWORD
	v_cndmask_b32_e32 v16, v1, v6, vcc
; %bb.31:
	s_or_b64 exec, exec, s[0:1]
	s_mov_b32 s0, 0x7f800000
	v_and_b32_e32 v0, 0x7f800000, v7
	v_cmp_ne_u32_e32 vcc, s0, v0
                                        ; implicit-def: $vgpr17
	s_and_saveexec_b64 s[0:1], vcc
	s_xor_b64 s[0:1], exec, s[0:1]
; %bb.32:
	v_bfe_u32 v0, v7, 16, 1
	s_movk_i32 s2, 0x7fff
	v_add3_u32 v17, v7, v0, s2
                                        ; implicit-def: $vgpr0_vgpr1_vgpr2_vgpr3_vgpr4_vgpr5_vgpr6_vgpr7
; %bb.33:
	s_andn2_saveexec_b64 s[0:1], s[0:1]
; %bb.34:
	v_mov_b32_e32 v0, 0
	v_or_b32_e32 v1, 0x10000, v7
	v_cmp_eq_u32_sdwa vcc, v7, v0 src0_sel:WORD_0 src1_sel:DWORD
	v_cndmask_b32_e32 v17, v1, v7, vcc
; %bb.35:
	s_or_b64 exec, exec, s[0:1]
	s_mov_b32 s0, 0x7060302
	v_perm_b32 v3, v17, v16, s0
	v_perm_b32 v2, v15, v14, s0
	;; [unrolled: 1-line block ×4, first 2 shown]
	global_store_dwordx4 v[8:9], v[0:3], off
.LBB101_36:
	s_endpgm
	.section	.rodata,"a",@progbits
	.p2align	6, 0x0
	.amdhsa_kernel _ZN12tensorrt_llm7kernels21fusedQKNormRopeKernelIN3c108BFloat16ENS2_4HalfELi256ELb0EEEvPviiifPKvS7_S7_PKlii
		.amdhsa_group_segment_fixed_size 0
		.amdhsa_private_segment_fixed_size 0
		.amdhsa_kernarg_size 320
		.amdhsa_user_sgpr_count 6
		.amdhsa_user_sgpr_private_segment_buffer 1
		.amdhsa_user_sgpr_dispatch_ptr 0
		.amdhsa_user_sgpr_queue_ptr 0
		.amdhsa_user_sgpr_kernarg_segment_ptr 1
		.amdhsa_user_sgpr_dispatch_id 0
		.amdhsa_user_sgpr_flat_scratch_init 0
		.amdhsa_user_sgpr_kernarg_preload_length 0
		.amdhsa_user_sgpr_kernarg_preload_offset 0
		.amdhsa_user_sgpr_private_segment_size 0
		.amdhsa_uses_dynamic_stack 0
		.amdhsa_system_sgpr_private_segment_wavefront_offset 0
		.amdhsa_system_sgpr_workgroup_id_x 1
		.amdhsa_system_sgpr_workgroup_id_y 0
		.amdhsa_system_sgpr_workgroup_id_z 0
		.amdhsa_system_sgpr_workgroup_info 0
		.amdhsa_system_vgpr_workitem_id 0
		.amdhsa_next_free_vgpr 31
		.amdhsa_next_free_sgpr 14
		.amdhsa_accum_offset 32
		.amdhsa_reserve_vcc 1
		.amdhsa_reserve_flat_scratch 0
		.amdhsa_float_round_mode_32 0
		.amdhsa_float_round_mode_16_64 0
		.amdhsa_float_denorm_mode_32 3
		.amdhsa_float_denorm_mode_16_64 3
		.amdhsa_dx10_clamp 1
		.amdhsa_ieee_mode 1
		.amdhsa_fp16_overflow 0
		.amdhsa_tg_split 0
		.amdhsa_exception_fp_ieee_invalid_op 0
		.amdhsa_exception_fp_denorm_src 0
		.amdhsa_exception_fp_ieee_div_zero 0
		.amdhsa_exception_fp_ieee_overflow 0
		.amdhsa_exception_fp_ieee_underflow 0
		.amdhsa_exception_fp_ieee_inexact 0
		.amdhsa_exception_int_div_zero 0
	.end_amdhsa_kernel
	.section	.text._ZN12tensorrt_llm7kernels21fusedQKNormRopeKernelIN3c108BFloat16ENS2_4HalfELi256ELb0EEEvPviiifPKvS7_S7_PKlii,"axG",@progbits,_ZN12tensorrt_llm7kernels21fusedQKNormRopeKernelIN3c108BFloat16ENS2_4HalfELi256ELb0EEEvPviiifPKvS7_S7_PKlii,comdat
.Lfunc_end101:
	.size	_ZN12tensorrt_llm7kernels21fusedQKNormRopeKernelIN3c108BFloat16ENS2_4HalfELi256ELb0EEEvPviiifPKvS7_S7_PKlii, .Lfunc_end101-_ZN12tensorrt_llm7kernels21fusedQKNormRopeKernelIN3c108BFloat16ENS2_4HalfELi256ELb0EEEvPviiifPKvS7_S7_PKlii
                                        ; -- End function
	.section	.AMDGPU.csdata,"",@progbits
; Kernel info:
; codeLenInByte = 2896
; NumSgprs: 18
; NumVgprs: 31
; NumAgprs: 0
; TotalNumVgprs: 31
; ScratchSize: 0
; MemoryBound: 0
; FloatMode: 240
; IeeeMode: 1
; LDSByteSize: 0 bytes/workgroup (compile time only)
; SGPRBlocks: 2
; VGPRBlocks: 3
; NumSGPRsForWavesPerEU: 18
; NumVGPRsForWavesPerEU: 31
; AccumOffset: 32
; Occupancy: 8
; WaveLimiterHint : 1
; COMPUTE_PGM_RSRC2:SCRATCH_EN: 0
; COMPUTE_PGM_RSRC2:USER_SGPR: 6
; COMPUTE_PGM_RSRC2:TRAP_HANDLER: 0
; COMPUTE_PGM_RSRC2:TGID_X_EN: 1
; COMPUTE_PGM_RSRC2:TGID_Y_EN: 0
; COMPUTE_PGM_RSRC2:TGID_Z_EN: 0
; COMPUTE_PGM_RSRC2:TIDIG_COMP_CNT: 0
; COMPUTE_PGM_RSRC3_GFX90A:ACCUM_OFFSET: 7
; COMPUTE_PGM_RSRC3_GFX90A:TG_SPLIT: 0
	.section	.text._ZN12tensorrt_llm7kernels32fusedQKNormRopeKernelNTokenHeadsIN3c108BFloat16ENS2_4HalfELi64ELb1ELi2EEEvPviiifPKvS7_S7_PKlii,"axG",@progbits,_ZN12tensorrt_llm7kernels32fusedQKNormRopeKernelNTokenHeadsIN3c108BFloat16ENS2_4HalfELi64ELb1ELi2EEEvPviiifPKvS7_S7_PKlii,comdat
	.protected	_ZN12tensorrt_llm7kernels32fusedQKNormRopeKernelNTokenHeadsIN3c108BFloat16ENS2_4HalfELi64ELb1ELi2EEEvPviiifPKvS7_S7_PKlii ; -- Begin function _ZN12tensorrt_llm7kernels32fusedQKNormRopeKernelNTokenHeadsIN3c108BFloat16ENS2_4HalfELi64ELb1ELi2EEEvPviiifPKvS7_S7_PKlii
	.globl	_ZN12tensorrt_llm7kernels32fusedQKNormRopeKernelNTokenHeadsIN3c108BFloat16ENS2_4HalfELi64ELb1ELi2EEEvPviiifPKvS7_S7_PKlii
	.p2align	8
	.type	_ZN12tensorrt_llm7kernels32fusedQKNormRopeKernelNTokenHeadsIN3c108BFloat16ENS2_4HalfELi64ELb1ELi2EEEvPviiifPKvS7_S7_PKlii,@function
_ZN12tensorrt_llm7kernels32fusedQKNormRopeKernelNTokenHeadsIN3c108BFloat16ENS2_4HalfELi64ELb1ELi2EEEvPviiifPKvS7_S7_PKlii: ; @_ZN12tensorrt_llm7kernels32fusedQKNormRopeKernelNTokenHeadsIN3c108BFloat16ENS2_4HalfELi64ELb1ELi2EEEvPviiifPKvS7_S7_PKlii
; %bb.0:
	s_load_dwordx4 s[12:15], s[4:5], 0x8
	s_load_dwordx2 s[2:3], s[4:5], 0x38
	s_load_dword s0, s[4:5], 0x4c
	v_lshrrev_b32_e32 v13, 5, v0
	s_waitcnt lgkmcnt(0)
	s_add_i32 s21, s13, s12
	s_add_i32 s1, s21, 1
	s_lshr_b32 s7, s1, 31
	s_add_i32 s1, s1, s7
	s_ashr_i32 s20, s1, 1
	s_abs_i32 s1, s20
	v_cvt_f32_u32_e32 v1, s1
	s_bfe_u32 s0, s0, 0xb0005
	s_mul_i32 s6, s6, s0
	v_add_u32_e32 v9, s6, v13
	v_rcp_iflag_f32_e32 v1, v1
	s_sub_i32 s6, 0, s1
	v_sub_u32_e32 v2, 0, v9
	v_max_i32_e32 v2, v9, v2
	v_mul_f32_e32 v1, 0x4f7ffffe, v1
	v_cvt_u32_f32_e32 v1, v1
	v_xor_b32_e32 v3, s20, v9
	v_ashrrev_i32_e32 v3, 31, v3
	v_mul_lo_u32 v4, s6, v1
	v_mul_hi_u32 v4, v1, v4
	v_add_u32_e32 v1, v1, v4
	v_mul_hi_u32 v1, v2, v1
	v_mul_lo_u32 v4, v1, s1
	v_sub_u32_e32 v2, v2, v4
	v_add_u32_e32 v4, 1, v1
	v_cmp_le_u32_e32 vcc, s1, v2
	v_cndmask_b32_e32 v1, v1, v4, vcc
	v_subrev_u32_e32 v4, s1, v2
	v_cndmask_b32_e32 v2, v2, v4, vcc
	v_add_u32_e32 v4, 1, v1
	v_cmp_le_u32_e32 vcc, s1, v2
	v_cndmask_b32_e32 v1, v1, v4, vcc
	v_xor_b32_e32 v1, v1, v3
	v_sub_u32_e32 v2, v1, v3
	v_cmp_gt_i32_e32 vcc, s2, v2
	s_and_saveexec_b64 s[6:7], vcc
	s_cbranch_execz .LBB102_25
; %bb.1:
	v_and_b32_e32 v10, 31, v0
	v_mul_lo_u32 v0, v2, s20
	v_sub_u32_e32 v0, v9, v0
	s_load_dwordx2 s[16:17], s[4:5], 0x0
	v_lshlrev_b32_e32 v0, 1, v0
	v_add_u32_e32 v1, 2, v0
	v_sub_u32_e32 v3, s21, v0
	v_cmp_lt_i32_e32 vcc, s21, v1
	v_cndmask_b32_e32 v8, 2, v3, vcc
	s_lshl_b32 s18, s3, 1
	s_mul_i32 s2, s18, s0
	v_lshlrev_b32_e32 v12, 8, v13
	v_cmp_lt_i32_e64 s[0:1], 0, v8
	v_lshlrev_b32_e32 v4, 1, v10
	v_lshlrev_b32_e32 v11, 2, v10
	s_and_saveexec_b64 s[6:7], s[0:1]
	s_cbranch_execz .LBB102_9
; %bb.2:
	s_mov_b32 s19, 1
	v_cmp_ne_u32_e32 vcc, 1, v8
	s_mov_b64 s[10:11], -1
	v_mov_b32_e32 v1, 0
	s_and_saveexec_b64 s[8:9], vcc
	s_cbranch_execz .LBB102_6
; %bb.3:
	s_add_i32 s21, s21, s14
	s_add_i32 s10, s2, 0
	v_mul_lo_u32 v6, v2, s21
	s_mov_b32 s22, 0
	v_add3_u32 v7, s10, v12, v11
	v_mov_b32_e32 v1, v0
	s_mov_b32 s21, s12
	s_mov_b32 s23, s12
	v_mov_b32_e32 v3, v6
	v_mov_b32_e32 v5, v4
	v_and_b32_e32 v14, 0x7ffffffe, v8
	s_mov_b64 s[10:11], 0
	v_mov_b32_e32 v15, s12
	v_mov_b32_e32 v16, s12
	s_waitcnt lgkmcnt(0)
	v_mov_b32_e32 v17, s17
.LBB102_4:                              ; =>This Inner Loop Header: Depth=1
	v_add_u32_e32 v19, s19, v1
	v_add_u32_e32 v18, s22, v0
	v_cmp_le_i32_e32 vcc, s23, v19
	v_cndmask_b32_e32 v20, 0, v15, vcc
	v_cmp_le_i32_e32 vcc, s21, v18
	v_cndmask_b32_e32 v21, 0, v16, vcc
	v_sub_u32_e32 v18, v18, v21
	v_sub_u32_e32 v19, v19, v20
	v_add3_u32 v18, v6, v21, v18
	v_add3_u32 v19, v3, v20, v19
	v_lshl_or_b32 v18, v18, 6, v4
	v_lshl_or_b32 v20, v19, 6, v5
	v_ashrrev_i32_e32 v19, 31, v18
	v_lshlrev_b64 v[18:19], 1, v[18:19]
	v_ashrrev_i32_e32 v21, 31, v20
	v_add_co_u32_e32 v18, vcc, s16, v18
	v_lshlrev_b64 v[20:21], 1, v[20:21]
	v_addc_co_u32_e32 v19, vcc, v17, v19, vcc
	v_add_co_u32_e32 v20, vcc, s16, v20
	v_addc_co_u32_e32 v21, vcc, v17, v21, vcc
	global_load_dword v22, v[18:19], off
	global_load_dword v23, v[20:21], off
	v_add_u32_e32 v14, -2, v14
	v_lshl_add_u32 v18, s22, 7, v7
	v_lshl_add_u32 v19, s19, 7, v7
	s_add_i32 s22, s22, 2
	s_add_i32 s19, s19, 2
	v_cmp_eq_u32_e32 vcc, 0, v14
	s_or_b64 s[10:11], vcc, s[10:11]
	s_waitcnt vmcnt(1)
	ds_write_b32 v18, v22
	s_waitcnt vmcnt(0)
	ds_write_b32 v19, v23
	s_andn2_b64 exec, exec, s[10:11]
	s_cbranch_execnz .LBB102_4
; %bb.5:
	s_or_b64 exec, exec, s[10:11]
	v_and_b32_e32 v1, 0x7ffffffe, v8
	v_cmp_ne_u32_e32 vcc, v8, v1
	s_orn2_b64 s[10:11], vcc, exec
.LBB102_6:
	s_or_b64 exec, exec, s[8:9]
	s_and_b64 exec, exec, s[10:11]
	s_cbranch_execz .LBB102_9
; %bb.7:
	s_add_i32 s8, s14, s13
	s_add_i32 s8, s8, s12
	s_lshl_b32 s9, s20, 1
	s_sub_i32 s8, s8, s9
	v_mul_lo_u32 v3, s8, v2
	v_lshlrev_b32_e32 v5, 1, v9
	v_add3_u32 v3, v1, v3, v5
	v_lshl_or_b32 v6, v3, 6, v4
	v_lshlrev_b32_e32 v3, 7, v1
	v_add3_u32 v3, s2, v12, v3
	v_add3_u32 v3, v3, v11, 0
	s_mov_b64 s[8:9], 0
	s_waitcnt lgkmcnt(0)
	v_mov_b32_e32 v5, s17
.LBB102_8:                              ; =>This Inner Loop Header: Depth=1
	v_ashrrev_i32_e32 v7, 31, v6
	v_lshlrev_b64 v[14:15], 1, v[6:7]
	v_add_co_u32_e32 v14, vcc, s16, v14
	v_addc_co_u32_e32 v15, vcc, v5, v15, vcc
	global_load_dword v7, v[14:15], off
	v_add_u32_e32 v1, 1, v1
	v_cmp_ge_i32_e32 vcc, v1, v8
	v_add_u32_e32 v6, 64, v6
	s_or_b64 s[8:9], vcc, s[8:9]
	s_waitcnt vmcnt(0)
	ds_write_b32 v3, v7
	v_add_u32_e32 v3, 0x80, v3
	s_andn2_b64 exec, exec, s[8:9]
	s_cbranch_execnz .LBB102_8
.LBB102_9:
	s_or_b64 exec, exec, s[6:7]
	s_add_i32 s18, s18, 15
	s_load_dwordx8 s[4:11], s[4:5], 0x18
	s_ashr_i32 s19, s18, 31
	s_lshr_b32 s19, s19, 28
	s_add_i32 s18, s18, s19
	s_ashr_i32 s21, s18, 4
	v_mul_lo_u32 v1, v13, s3
	v_cmp_gt_i32_e32 vcc, s21, v10
	v_lshlrev_b32_e32 v5, 1, v1
	s_and_saveexec_b64 s[18:19], vcc
	s_cbranch_execz .LBB102_12
; %bb.10:
	v_ashrrev_i32_e32 v3, 31, v2
	v_lshlrev_b64 v[6:7], 3, v[2:3]
	s_waitcnt lgkmcnt(0)
	v_mov_b32_e32 v1, s11
	v_add_co_u32_e32 v6, vcc, s10, v6
	v_addc_co_u32_e32 v7, vcc, v1, v7, vcc
	global_load_dwordx2 v[6:7], v[6:7], off
	s_ashr_i32 s22, s3, 31
	v_lshlrev_b32_e32 v3, 4, v10
	v_add3_u32 v1, v5, v3, 0
	v_mov_b32_e32 v13, s9
	s_mov_b64 s[10:11], 0
	s_waitcnt vmcnt(0)
	v_mul_lo_u32 v14, v7, s3
	v_mul_lo_u32 v15, v6, s22
	v_mad_u64_u32 v[6:7], s[22:23], v6, s3, 0
	v_add3_u32 v7, v7, v15, v14
	v_lshlrev_b64 v[6:7], 1, v[6:7]
	v_add_co_u32_e32 v3, vcc, v6, v3
	v_addc_co_u32_e32 v7, vcc, 0, v7, vcc
	v_add_co_u32_e32 v6, vcc, s8, v3
	v_addc_co_u32_e32 v7, vcc, v13, v7, vcc
	v_mov_b32_e32 v3, v10
.LBB102_11:                             ; =>This Inner Loop Header: Depth=1
	global_load_dwordx4 v[14:17], v[6:7], off
	v_add_co_u32_e32 v6, vcc, 0x200, v6
	v_add_u32_e32 v3, 32, v3
	v_addc_co_u32_e32 v7, vcc, 0, v7, vcc
	v_cmp_le_i32_e32 vcc, s21, v3
	s_or_b64 s[10:11], vcc, s[10:11]
	s_waitcnt vmcnt(0)
	ds_write_b128 v1, v[14:17]
	v_add_u32_e32 v1, 0x200, v1
	s_andn2_b64 exec, exec, s[10:11]
	s_cbranch_execnz .LBB102_11
.LBB102_12:
	s_or_b64 exec, exec, s[18:19]
	s_and_b64 exec, exec, s[0:1]
	s_cbranch_execz .LBB102_25
; %bb.13:
	s_waitcnt lgkmcnt(0)
	global_load_dword v1, v11, s[4:5]
	global_load_dword v6, v11, s[6:7]
	v_mbcnt_lo_u32_b32 v3, -1, 0
	s_lshr_b32 s0, s3, 31
	s_add_i32 s1, s14, s13
	v_add_u32_e32 v13, s2, v12
	v_mbcnt_hi_u32_b32 v3, -1, v3
	s_lshl_b32 s11, s20, 1
	s_add_i32 s0, s3, s0
	s_add_i32 s1, s1, s12
	v_add3_u32 v11, v13, v11, 0
	v_and_b32_e32 v13, 0x60, v3
	v_add3_u32 v7, 0, v5, v4
	s_ashr_i32 s2, s0, 1
	s_and_b32 s0, s0, -2
	v_xor_b32_e32 v14, 16, v3
	s_sub_i32 s1, s1, s11
	v_add_u32_e32 v13, 32, v13
	v_xor_b32_e32 v15, 8, v3
	v_cmp_gt_i32_e32 vcc, s2, v10
	v_add_u32_e32 v10, s0, v7
	v_mul_lo_u32 v2, s1, v2
	v_cmp_lt_i32_e64 s[0:1], v14, v13
	v_xor_b32_e32 v16, 4, v3
	v_cndmask_b32_e64 v14, v3, v14, s[0:1]
	v_cmp_lt_i32_e64 s[0:1], v15, v13
	v_xor_b32_e32 v17, 2, v3
	v_cndmask_b32_e64 v15, v3, v15, s[0:1]
	;; [unrolled: 3-line block ×3, first 2 shown]
	v_cmp_lt_i32_e64 s[0:1], v17, v13
	v_lshlrev_b32_e32 v5, 7, v9
	v_cndmask_b32_e64 v17, v3, v17, s[0:1]
	v_cmp_lt_i32_e64 s[0:1], v18, v13
	v_cndmask_b32_e64 v3, v3, v18, s[0:1]
	v_lshl_add_u32 v2, v2, 6, v5
	s_mov_b32 s6, 0
	s_mov_b64 s[4:5], 0
	s_mov_b32 s7, 0xffff0000
	v_mov_b32_e32 v9, s15
	s_mov_b32 s8, 0x800000
	s_mov_b32 s9, 0x7f800000
	s_movk_i32 s10, 0x7fff
	v_mov_b32_e32 v12, s17
	v_lshlrev_b32_e32 v13, 2, v14
	v_lshlrev_b32_e32 v14, 2, v15
	;; [unrolled: 1-line block ×5, first 2 shown]
	v_or_b32_e32 v2, v2, v4
	v_mov_b32_e32 v20, 0
	s_waitcnt vmcnt(1)
	v_lshrrev_b32_e32 v18, 16, v1
	s_waitcnt vmcnt(0)
	v_lshrrev_b32_e32 v19, 16, v6
	s_branch .LBB102_15
.LBB102_14:                             ;   in Loop: Header=BB102_15 Depth=1
	s_or_b64 exec, exec, s[2:3]
	v_lshrrev_b32_e32 v3, 16, v3
	v_and_or_b32 v21, v4, s7, v3
	v_ashrrev_i32_e32 v3, 31, v2
	v_lshlrev_b64 v[4:5], 1, v[2:3]
	v_add_co_u32_e64 v4, s[0:1], s16, v4
	v_addc_co_u32_e64 v5, s[0:1], v12, v5, s[0:1]
	s_add_i32 s6, s6, 1
	v_cmp_ge_i32_e64 s[0:1], s6, v8
	v_add_u32_e32 v2, 64, v2
	s_or_b64 s[4:5], s[0:1], s[4:5]
	v_add_u32_e32 v11, 0x80, v11
	global_store_dword v[4:5], v21, off
	s_andn2_b64 exec, exec, s[4:5]
	s_cbranch_execz .LBB102_25
.LBB102_15:                             ; =>This Inner Loop Header: Depth=1
	ds_read_b32 v3, v11
	s_waitcnt lgkmcnt(0)
	v_and_b32_e32 v5, 0xffff0000, v3
	v_lshlrev_b32_e32 v4, 16, v3
	v_pk_mul_f32 v[22:23], v[4:5], v[4:5]
	v_add_f32_e32 v3, v23, v22
	ds_bpermute_b32 v21, v13, v3
	v_mov_b32_e32 v23, v9
	v_add_u32_e32 v22, s6, v0
	v_cmp_gt_i32_e64 s[2:3], s12, v22
	v_cndmask_b32_e64 v22, v6, v1, s[2:3]
	s_waitcnt lgkmcnt(0)
	v_add_f32_e32 v3, v3, v21
	ds_bpermute_b32 v21, v14, v3
	v_lshlrev_b32_e32 v22, 16, v22
	s_waitcnt lgkmcnt(0)
	v_add_f32_e32 v3, v3, v21
	ds_bpermute_b32 v21, v15, v3
	s_waitcnt lgkmcnt(0)
	v_add_f32_e32 v3, v3, v21
	ds_bpermute_b32 v21, v16, v3
	;; [unrolled: 3-line block ×3, first 2 shown]
	s_waitcnt lgkmcnt(0)
	v_add_f32_e32 v3, v3, v21
	v_fmac_f32_e32 v23, 0x3c800000, v3
	v_mul_f32_e32 v3, 0x4b800000, v23
	v_cmp_gt_f32_e64 s[0:1], s8, v23
	v_cndmask_b32_e64 v3, v23, v3, s[0:1]
	v_rsq_f32_e32 v3, v3
	v_cndmask_b32_e64 v21, v19, v18, s[2:3]
	v_lshlrev_b32_e32 v23, 16, v21
	v_mul_f32_e32 v21, 0x45800000, v3
	v_cndmask_b32_e64 v24, v3, v21, s[0:1]
	v_pk_mul_f32 v[22:23], v[24:25], v[22:23] op_sel_hi:[0,1]
	v_pk_mul_f32 v[4:5], v[22:23], v[4:5]
	s_and_saveexec_b64 s[0:1], vcc
	s_cbranch_execz .LBB102_17
; %bb.16:                               ;   in Loop: Header=BB102_15 Depth=1
	ds_read_u16 v3, v7
	ds_read_u16 v21, v10
	s_waitcnt lgkmcnt(1)
	v_cvt_f32_f16_e32 v23, v3
	s_waitcnt lgkmcnt(0)
	v_cvt_f32_f16_e32 v22, v21
	v_pk_mul_f32 v[24:25], v[4:5], v[22:23]
	v_mov_b32_e32 v3, v24
	v_mul_f32_e32 v25, v4, v23
	v_pk_fma_f32 v[22:23], v[4:5], v[22:23], v[2:3]
	v_fma_mix_f32 v4, -v5, v21, v25 op_sel_hi:[0,1,0]
	v_mov_b32_e32 v5, v23
.LBB102_17:                             ;   in Loop: Header=BB102_15 Depth=1
	s_or_b64 exec, exec, s[0:1]
	v_and_b32_e32 v3, 0x7f800000, v4
	v_cmp_ne_u32_e64 s[0:1], s9, v3
                                        ; implicit-def: $vgpr3
	s_and_saveexec_b64 s[2:3], s[0:1]
	s_xor_b64 s[0:1], exec, s[2:3]
; %bb.18:                               ;   in Loop: Header=BB102_15 Depth=1
	v_bfe_u32 v3, v4, 16, 1
	v_add3_u32 v3, v4, v3, s10
; %bb.19:                               ;   in Loop: Header=BB102_15 Depth=1
	s_andn2_saveexec_b64 s[2:3], s[0:1]
; %bb.20:                               ;   in Loop: Header=BB102_15 Depth=1
	v_or_b32_e32 v3, 0x10000, v4
	v_cmp_eq_u32_sdwa s[0:1], v4, v20 src0_sel:WORD_0 src1_sel:DWORD
	v_cndmask_b32_e64 v3, v3, v4, s[0:1]
; %bb.21:                               ;   in Loop: Header=BB102_15 Depth=1
	s_or_b64 exec, exec, s[2:3]
	v_and_b32_e32 v4, 0x7f800000, v5
	v_cmp_ne_u32_e64 s[0:1], s9, v4
                                        ; implicit-def: $vgpr4
	s_and_saveexec_b64 s[2:3], s[0:1]
	s_xor_b64 s[0:1], exec, s[2:3]
; %bb.22:                               ;   in Loop: Header=BB102_15 Depth=1
	v_bfe_u32 v4, v5, 16, 1
	v_add3_u32 v4, v5, v4, s10
                                        ; implicit-def: $vgpr5
; %bb.23:                               ;   in Loop: Header=BB102_15 Depth=1
	s_andn2_saveexec_b64 s[2:3], s[0:1]
	s_cbranch_execz .LBB102_14
; %bb.24:                               ;   in Loop: Header=BB102_15 Depth=1
	v_or_b32_e32 v4, 0x10000, v5
	v_cmp_eq_u32_sdwa s[0:1], v5, v20 src0_sel:WORD_0 src1_sel:DWORD
	v_cndmask_b32_e64 v4, v4, v5, s[0:1]
	s_branch .LBB102_14
.LBB102_25:
	s_endpgm
	.section	.rodata,"a",@progbits
	.p2align	6, 0x0
	.amdhsa_kernel _ZN12tensorrt_llm7kernels32fusedQKNormRopeKernelNTokenHeadsIN3c108BFloat16ENS2_4HalfELi64ELb1ELi2EEEvPviiifPKvS7_S7_PKlii
		.amdhsa_group_segment_fixed_size 0
		.amdhsa_private_segment_fixed_size 0
		.amdhsa_kernarg_size 320
		.amdhsa_user_sgpr_count 6
		.amdhsa_user_sgpr_private_segment_buffer 1
		.amdhsa_user_sgpr_dispatch_ptr 0
		.amdhsa_user_sgpr_queue_ptr 0
		.amdhsa_user_sgpr_kernarg_segment_ptr 1
		.amdhsa_user_sgpr_dispatch_id 0
		.amdhsa_user_sgpr_flat_scratch_init 0
		.amdhsa_user_sgpr_kernarg_preload_length 0
		.amdhsa_user_sgpr_kernarg_preload_offset 0
		.amdhsa_user_sgpr_private_segment_size 0
		.amdhsa_uses_dynamic_stack 0
		.amdhsa_system_sgpr_private_segment_wavefront_offset 0
		.amdhsa_system_sgpr_workgroup_id_x 1
		.amdhsa_system_sgpr_workgroup_id_y 0
		.amdhsa_system_sgpr_workgroup_id_z 0
		.amdhsa_system_sgpr_workgroup_info 0
		.amdhsa_system_vgpr_workitem_id 0
		.amdhsa_next_free_vgpr 26
		.amdhsa_next_free_sgpr 24
		.amdhsa_accum_offset 28
		.amdhsa_reserve_vcc 1
		.amdhsa_reserve_flat_scratch 0
		.amdhsa_float_round_mode_32 0
		.amdhsa_float_round_mode_16_64 0
		.amdhsa_float_denorm_mode_32 3
		.amdhsa_float_denorm_mode_16_64 3
		.amdhsa_dx10_clamp 1
		.amdhsa_ieee_mode 1
		.amdhsa_fp16_overflow 0
		.amdhsa_tg_split 0
		.amdhsa_exception_fp_ieee_invalid_op 0
		.amdhsa_exception_fp_denorm_src 0
		.amdhsa_exception_fp_ieee_div_zero 0
		.amdhsa_exception_fp_ieee_overflow 0
		.amdhsa_exception_fp_ieee_underflow 0
		.amdhsa_exception_fp_ieee_inexact 0
		.amdhsa_exception_int_div_zero 0
	.end_amdhsa_kernel
	.section	.text._ZN12tensorrt_llm7kernels32fusedQKNormRopeKernelNTokenHeadsIN3c108BFloat16ENS2_4HalfELi64ELb1ELi2EEEvPviiifPKvS7_S7_PKlii,"axG",@progbits,_ZN12tensorrt_llm7kernels32fusedQKNormRopeKernelNTokenHeadsIN3c108BFloat16ENS2_4HalfELi64ELb1ELi2EEEvPviiifPKvS7_S7_PKlii,comdat
.Lfunc_end102:
	.size	_ZN12tensorrt_llm7kernels32fusedQKNormRopeKernelNTokenHeadsIN3c108BFloat16ENS2_4HalfELi64ELb1ELi2EEEvPviiifPKvS7_S7_PKlii, .Lfunc_end102-_ZN12tensorrt_llm7kernels32fusedQKNormRopeKernelNTokenHeadsIN3c108BFloat16ENS2_4HalfELi64ELb1ELi2EEEvPviiifPKvS7_S7_PKlii
                                        ; -- End function
	.section	.AMDGPU.csdata,"",@progbits
; Kernel info:
; codeLenInByte = 1868
; NumSgprs: 28
; NumVgprs: 26
; NumAgprs: 0
; TotalNumVgprs: 26
; ScratchSize: 0
; MemoryBound: 0
; FloatMode: 240
; IeeeMode: 1
; LDSByteSize: 0 bytes/workgroup (compile time only)
; SGPRBlocks: 3
; VGPRBlocks: 3
; NumSGPRsForWavesPerEU: 28
; NumVGPRsForWavesPerEU: 26
; AccumOffset: 28
; Occupancy: 8
; WaveLimiterHint : 0
; COMPUTE_PGM_RSRC2:SCRATCH_EN: 0
; COMPUTE_PGM_RSRC2:USER_SGPR: 6
; COMPUTE_PGM_RSRC2:TRAP_HANDLER: 0
; COMPUTE_PGM_RSRC2:TGID_X_EN: 1
; COMPUTE_PGM_RSRC2:TGID_Y_EN: 0
; COMPUTE_PGM_RSRC2:TGID_Z_EN: 0
; COMPUTE_PGM_RSRC2:TIDIG_COMP_CNT: 0
; COMPUTE_PGM_RSRC3_GFX90A:ACCUM_OFFSET: 6
; COMPUTE_PGM_RSRC3_GFX90A:TG_SPLIT: 0
	.section	.text._ZN12tensorrt_llm7kernels32fusedQKNormRopeKernelNTokenHeadsIN3c108BFloat16ENS2_4HalfELi64ELb0ELi2EEEvPviiifPKvS7_S7_PKlii,"axG",@progbits,_ZN12tensorrt_llm7kernels32fusedQKNormRopeKernelNTokenHeadsIN3c108BFloat16ENS2_4HalfELi64ELb0ELi2EEEvPviiifPKvS7_S7_PKlii,comdat
	.protected	_ZN12tensorrt_llm7kernels32fusedQKNormRopeKernelNTokenHeadsIN3c108BFloat16ENS2_4HalfELi64ELb0ELi2EEEvPviiifPKvS7_S7_PKlii ; -- Begin function _ZN12tensorrt_llm7kernels32fusedQKNormRopeKernelNTokenHeadsIN3c108BFloat16ENS2_4HalfELi64ELb0ELi2EEEvPviiifPKvS7_S7_PKlii
	.globl	_ZN12tensorrt_llm7kernels32fusedQKNormRopeKernelNTokenHeadsIN3c108BFloat16ENS2_4HalfELi64ELb0ELi2EEEvPviiifPKvS7_S7_PKlii
	.p2align	8
	.type	_ZN12tensorrt_llm7kernels32fusedQKNormRopeKernelNTokenHeadsIN3c108BFloat16ENS2_4HalfELi64ELb0ELi2EEEvPviiifPKvS7_S7_PKlii,@function
_ZN12tensorrt_llm7kernels32fusedQKNormRopeKernelNTokenHeadsIN3c108BFloat16ENS2_4HalfELi64ELb0ELi2EEEvPviiifPKvS7_S7_PKlii: ; @_ZN12tensorrt_llm7kernels32fusedQKNormRopeKernelNTokenHeadsIN3c108BFloat16ENS2_4HalfELi64ELb0ELi2EEEvPviiifPKvS7_S7_PKlii
; %bb.0:
	s_load_dwordx4 s[12:15], s[4:5], 0x8
	s_load_dwordx2 s[2:3], s[4:5], 0x38
	s_load_dword s0, s[4:5], 0x4c
	v_lshrrev_b32_e32 v12, 5, v0
	s_waitcnt lgkmcnt(0)
	s_add_i32 s19, s13, s12
	s_add_i32 s1, s19, 1
	s_lshr_b32 s7, s1, 31
	s_add_i32 s1, s1, s7
	s_ashr_i32 s21, s1, 1
	s_abs_i32 s1, s21
	v_cvt_f32_u32_e32 v1, s1
	s_bfe_u32 s0, s0, 0xb0005
	s_mul_i32 s6, s6, s0
	v_add_u32_e32 v8, s6, v12
	v_rcp_iflag_f32_e32 v1, v1
	s_sub_i32 s6, 0, s1
	v_sub_u32_e32 v2, 0, v8
	v_max_i32_e32 v2, v8, v2
	v_mul_f32_e32 v1, 0x4f7ffffe, v1
	v_cvt_u32_f32_e32 v1, v1
	v_xor_b32_e32 v3, s21, v8
	v_ashrrev_i32_e32 v3, 31, v3
	v_mul_lo_u32 v4, s6, v1
	v_mul_hi_u32 v4, v1, v4
	v_add_u32_e32 v1, v1, v4
	v_mul_hi_u32 v1, v2, v1
	v_mul_lo_u32 v4, v1, s1
	v_sub_u32_e32 v2, v2, v4
	v_add_u32_e32 v4, 1, v1
	v_cmp_le_u32_e32 vcc, s1, v2
	v_cndmask_b32_e32 v1, v1, v4, vcc
	v_subrev_u32_e32 v4, s1, v2
	v_cndmask_b32_e32 v2, v2, v4, vcc
	v_add_u32_e32 v4, 1, v1
	v_cmp_le_u32_e32 vcc, s1, v2
	v_cndmask_b32_e32 v1, v1, v4, vcc
	v_xor_b32_e32 v1, v1, v3
	v_sub_u32_e32 v2, v1, v3
	v_cmp_gt_i32_e32 vcc, s2, v2
	s_and_saveexec_b64 s[6:7], vcc
	s_cbranch_execz .LBB103_25
; %bb.1:
	v_and_b32_e32 v9, 31, v0
	v_mul_lo_u32 v0, v2, s21
	v_sub_u32_e32 v0, v8, v0
	s_load_dwordx2 s[16:17], s[4:5], 0x0
	v_lshlrev_b32_e32 v0, 1, v0
	v_add_u32_e32 v1, 2, v0
	v_sub_u32_e32 v3, s19, v0
	v_cmp_lt_i32_e32 vcc, s19, v1
	v_cndmask_b32_e32 v7, 2, v3, vcc
	s_lshl_b32 s2, s3, 1
	s_mul_i32 s20, s2, s0
	v_lshlrev_b32_e32 v10, 8, v12
	v_cmp_lt_i32_e64 s[0:1], 0, v7
	v_lshlrev_b32_e32 v11, 2, v9
	s_and_saveexec_b64 s[6:7], s[0:1]
	s_cbranch_execz .LBB103_9
; %bb.2:
	s_mov_b32 s18, 1
	v_lshlrev_b32_e32 v4, 1, v9
	v_cmp_ne_u32_e32 vcc, 1, v7
	s_mov_b64 s[10:11], -1
	v_mov_b32_e32 v1, 0
	s_and_saveexec_b64 s[8:9], vcc
	s_cbranch_execz .LBB103_6
; %bb.3:
	s_add_i32 s19, s19, s14
	s_add_i32 s10, s20, 0
	v_mul_lo_u32 v6, v2, s19
	s_mov_b32 s22, 0
	v_add3_u32 v13, s10, v10, v11
	v_mov_b32_e32 v1, v0
	s_mov_b32 s19, s12
	s_mov_b32 s23, s12
	v_mov_b32_e32 v3, v6
	v_mov_b32_e32 v5, v4
	v_and_b32_e32 v14, 0x7ffffffe, v7
	s_mov_b64 s[10:11], 0
	v_mov_b32_e32 v15, s12
	v_mov_b32_e32 v16, s12
	s_waitcnt lgkmcnt(0)
	v_mov_b32_e32 v17, s17
.LBB103_4:                              ; =>This Inner Loop Header: Depth=1
	v_add_u32_e32 v19, s18, v1
	v_add_u32_e32 v18, s22, v0
	v_cmp_le_i32_e32 vcc, s23, v19
	v_cndmask_b32_e32 v20, 0, v15, vcc
	v_cmp_le_i32_e32 vcc, s19, v18
	v_cndmask_b32_e32 v21, 0, v16, vcc
	v_sub_u32_e32 v18, v18, v21
	v_sub_u32_e32 v19, v19, v20
	v_add3_u32 v18, v6, v21, v18
	v_add3_u32 v19, v3, v20, v19
	v_lshl_or_b32 v18, v18, 6, v4
	v_lshl_or_b32 v20, v19, 6, v5
	v_ashrrev_i32_e32 v19, 31, v18
	v_lshlrev_b64 v[18:19], 1, v[18:19]
	v_ashrrev_i32_e32 v21, 31, v20
	v_add_co_u32_e32 v18, vcc, s16, v18
	v_lshlrev_b64 v[20:21], 1, v[20:21]
	v_addc_co_u32_e32 v19, vcc, v17, v19, vcc
	v_add_co_u32_e32 v20, vcc, s16, v20
	v_addc_co_u32_e32 v21, vcc, v17, v21, vcc
	global_load_dword v22, v[18:19], off
	global_load_dword v23, v[20:21], off
	v_add_u32_e32 v14, -2, v14
	v_lshl_add_u32 v18, s22, 7, v13
	v_lshl_add_u32 v19, s18, 7, v13
	s_add_i32 s22, s22, 2
	s_add_i32 s18, s18, 2
	v_cmp_eq_u32_e32 vcc, 0, v14
	s_or_b64 s[10:11], vcc, s[10:11]
	s_waitcnt vmcnt(1)
	ds_write_b32 v18, v22
	s_waitcnt vmcnt(0)
	ds_write_b32 v19, v23
	s_andn2_b64 exec, exec, s[10:11]
	s_cbranch_execnz .LBB103_4
; %bb.5:
	s_or_b64 exec, exec, s[10:11]
	v_and_b32_e32 v1, 0x7ffffffe, v7
	v_cmp_ne_u32_e32 vcc, v7, v1
	s_orn2_b64 s[10:11], vcc, exec
.LBB103_6:
	s_or_b64 exec, exec, s[8:9]
	s_and_b64 exec, exec, s[10:11]
	s_cbranch_execz .LBB103_9
; %bb.7:
	s_add_i32 s8, s14, s13
	s_add_i32 s8, s8, s12
	s_lshl_b32 s9, s21, 1
	s_sub_i32 s8, s8, s9
	v_mul_lo_u32 v3, s8, v2
	v_lshlrev_b32_e32 v5, 1, v8
	v_add3_u32 v3, v1, v3, v5
	v_lshl_or_b32 v4, v3, 6, v4
	v_lshlrev_b32_e32 v3, 7, v1
	v_add3_u32 v3, s20, v10, v3
	v_add3_u32 v3, v3, v11, 0
	s_mov_b64 s[8:9], 0
	s_waitcnt lgkmcnt(0)
	v_mov_b32_e32 v6, s17
.LBB103_8:                              ; =>This Inner Loop Header: Depth=1
	v_ashrrev_i32_e32 v5, 31, v4
	v_lshlrev_b64 v[14:15], 1, v[4:5]
	v_add_co_u32_e32 v14, vcc, s16, v14
	v_addc_co_u32_e32 v15, vcc, v6, v15, vcc
	global_load_dword v5, v[14:15], off
	v_add_u32_e32 v1, 1, v1
	v_cmp_ge_i32_e32 vcc, v1, v7
	v_add_u32_e32 v4, 64, v4
	s_or_b64 s[8:9], vcc, s[8:9]
	s_waitcnt vmcnt(0)
	ds_write_b32 v3, v5
	v_add_u32_e32 v3, 0x80, v3
	s_andn2_b64 exec, exec, s[8:9]
	s_cbranch_execnz .LBB103_8
.LBB103_9:
	s_or_b64 exec, exec, s[6:7]
	s_add_i32 s2, s2, 15
	s_load_dwordx8 s[4:11], s[4:5], 0x18
	s_ashr_i32 s18, s2, 31
	s_lshr_b32 s18, s18, 28
	s_add_i32 s2, s2, s18
	s_ashr_i32 s2, s2, 4
	v_cmp_gt_i32_e32 vcc, s2, v9
	v_mul_lo_u32 v12, v12, s3
	s_and_saveexec_b64 s[18:19], vcc
	s_cbranch_execz .LBB103_12
; %bb.10:
	v_ashrrev_i32_e32 v3, 31, v2
	v_lshlrev_b64 v[4:5], 3, v[2:3]
	s_waitcnt lgkmcnt(0)
	v_mov_b32_e32 v1, s11
	v_add_co_u32_e32 v4, vcc, s10, v4
	v_addc_co_u32_e32 v5, vcc, v1, v5, vcc
	global_load_dwordx2 v[4:5], v[4:5], off
	s_ashr_i32 s22, s3, 31
	v_lshlrev_b32_e32 v1, 1, v12
	v_lshlrev_b32_e32 v3, 4, v9
	v_add3_u32 v1, v1, v3, 0
	v_mov_b32_e32 v6, s9
	s_mov_b64 s[10:11], 0
	s_waitcnt vmcnt(0)
	v_mul_lo_u32 v13, v5, s3
	v_mul_lo_u32 v14, v4, s22
	v_mad_u64_u32 v[4:5], s[22:23], v4, s3, 0
	v_add3_u32 v5, v5, v14, v13
	v_lshlrev_b64 v[4:5], 1, v[4:5]
	v_add_co_u32_e32 v3, vcc, v4, v3
	v_addc_co_u32_e32 v5, vcc, 0, v5, vcc
	v_add_co_u32_e32 v4, vcc, s8, v3
	v_addc_co_u32_e32 v5, vcc, v6, v5, vcc
	v_mov_b32_e32 v3, v9
.LBB103_11:                             ; =>This Inner Loop Header: Depth=1
	global_load_dwordx4 v[14:17], v[4:5], off
	v_add_co_u32_e32 v4, vcc, 0x200, v4
	v_add_u32_e32 v3, 32, v3
	v_addc_co_u32_e32 v5, vcc, 0, v5, vcc
	v_cmp_le_i32_e32 vcc, s2, v3
	s_or_b64 s[10:11], vcc, s[10:11]
	s_waitcnt vmcnt(0)
	ds_write_b128 v1, v[14:17]
	v_add_u32_e32 v1, 0x200, v1
	s_andn2_b64 exec, exec, s[10:11]
	s_cbranch_execnz .LBB103_11
.LBB103_12:
	s_or_b64 exec, exec, s[18:19]
	s_and_b64 exec, exec, s[0:1]
	s_cbranch_execz .LBB103_25
; %bb.13:
	s_waitcnt lgkmcnt(0)
	global_load_dword v1, v11, s[4:5]
	global_load_dword v6, v11, s[6:7]
	v_mbcnt_lo_u32_b32 v4, -1, 0
	s_abs_i32 s4, s3
	s_lshr_b32 s0, s3, 31
	v_mbcnt_hi_u32_b32 v4, -1, v4
	v_cvt_f32_u32_e32 v14, s4
	v_lshl_add_u32 v3, v12, 1, 0
	s_add_i32 s1, s14, s13
	s_add_i32 s0, s3, s0
	v_and_b32_e32 v12, 0x60, v4
	s_add_i32 s7, s1, s12
	s_ashr_i32 s1, s0, 1
	s_and_b32 s0, s0, -2
	v_xor_b32_e32 v13, 16, v4
	v_add_u32_e32 v12, 32, v12
	v_xor_b32_e32 v15, 8, v4
	v_add_u32_e32 v21, s0, v3
	v_cmp_gt_i32_e32 vcc, s1, v9
	s_lshr_b32 s2, s1, 1
	v_cmp_lt_i32_e64 s[0:1], v13, v12
	v_xor_b32_e32 v16, 4, v4
	v_cndmask_b32_e64 v13, v4, v13, s[0:1]
	v_cmp_lt_i32_e64 s[0:1], v15, v12
	v_rcp_iflag_f32_e32 v22, v14
	v_xor_b32_e32 v17, 2, v4
	v_cndmask_b32_e64 v15, v4, v15, s[0:1]
	v_cmp_lt_i32_e64 s[0:1], v16, v12
	v_xor_b32_e32 v18, 1, v4
	v_cndmask_b32_e64 v16, v4, v16, s[0:1]
	v_cmp_lt_i32_e64 s[0:1], v17, v12
	v_cndmask_b32_e64 v17, v4, v17, s[0:1]
	v_cmp_lt_i32_e64 s[0:1], v18, v12
	v_cndmask_b32_e64 v18, v4, v18, s[0:1]
	v_lshlrev_b32_e32 v12, 2, v13
	v_lshlrev_b32_e32 v13, 2, v15
	;; [unrolled: 1-line block ×3, first 2 shown]
	v_mul_f32_e32 v17, 0x4f7ffffe, v22
	v_and_b32_e32 v19, 64, v4
	v_lshlrev_b32_e32 v14, 2, v16
	v_lshlrev_b32_e32 v16, 2, v18
	v_cvt_u32_f32_e32 v18, v17
	v_add_u32_e32 v19, 64, v19
	v_xor_b32_e32 v20, s2, v4
	v_cmp_gt_u32_e64 s[0:1], s2, v9
	v_cmp_lt_i32_e64 s[2:3], v20, v19
	s_sub_i32 s6, 0, s4
	v_cndmask_b32_e64 v4, v4, v20, s[2:3]
	v_lshlrev_b32_e32 v17, 2, v4
	v_mul_lo_u32 v4, s6, v18
	v_mul_hi_u32 v4, v18, v4
	v_add_u32_e32 v4, v18, v4
	v_or_b32_e32 v5, 2, v11
	v_mul_hi_u32 v18, v11, v4
	v_mul_hi_u32 v4, v5, v4
	v_mul_lo_u32 v18, v18, s4
	v_mul_lo_u32 v4, v4, s4
	v_sub_u32_e32 v18, v11, v18
	v_sub_u32_e32 v4, v5, v4
	v_subrev_u32_e32 v5, s4, v18
	v_cmp_le_u32_e64 s[2:3], s4, v18
	v_subrev_u32_e32 v19, s4, v4
	v_cndmask_b32_e64 v5, v18, v5, s[2:3]
	v_cmp_le_u32_e64 s[2:3], s4, v4
	v_cndmask_b32_e64 v4, v4, v19, s[2:3]
	v_subrev_u32_e32 v18, s4, v5
	v_cmp_le_u32_e64 s[2:3], s4, v5
	v_subrev_u32_e32 v19, s4, v4
	v_cndmask_b32_e64 v5, v5, v18, s[2:3]
	v_cmp_le_u32_e64 s[2:3], s4, v4
	s_lshl_b32 s5, s21, 1
	v_cndmask_b32_e64 v4, v4, v19, s[2:3]
	v_and_b32_e32 v5, -2, v5
	v_and_b32_e32 v4, -2, v4
	s_sub_i32 s2, s7, s5
	v_add_u32_e32 v18, v3, v5
	v_add_u32_e32 v20, v3, v4
	v_mul_lo_u32 v2, s2, v2
	v_lshlrev_b32_e32 v3, 7, v8
	v_lshl_add_u32 v2, v2, 6, v3
	v_add_u32_e32 v3, s20, v10
	s_mov_b32 s8, 0
	v_add_u32_e32 v19, v21, v5
	v_add_u32_e32 v21, v21, v4
	s_waitcnt vmcnt(1)
	v_lshrrev_b32_e32 v22, 16, v1
	s_waitcnt vmcnt(0)
	v_lshrrev_b32_e32 v23, 16, v6
	v_lshl_or_b32 v2, v9, 1, v2
	v_add3_u32 v8, v3, v11, 0
	s_mov_b64 s[6:7], 0
	s_mov_b32 s9, 0xffff0000
	v_mov_b32_e32 v9, s15
	s_mov_b32 s10, 0x800000
	s_mov_b32 s11, 0x7f800000
	s_movk_i32 s13, 0x7fff
	v_mov_b32_e32 v10, 0
	s_branch .LBB103_15
.LBB103_14:                             ;   in Loop: Header=BB103_15 Depth=1
	s_or_b64 exec, exec, s[4:5]
	v_lshrrev_b32_e32 v3, 16, v3
	v_and_or_b32 v11, v11, s9, v3
	v_ashrrev_i32_e32 v3, 31, v2
	v_lshlrev_b64 v[4:5], 1, v[2:3]
	v_mov_b32_e32 v3, s17
	v_add_co_u32_e64 v4, s[2:3], s16, v4
	v_addc_co_u32_e64 v5, s[2:3], v3, v5, s[2:3]
	s_add_i32 s8, s8, 1
	v_cmp_ge_i32_e64 s[2:3], s8, v7
	v_add_u32_e32 v2, 64, v2
	s_or_b64 s[6:7], s[2:3], s[6:7]
	v_add_u32_e32 v8, 0x80, v8
	global_store_dword v[4:5], v11, off
	s_andn2_b64 exec, exec, s[6:7]
	s_cbranch_execz .LBB103_25
.LBB103_15:                             ; =>This Inner Loop Header: Depth=1
	ds_read_b32 v3, v8
	v_mov_b32_e32 v11, v9
	s_waitcnt lgkmcnt(0)
	v_and_b32_e32 v24, 0xffff0000, v3
	v_lshlrev_b32_e32 v25, 16, v3
	v_pk_mul_f32 v[4:5], v[24:25], v[24:25]
	v_add_f32_e32 v3, v4, v5
	ds_bpermute_b32 v4, v12, v3
	v_add_u32_e32 v5, s8, v0
	v_cmp_gt_i32_e64 s[2:3], s12, v5
	v_cndmask_b32_e64 v5, v6, v1, s[2:3]
	s_waitcnt lgkmcnt(0)
	v_add_f32_e32 v3, v3, v4
	ds_bpermute_b32 v4, v13, v3
	s_waitcnt lgkmcnt(0)
	v_add_f32_e32 v3, v3, v4
	ds_bpermute_b32 v4, v14, v3
	;; [unrolled: 3-line block ×4, first 2 shown]
	s_waitcnt lgkmcnt(0)
	v_add_f32_e32 v3, v3, v4
	v_fmac_f32_e32 v11, 0x3c800000, v3
	v_mul_f32_e32 v3, 0x4b800000, v11
	v_cmp_gt_f32_e64 s[4:5], s10, v11
	v_cndmask_b32_e64 v3, v11, v3, s[4:5]
	v_rsq_f32_e32 v3, v3
	v_lshlrev_b32_e32 v4, 16, v5
	v_cndmask_b32_e64 v5, v23, v22, s[2:3]
	v_lshlrev_b32_e32 v5, 16, v5
	v_mul_f32_e32 v11, 0x45800000, v3
	v_cndmask_b32_e64 v3, v3, v11, s[4:5]
	v_mul_f32_e32 v4, v3, v4
	v_mul_f32_e32 v3, v3, v5
	v_mul_f32_e32 v4, v4, v25
	v_mul_f32_e32 v5, v3, v24
	s_and_saveexec_b64 s[2:3], vcc
	s_cbranch_execz .LBB103_17
; %bb.16:                               ;   in Loop: Header=BB103_15 Depth=1
	; wave barrier
	ds_read_u16 v3, v19
	ds_read_u16 v11, v18
	ds_bpermute_b32 v24, v17, v4
	ds_read_u16 v25, v21
	ds_read_u16 v26, v20
	ds_bpermute_b32 v27, v17, v5
	s_waitcnt lgkmcnt(5)
	v_cvt_f32_f16_e32 v3, v3
	s_waitcnt lgkmcnt(2)
	v_cvt_f32_f16_e32 v25, v25
	v_cndmask_b32_e64 v24, v24, -v24, s[0:1]
	v_mul_f32_e32 v3, v24, v3
	v_fma_mix_f32 v4, v4, v11, v3 op_sel_hi:[0,1,0]
	s_waitcnt lgkmcnt(0)
	v_cndmask_b32_e64 v3, v27, -v27, s[0:1]
	v_mul_f32_e32 v3, v3, v25
	v_fma_mix_f32 v5, v5, v26, v3 op_sel_hi:[0,1,0]
	; wave barrier
.LBB103_17:                             ;   in Loop: Header=BB103_15 Depth=1
	s_or_b64 exec, exec, s[2:3]
	v_and_b32_e32 v3, 0x7f800000, v4
	v_cmp_ne_u32_e64 s[2:3], s11, v3
                                        ; implicit-def: $vgpr3
	s_and_saveexec_b64 s[4:5], s[2:3]
	s_xor_b64 s[2:3], exec, s[4:5]
; %bb.18:                               ;   in Loop: Header=BB103_15 Depth=1
	v_bfe_u32 v3, v4, 16, 1
	v_add3_u32 v3, v4, v3, s13
; %bb.19:                               ;   in Loop: Header=BB103_15 Depth=1
	s_andn2_saveexec_b64 s[4:5], s[2:3]
; %bb.20:                               ;   in Loop: Header=BB103_15 Depth=1
	v_or_b32_e32 v3, 0x10000, v4
	v_cmp_eq_u32_sdwa s[2:3], v4, v10 src0_sel:WORD_0 src1_sel:DWORD
	v_cndmask_b32_e64 v3, v3, v4, s[2:3]
; %bb.21:                               ;   in Loop: Header=BB103_15 Depth=1
	s_or_b64 exec, exec, s[4:5]
	v_and_b32_e32 v4, 0x7f800000, v5
	v_cmp_ne_u32_e64 s[2:3], s11, v4
                                        ; implicit-def: $vgpr11
	s_and_saveexec_b64 s[4:5], s[2:3]
	s_xor_b64 s[2:3], exec, s[4:5]
; %bb.22:                               ;   in Loop: Header=BB103_15 Depth=1
	v_bfe_u32 v4, v5, 16, 1
	v_add3_u32 v11, v5, v4, s13
                                        ; implicit-def: $vgpr4_vgpr5
; %bb.23:                               ;   in Loop: Header=BB103_15 Depth=1
	s_andn2_saveexec_b64 s[4:5], s[2:3]
	s_cbranch_execz .LBB103_14
; %bb.24:                               ;   in Loop: Header=BB103_15 Depth=1
	v_or_b32_e32 v4, 0x10000, v5
	v_cmp_eq_u32_sdwa s[2:3], v5, v10 src0_sel:WORD_0 src1_sel:DWORD
	v_cndmask_b32_e64 v11, v4, v5, s[2:3]
	s_branch .LBB103_14
.LBB103_25:
	s_endpgm
	.section	.rodata,"a",@progbits
	.p2align	6, 0x0
	.amdhsa_kernel _ZN12tensorrt_llm7kernels32fusedQKNormRopeKernelNTokenHeadsIN3c108BFloat16ENS2_4HalfELi64ELb0ELi2EEEvPviiifPKvS7_S7_PKlii
		.amdhsa_group_segment_fixed_size 0
		.amdhsa_private_segment_fixed_size 0
		.amdhsa_kernarg_size 320
		.amdhsa_user_sgpr_count 6
		.amdhsa_user_sgpr_private_segment_buffer 1
		.amdhsa_user_sgpr_dispatch_ptr 0
		.amdhsa_user_sgpr_queue_ptr 0
		.amdhsa_user_sgpr_kernarg_segment_ptr 1
		.amdhsa_user_sgpr_dispatch_id 0
		.amdhsa_user_sgpr_flat_scratch_init 0
		.amdhsa_user_sgpr_kernarg_preload_length 0
		.amdhsa_user_sgpr_kernarg_preload_offset 0
		.amdhsa_user_sgpr_private_segment_size 0
		.amdhsa_uses_dynamic_stack 0
		.amdhsa_system_sgpr_private_segment_wavefront_offset 0
		.amdhsa_system_sgpr_workgroup_id_x 1
		.amdhsa_system_sgpr_workgroup_id_y 0
		.amdhsa_system_sgpr_workgroup_id_z 0
		.amdhsa_system_sgpr_workgroup_info 0
		.amdhsa_system_vgpr_workitem_id 0
		.amdhsa_next_free_vgpr 28
		.amdhsa_next_free_sgpr 24
		.amdhsa_accum_offset 28
		.amdhsa_reserve_vcc 1
		.amdhsa_reserve_flat_scratch 0
		.amdhsa_float_round_mode_32 0
		.amdhsa_float_round_mode_16_64 0
		.amdhsa_float_denorm_mode_32 3
		.amdhsa_float_denorm_mode_16_64 3
		.amdhsa_dx10_clamp 1
		.amdhsa_ieee_mode 1
		.amdhsa_fp16_overflow 0
		.amdhsa_tg_split 0
		.amdhsa_exception_fp_ieee_invalid_op 0
		.amdhsa_exception_fp_denorm_src 0
		.amdhsa_exception_fp_ieee_div_zero 0
		.amdhsa_exception_fp_ieee_overflow 0
		.amdhsa_exception_fp_ieee_underflow 0
		.amdhsa_exception_fp_ieee_inexact 0
		.amdhsa_exception_int_div_zero 0
	.end_amdhsa_kernel
	.section	.text._ZN12tensorrt_llm7kernels32fusedQKNormRopeKernelNTokenHeadsIN3c108BFloat16ENS2_4HalfELi64ELb0ELi2EEEvPviiifPKvS7_S7_PKlii,"axG",@progbits,_ZN12tensorrt_llm7kernels32fusedQKNormRopeKernelNTokenHeadsIN3c108BFloat16ENS2_4HalfELi64ELb0ELi2EEEvPviiifPKvS7_S7_PKlii,comdat
.Lfunc_end103:
	.size	_ZN12tensorrt_llm7kernels32fusedQKNormRopeKernelNTokenHeadsIN3c108BFloat16ENS2_4HalfELi64ELb0ELi2EEEvPviiifPKvS7_S7_PKlii, .Lfunc_end103-_ZN12tensorrt_llm7kernels32fusedQKNormRopeKernelNTokenHeadsIN3c108BFloat16ENS2_4HalfELi64ELb0ELi2EEEvPviiifPKvS7_S7_PKlii
                                        ; -- End function
	.section	.AMDGPU.csdata,"",@progbits
; Kernel info:
; codeLenInByte = 2152
; NumSgprs: 28
; NumVgprs: 28
; NumAgprs: 0
; TotalNumVgprs: 28
; ScratchSize: 0
; MemoryBound: 0
; FloatMode: 240
; IeeeMode: 1
; LDSByteSize: 0 bytes/workgroup (compile time only)
; SGPRBlocks: 3
; VGPRBlocks: 3
; NumSGPRsForWavesPerEU: 28
; NumVGPRsForWavesPerEU: 28
; AccumOffset: 28
; Occupancy: 8
; WaveLimiterHint : 0
; COMPUTE_PGM_RSRC2:SCRATCH_EN: 0
; COMPUTE_PGM_RSRC2:USER_SGPR: 6
; COMPUTE_PGM_RSRC2:TRAP_HANDLER: 0
; COMPUTE_PGM_RSRC2:TGID_X_EN: 1
; COMPUTE_PGM_RSRC2:TGID_Y_EN: 0
; COMPUTE_PGM_RSRC2:TGID_Z_EN: 0
; COMPUTE_PGM_RSRC2:TIDIG_COMP_CNT: 0
; COMPUTE_PGM_RSRC3_GFX90A:ACCUM_OFFSET: 6
; COMPUTE_PGM_RSRC3_GFX90A:TG_SPLIT: 0
	.section	.text._ZN12tensorrt_llm7kernels32fusedQKNormRopeKernelNTokenHeadsIN3c108BFloat16ENS2_4HalfELi128ELb1ELi2EEEvPviiifPKvS7_S7_PKlii,"axG",@progbits,_ZN12tensorrt_llm7kernels32fusedQKNormRopeKernelNTokenHeadsIN3c108BFloat16ENS2_4HalfELi128ELb1ELi2EEEvPviiifPKvS7_S7_PKlii,comdat
	.protected	_ZN12tensorrt_llm7kernels32fusedQKNormRopeKernelNTokenHeadsIN3c108BFloat16ENS2_4HalfELi128ELb1ELi2EEEvPviiifPKvS7_S7_PKlii ; -- Begin function _ZN12tensorrt_llm7kernels32fusedQKNormRopeKernelNTokenHeadsIN3c108BFloat16ENS2_4HalfELi128ELb1ELi2EEEvPviiifPKvS7_S7_PKlii
	.globl	_ZN12tensorrt_llm7kernels32fusedQKNormRopeKernelNTokenHeadsIN3c108BFloat16ENS2_4HalfELi128ELb1ELi2EEEvPviiifPKvS7_S7_PKlii
	.p2align	8
	.type	_ZN12tensorrt_llm7kernels32fusedQKNormRopeKernelNTokenHeadsIN3c108BFloat16ENS2_4HalfELi128ELb1ELi2EEEvPviiifPKvS7_S7_PKlii,@function
_ZN12tensorrt_llm7kernels32fusedQKNormRopeKernelNTokenHeadsIN3c108BFloat16ENS2_4HalfELi128ELb1ELi2EEEvPviiifPKvS7_S7_PKlii: ; @_ZN12tensorrt_llm7kernels32fusedQKNormRopeKernelNTokenHeadsIN3c108BFloat16ENS2_4HalfELi128ELb1ELi2EEEvPviiifPKvS7_S7_PKlii
; %bb.0:
	s_load_dwordx4 s[12:15], s[4:5], 0x8
	s_load_dwordx2 s[16:17], s[4:5], 0x38
	s_load_dword s1, s[4:5], 0x4c
	v_lshrrev_b32_e32 v2, 5, v0
	s_waitcnt lgkmcnt(0)
	s_add_i32 s0, s13, s12
	s_add_i32 s2, s0, 1
	s_lshr_b32 s3, s2, 31
	s_add_i32 s2, s2, s3
	s_ashr_i32 s20, s2, 1
	s_abs_i32 s2, s20
	v_cvt_f32_u32_e32 v1, s2
	s_bfe_u32 s1, s1, 0xb0005
	s_mul_i32 s6, s6, s1
	s_sub_i32 s3, 0, s2
	v_rcp_iflag_f32_e32 v3, v1
	v_add_u32_e32 v1, s6, v2
	v_sub_u32_e32 v4, 0, v1
	v_max_i32_e32 v4, v1, v4
	v_mul_f32_e32 v3, 0x4f7ffffe, v3
	v_cvt_u32_f32_e32 v3, v3
	v_xor_b32_e32 v5, s20, v1
	v_ashrrev_i32_e32 v5, 31, v5
	v_mul_lo_u32 v6, s3, v3
	v_mul_hi_u32 v6, v3, v6
	v_add_u32_e32 v3, v3, v6
	v_mul_hi_u32 v3, v4, v3
	v_mul_lo_u32 v6, v3, s2
	v_sub_u32_e32 v4, v4, v6
	v_add_u32_e32 v6, 1, v3
	v_cmp_le_u32_e32 vcc, s2, v4
	v_cndmask_b32_e32 v3, v3, v6, vcc
	v_subrev_u32_e32 v6, s2, v4
	v_cndmask_b32_e32 v4, v4, v6, vcc
	v_add_u32_e32 v6, 1, v3
	v_cmp_le_u32_e32 vcc, s2, v4
	v_cndmask_b32_e32 v3, v3, v6, vcc
	v_xor_b32_e32 v3, v3, v5
	v_sub_u32_e32 v4, v3, v5
	v_cmp_gt_i32_e32 vcc, s16, v4
	s_and_saveexec_b64 s[2:3], vcc
	s_cbranch_execz .LBB104_28
; %bb.1:
	v_and_b32_e32 v6, 31, v0
	v_mul_lo_u32 v0, v4, s20
	v_sub_u32_e32 v0, v1, v0
	s_load_dwordx2 s[2:3], s[4:5], 0x0
	v_lshlrev_b32_e32 v10, 1, v0
	v_add_u32_e32 v0, 2, v10
	v_sub_u32_e32 v3, s0, v10
	v_cmp_lt_i32_e32 vcc, s0, v0
	v_cndmask_b32_e32 v11, 2, v3, vcc
	s_lshl_b32 s18, s17, 1
	s_mul_i32 s16, s18, s1
	v_lshlrev_b32_e32 v9, 9, v2
	v_cmp_lt_i32_e64 s[0:1], 0, v11
	v_lshlrev_b32_e32 v8, 3, v6
	v_lshlrev_b32_e32 v7, 8, v1
	s_and_saveexec_b64 s[6:7], s[0:1]
	s_cbranch_execz .LBB104_4
; %bb.2:
	s_add_i32 s8, s16, 0
	v_add3_u32 v3, s8, v9, v8
	s_add_i32 s8, s14, s13
	s_add_i32 s8, s8, s12
	s_lshl_b32 s9, s20, 1
	s_sub_i32 s8, s8, s9
	v_mul_lo_u32 v0, s8, v4
	v_lshl_add_u32 v0, v0, 7, v7
	s_mov_b32 s10, 0
	v_lshl_or_b32 v0, v6, 2, v0
	s_mov_b64 s[8:9], 0
	s_waitcnt lgkmcnt(0)
	v_mov_b32_e32 v5, s3
.LBB104_3:                              ; =>This Inner Loop Header: Depth=1
	v_ashrrev_i32_e32 v1, 31, v0
	v_lshlrev_b64 v[12:13], 1, v[0:1]
	v_add_co_u32_e32 v12, vcc, s2, v12
	v_addc_co_u32_e32 v13, vcc, v5, v13, vcc
	global_load_dwordx2 v[12:13], v[12:13], off
	s_add_i32 s10, s10, 1
	v_cmp_ge_i32_e32 vcc, s10, v11
	v_add_u32_e32 v0, 0x80, v0
	s_or_b64 s[8:9], vcc, s[8:9]
	s_waitcnt vmcnt(0)
	ds_write_b64 v3, v[12:13]
	v_add_u32_e32 v3, 0x100, v3
	s_andn2_b64 exec, exec, s[8:9]
	s_cbranch_execnz .LBB104_3
.LBB104_4:
	s_or_b64 exec, exec, s[6:7]
	s_add_i32 s18, s18, 15
	s_load_dwordx8 s[4:11], s[4:5], 0x18
	s_ashr_i32 s19, s18, 31
	s_lshr_b32 s19, s19, 28
	s_add_i32 s18, s18, s19
	s_ashr_i32 s21, s18, 4
	v_mul_lo_u32 v0, v2, s17
	v_cmp_gt_i32_e32 vcc, s21, v6
	v_lshlrev_b32_e32 v13, 1, v0
	s_and_saveexec_b64 s[18:19], vcc
	s_cbranch_execz .LBB104_7
; %bb.5:
	v_ashrrev_i32_e32 v5, 31, v4
	v_lshlrev_b64 v[0:1], 3, v[4:5]
	s_waitcnt lgkmcnt(0)
	v_mov_b32_e32 v2, s11
	v_add_co_u32_e32 v0, vcc, s10, v0
	v_addc_co_u32_e32 v1, vcc, v2, v1, vcc
	global_load_dwordx2 v[0:1], v[0:1], off
	s_ashr_i32 s22, s17, 31
	v_lshlrev_b32_e32 v3, 4, v6
	v_mov_b32_e32 v5, s9
	s_mov_b64 s[10:11], 0
	v_add3_u32 v2, v13, v3, 0
	s_waitcnt vmcnt(0)
	v_mul_lo_u32 v12, v1, s17
	v_mul_lo_u32 v14, v0, s22
	v_mad_u64_u32 v[0:1], s[22:23], v0, s17, 0
	v_add3_u32 v1, v1, v14, v12
	v_lshlrev_b64 v[0:1], 1, v[0:1]
	v_add_co_u32_e32 v0, vcc, v0, v3
	v_addc_co_u32_e32 v1, vcc, 0, v1, vcc
	v_add_co_u32_e32 v0, vcc, s8, v0
	v_addc_co_u32_e32 v1, vcc, v5, v1, vcc
	v_mov_b32_e32 v3, v6
.LBB104_6:                              ; =>This Inner Loop Header: Depth=1
	global_load_dwordx4 v[14:17], v[0:1], off
	v_add_co_u32_e32 v0, vcc, 0x200, v0
	v_add_u32_e32 v3, 32, v3
	v_addc_co_u32_e32 v1, vcc, 0, v1, vcc
	v_cmp_le_i32_e32 vcc, s21, v3
	s_or_b64 s[10:11], vcc, s[10:11]
	s_waitcnt vmcnt(0)
	ds_write_b128 v2, v[14:17]
	v_add_u32_e32 v2, 0x200, v2
	s_andn2_b64 exec, exec, s[10:11]
	s_cbranch_execnz .LBB104_6
.LBB104_7:
	s_or_b64 exec, exec, s[18:19]
	s_and_b64 exec, exec, s[0:1]
	s_cbranch_execz .LBB104_28
; %bb.8:
	s_waitcnt lgkmcnt(0)
	global_load_dwordx2 v[0:1], v8, s[4:5]
	global_load_dwordx2 v[2:3], v8, s[6:7]
	v_mbcnt_lo_u32_b32 v14, -1, 0
	v_add_u32_e32 v9, s16, v9
	v_mbcnt_hi_u32_b32 v16, -1, v14
	v_add3_u32 v14, v9, v8, 0
	v_and_b32_e32 v8, 0x60, v16
	v_xor_b32_e32 v9, 16, v16
	v_add_u32_e32 v8, 32, v8
	v_xor_b32_e32 v17, 8, v16
	v_cmp_lt_i32_e32 vcc, v9, v8
	s_add_i32 s6, s14, s13
	v_xor_b32_e32 v18, 4, v16
	v_cndmask_b32_e32 v9, v16, v9, vcc
	v_cmp_lt_i32_e32 vcc, v17, v8
	s_ashr_i32 s1, s17, 31
	s_lshl_b32 s7, s20, 1
	s_add_i32 s6, s6, s12
	v_xor_b32_e32 v19, 2, v16
	v_cndmask_b32_e32 v17, v16, v17, vcc
	v_cmp_lt_i32_e32 vcc, v18, v8
	s_lshr_b32 s0, s17, 31
	s_lshr_b32 s1, s1, 30
	v_xor_b32_e32 v20, 1, v16
	s_sub_i32 s6, s6, s7
	v_cndmask_b32_e32 v18, v16, v18, vcc
	v_cmp_lt_i32_e32 vcc, v19, v8
	v_lshlrev_b32_e32 v5, 2, v6
	s_add_i32 s0, s17, s0
	s_add_i32 s1, s17, s1
	v_mul_lo_u32 v4, s6, v4
	v_cndmask_b32_e32 v19, v16, v19, vcc
	v_cmp_lt_i32_e32 vcc, v20, v8
	v_add3_u32 v13, 0, v13, v5
	s_and_b32 s0, s0, -2
	s_ashr_i32 s1, s1, 2
	v_cndmask_b32_e32 v8, v16, v20, vcc
	v_lshl_add_u32 v4, v4, 7, v7
	s_mov_b32 s8, 0
	s_mov_b64 s[4:5], 0
	s_mov_b32 s9, 0xffff0000
	v_mov_b32_e32 v12, s15
	s_mov_b32 s10, 0x800000
	s_mov_b32 s11, 0x7f800000
	s_movk_i32 s13, 0x7fff
	v_add_u32_e32 v15, s0, v13
	v_cmp_gt_i32_e32 vcc, s1, v6
	v_lshlrev_b32_e32 v16, 2, v9
	v_lshlrev_b32_e32 v17, 2, v17
	;; [unrolled: 1-line block ×5, first 2 shown]
	v_or_b32_e32 v4, v4, v5
	v_mov_b32_e32 v25, 0
	s_waitcnt vmcnt(1)
	v_lshrrev_b32_e32 v21, 16, v0
	s_waitcnt vmcnt(0)
	v_lshrrev_b32_e32 v22, 16, v2
	v_lshrrev_b32_e32 v23, 16, v1
	;; [unrolled: 1-line block ×3, first 2 shown]
	s_branch .LBB104_10
.LBB104_9:                              ;   in Loop: Header=BB104_10 Depth=1
	s_or_b64 exec, exec, s[6:7]
	v_lshrrev_b32_e32 v28, 16, v5
	v_ashrrev_i32_e32 v5, 31, v4
	v_lshlrev_b64 v[26:27], 1, v[4:5]
	v_mov_b32_e32 v5, s3
	v_add_co_u32_e64 v26, s[0:1], s2, v26
	v_addc_co_u32_e64 v27, s[0:1], v5, v27, s[0:1]
	s_add_i32 s8, s8, 1
	v_and_b32_e32 v5, 0xffff0000, v6
	v_cmp_ge_i32_e64 s[0:1], s8, v11
	v_or_b32_sdwa v7, v5, v9 dst_sel:DWORD dst_unused:UNUSED_PAD src0_sel:DWORD src1_sel:WORD_1
	v_and_or_b32 v6, v8, s9, v28
	v_add_u32_e32 v4, 0x80, v4
	s_or_b64 s[4:5], s[0:1], s[4:5]
	v_add_u32_e32 v14, 0x100, v14
	global_store_dwordx2 v[26:27], v[6:7], off
	s_andn2_b64 exec, exec, s[4:5]
	s_cbranch_execz .LBB104_28
.LBB104_10:                             ; =>This Inner Loop Header: Depth=1
	ds_read_b64 v[6:7], v14
	s_waitcnt lgkmcnt(0)
	v_alignbit_b32 v5, v7, v6, 16
	v_lshlrev_b32_e32 v8, 16, v6
	v_and_b32_e32 v9, 0xffff0000, v6
	v_and_b32_e32 v7, 0xffff0000, v7
	;; [unrolled: 1-line block ×3, first 2 shown]
	v_pk_mul_f32 v[26:27], v[8:9], v[8:9]
	v_pk_mul_f32 v[28:29], v[6:7], v[6:7]
	v_add_f32_e32 v5, v26, v27
	v_add_f32_e32 v5, v5, v28
	;; [unrolled: 1-line block ×3, first 2 shown]
	ds_bpermute_b32 v26, v16, v5
	v_add_u32_e32 v27, s8, v10
	v_mov_b32_e32 v28, v12
	v_cmp_gt_i32_e64 s[0:1], s12, v27
	v_cndmask_b32_e64 v27, v22, v21, s[0:1]
	s_waitcnt lgkmcnt(0)
	v_add_f32_e32 v5, v5, v26
	ds_bpermute_b32 v26, v17, v5
	v_cndmask_b32_e64 v29, v2, v0, s[0:1]
	v_cndmask_b32_e64 v30, v24, v23, s[0:1]
	;; [unrolled: 1-line block ×3, first 2 shown]
	v_lshlrev_b32_e32 v27, 16, v27
	s_waitcnt lgkmcnt(0)
	v_add_f32_e32 v5, v5, v26
	ds_bpermute_b32 v26, v18, v5
	s_waitcnt lgkmcnt(0)
	v_add_f32_e32 v5, v5, v26
	ds_bpermute_b32 v26, v19, v5
	;; [unrolled: 3-line block ×3, first 2 shown]
	s_waitcnt lgkmcnt(0)
	v_add_f32_e32 v5, v5, v26
	v_fmac_f32_e32 v28, 0x3c000000, v5
	v_mul_f32_e32 v5, 0x4b800000, v28
	v_cmp_gt_f32_e64 s[0:1], s10, v28
	v_cndmask_b32_e64 v5, v28, v5, s[0:1]
	v_rsq_f32_e32 v5, v5
	v_lshlrev_b32_e32 v26, 16, v29
	v_lshlrev_b32_e32 v29, 16, v30
	;; [unrolled: 1-line block ×3, first 2 shown]
	v_mul_f32_e32 v30, 0x45800000, v5
	v_cndmask_b32_e64 v30, v5, v30, s[0:1]
	v_pk_mul_f32 v[26:27], v[30:31], v[26:27] op_sel_hi:[0,1]
	v_pk_mul_f32 v[28:29], v[30:31], v[28:29] op_sel_hi:[0,1]
	v_pk_mul_f32 v[8:9], v[26:27], v[8:9]
	v_pk_mul_f32 v[6:7], v[28:29], v[6:7]
	s_and_saveexec_b64 s[0:1], vcc
	s_cbranch_execz .LBB104_12
; %bb.11:                               ;   in Loop: Header=BB104_10 Depth=1
	ds_read_u16 v5, v15
	ds_read_u16 v27, v13
	ds_read_u16 v29, v13 offset:2
	ds_read_u16 v30, v15 offset:2
	s_waitcnt lgkmcnt(3)
	v_cvt_f32_f16_e32 v26, v5
	s_waitcnt lgkmcnt(2)
	v_cvt_f32_f16_e32 v28, v27
	s_waitcnt lgkmcnt(1)
	v_cvt_f32_f16_e32 v31, v29
	s_waitcnt lgkmcnt(0)
	v_cvt_f32_f16_e32 v30, v30
	v_pk_mul_f32 v[26:27], v[8:9], v[26:27] op_sel_hi:[1,0]
	v_pk_mul_f32 v[32:33], v[8:9], v[28:29] op_sel_hi:[1,0]
	v_pk_fma_f32 v[8:9], v[8:9], v[28:29], v[26:27] op_sel:[0,0,1] op_sel_hi:[1,0,0]
	v_mov_b32_e32 v26, v7
	v_mov_b32_e32 v8, v31
	v_pk_mul_f32 v[28:29], v[26:27], v[30:31]
	v_pk_mul_f32 v[34:35], v[6:7], v[30:31]
	v_pk_fma_f32 v[28:29], v[6:7], v[8:9], v[28:29] op_sel_hi:[1,0,1] neg_lo:[0,0,1] neg_hi:[0,0,1]
	v_mov_b32_e32 v8, v35
	v_pk_fma_f32 v[30:31], v[6:7], v[30:31], v[8:9]
	v_sub_f32_e32 v8, v32, v27
	v_mov_b32_e32 v6, v28
	v_mov_b32_e32 v7, v30
.LBB104_12:                             ;   in Loop: Header=BB104_10 Depth=1
	s_or_b64 exec, exec, s[0:1]
	v_and_b32_e32 v5, 0x7f800000, v8
	v_cmp_ne_u32_e64 s[0:1], s11, v5
                                        ; implicit-def: $vgpr5
	s_and_saveexec_b64 s[6:7], s[0:1]
	s_xor_b64 s[0:1], exec, s[6:7]
; %bb.13:                               ;   in Loop: Header=BB104_10 Depth=1
	v_bfe_u32 v5, v8, 16, 1
	v_add3_u32 v5, v8, v5, s13
; %bb.14:                               ;   in Loop: Header=BB104_10 Depth=1
	s_andn2_saveexec_b64 s[6:7], s[0:1]
; %bb.15:                               ;   in Loop: Header=BB104_10 Depth=1
	v_or_b32_e32 v5, 0x10000, v8
	v_cmp_eq_u32_sdwa s[0:1], v8, v25 src0_sel:WORD_0 src1_sel:DWORD
	v_cndmask_b32_e64 v5, v5, v8, s[0:1]
; %bb.16:                               ;   in Loop: Header=BB104_10 Depth=1
	s_or_b64 exec, exec, s[6:7]
	v_and_b32_e32 v8, 0x7f800000, v9
	v_cmp_ne_u32_e64 s[0:1], s11, v8
                                        ; implicit-def: $vgpr8
	s_and_saveexec_b64 s[6:7], s[0:1]
	s_xor_b64 s[0:1], exec, s[6:7]
; %bb.17:                               ;   in Loop: Header=BB104_10 Depth=1
	v_bfe_u32 v8, v9, 16, 1
	v_add3_u32 v8, v9, v8, s13
                                        ; implicit-def: $vgpr9
; %bb.18:                               ;   in Loop: Header=BB104_10 Depth=1
	s_andn2_saveexec_b64 s[6:7], s[0:1]
; %bb.19:                               ;   in Loop: Header=BB104_10 Depth=1
	v_or_b32_e32 v8, 0x10000, v9
	v_cmp_eq_u32_sdwa s[0:1], v9, v25 src0_sel:WORD_0 src1_sel:DWORD
	v_cndmask_b32_e64 v8, v8, v9, s[0:1]
; %bb.20:                               ;   in Loop: Header=BB104_10 Depth=1
	s_or_b64 exec, exec, s[6:7]
	v_and_b32_e32 v9, 0x7f800000, v6
	v_cmp_ne_u32_e64 s[0:1], s11, v9
                                        ; implicit-def: $vgpr9
	s_and_saveexec_b64 s[6:7], s[0:1]
	s_xor_b64 s[0:1], exec, s[6:7]
; %bb.21:                               ;   in Loop: Header=BB104_10 Depth=1
	v_bfe_u32 v9, v6, 16, 1
	v_add3_u32 v9, v6, v9, s13
; %bb.22:                               ;   in Loop: Header=BB104_10 Depth=1
	s_andn2_saveexec_b64 s[6:7], s[0:1]
; %bb.23:                               ;   in Loop: Header=BB104_10 Depth=1
	v_or_b32_e32 v9, 0x10000, v6
	v_cmp_eq_u32_sdwa s[0:1], v6, v25 src0_sel:WORD_0 src1_sel:DWORD
	v_cndmask_b32_e64 v9, v9, v6, s[0:1]
; %bb.24:                               ;   in Loop: Header=BB104_10 Depth=1
	s_or_b64 exec, exec, s[6:7]
	v_and_b32_e32 v6, 0x7f800000, v7
	v_cmp_ne_u32_e64 s[0:1], s11, v6
                                        ; implicit-def: $vgpr6
	s_and_saveexec_b64 s[6:7], s[0:1]
	s_xor_b64 s[0:1], exec, s[6:7]
; %bb.25:                               ;   in Loop: Header=BB104_10 Depth=1
	v_bfe_u32 v6, v7, 16, 1
	v_add3_u32 v6, v7, v6, s13
                                        ; implicit-def: $vgpr7
; %bb.26:                               ;   in Loop: Header=BB104_10 Depth=1
	s_andn2_saveexec_b64 s[6:7], s[0:1]
	s_cbranch_execz .LBB104_9
; %bb.27:                               ;   in Loop: Header=BB104_10 Depth=1
	v_or_b32_e32 v6, 0x10000, v7
	v_cmp_eq_u32_sdwa s[0:1], v7, v25 src0_sel:WORD_0 src1_sel:DWORD
	v_cndmask_b32_e64 v6, v6, v7, s[0:1]
	s_branch .LBB104_9
.LBB104_28:
	s_endpgm
	.section	.rodata,"a",@progbits
	.p2align	6, 0x0
	.amdhsa_kernel _ZN12tensorrt_llm7kernels32fusedQKNormRopeKernelNTokenHeadsIN3c108BFloat16ENS2_4HalfELi128ELb1ELi2EEEvPviiifPKvS7_S7_PKlii
		.amdhsa_group_segment_fixed_size 0
		.amdhsa_private_segment_fixed_size 0
		.amdhsa_kernarg_size 320
		.amdhsa_user_sgpr_count 6
		.amdhsa_user_sgpr_private_segment_buffer 1
		.amdhsa_user_sgpr_dispatch_ptr 0
		.amdhsa_user_sgpr_queue_ptr 0
		.amdhsa_user_sgpr_kernarg_segment_ptr 1
		.amdhsa_user_sgpr_dispatch_id 0
		.amdhsa_user_sgpr_flat_scratch_init 0
		.amdhsa_user_sgpr_kernarg_preload_length 0
		.amdhsa_user_sgpr_kernarg_preload_offset 0
		.amdhsa_user_sgpr_private_segment_size 0
		.amdhsa_uses_dynamic_stack 0
		.amdhsa_system_sgpr_private_segment_wavefront_offset 0
		.amdhsa_system_sgpr_workgroup_id_x 1
		.amdhsa_system_sgpr_workgroup_id_y 0
		.amdhsa_system_sgpr_workgroup_id_z 0
		.amdhsa_system_sgpr_workgroup_info 0
		.amdhsa_system_vgpr_workitem_id 0
		.amdhsa_next_free_vgpr 36
		.amdhsa_next_free_sgpr 24
		.amdhsa_accum_offset 36
		.amdhsa_reserve_vcc 1
		.amdhsa_reserve_flat_scratch 0
		.amdhsa_float_round_mode_32 0
		.amdhsa_float_round_mode_16_64 0
		.amdhsa_float_denorm_mode_32 3
		.amdhsa_float_denorm_mode_16_64 3
		.amdhsa_dx10_clamp 1
		.amdhsa_ieee_mode 1
		.amdhsa_fp16_overflow 0
		.amdhsa_tg_split 0
		.amdhsa_exception_fp_ieee_invalid_op 0
		.amdhsa_exception_fp_denorm_src 0
		.amdhsa_exception_fp_ieee_div_zero 0
		.amdhsa_exception_fp_ieee_overflow 0
		.amdhsa_exception_fp_ieee_underflow 0
		.amdhsa_exception_fp_ieee_inexact 0
		.amdhsa_exception_int_div_zero 0
	.end_amdhsa_kernel
	.section	.text._ZN12tensorrt_llm7kernels32fusedQKNormRopeKernelNTokenHeadsIN3c108BFloat16ENS2_4HalfELi128ELb1ELi2EEEvPviiifPKvS7_S7_PKlii,"axG",@progbits,_ZN12tensorrt_llm7kernels32fusedQKNormRopeKernelNTokenHeadsIN3c108BFloat16ENS2_4HalfELi128ELb1ELi2EEEvPviiifPKvS7_S7_PKlii,comdat
.Lfunc_end104:
	.size	_ZN12tensorrt_llm7kernels32fusedQKNormRopeKernelNTokenHeadsIN3c108BFloat16ENS2_4HalfELi128ELb1ELi2EEEvPviiifPKvS7_S7_PKlii, .Lfunc_end104-_ZN12tensorrt_llm7kernels32fusedQKNormRopeKernelNTokenHeadsIN3c108BFloat16ENS2_4HalfELi128ELb1ELi2EEEvPviiifPKvS7_S7_PKlii
                                        ; -- End function
	.section	.AMDGPU.csdata,"",@progbits
; Kernel info:
; codeLenInByte = 1844
; NumSgprs: 28
; NumVgprs: 36
; NumAgprs: 0
; TotalNumVgprs: 36
; ScratchSize: 0
; MemoryBound: 0
; FloatMode: 240
; IeeeMode: 1
; LDSByteSize: 0 bytes/workgroup (compile time only)
; SGPRBlocks: 3
; VGPRBlocks: 4
; NumSGPRsForWavesPerEU: 28
; NumVGPRsForWavesPerEU: 36
; AccumOffset: 36
; Occupancy: 8
; WaveLimiterHint : 0
; COMPUTE_PGM_RSRC2:SCRATCH_EN: 0
; COMPUTE_PGM_RSRC2:USER_SGPR: 6
; COMPUTE_PGM_RSRC2:TRAP_HANDLER: 0
; COMPUTE_PGM_RSRC2:TGID_X_EN: 1
; COMPUTE_PGM_RSRC2:TGID_Y_EN: 0
; COMPUTE_PGM_RSRC2:TGID_Z_EN: 0
; COMPUTE_PGM_RSRC2:TIDIG_COMP_CNT: 0
; COMPUTE_PGM_RSRC3_GFX90A:ACCUM_OFFSET: 8
; COMPUTE_PGM_RSRC3_GFX90A:TG_SPLIT: 0
	.section	.text._ZN12tensorrt_llm7kernels32fusedQKNormRopeKernelNTokenHeadsIN3c108BFloat16ENS2_4HalfELi128ELb0ELi2EEEvPviiifPKvS7_S7_PKlii,"axG",@progbits,_ZN12tensorrt_llm7kernels32fusedQKNormRopeKernelNTokenHeadsIN3c108BFloat16ENS2_4HalfELi128ELb0ELi2EEEvPviiifPKvS7_S7_PKlii,comdat
	.protected	_ZN12tensorrt_llm7kernels32fusedQKNormRopeKernelNTokenHeadsIN3c108BFloat16ENS2_4HalfELi128ELb0ELi2EEEvPviiifPKvS7_S7_PKlii ; -- Begin function _ZN12tensorrt_llm7kernels32fusedQKNormRopeKernelNTokenHeadsIN3c108BFloat16ENS2_4HalfELi128ELb0ELi2EEEvPviiifPKvS7_S7_PKlii
	.globl	_ZN12tensorrt_llm7kernels32fusedQKNormRopeKernelNTokenHeadsIN3c108BFloat16ENS2_4HalfELi128ELb0ELi2EEEvPviiifPKvS7_S7_PKlii
	.p2align	8
	.type	_ZN12tensorrt_llm7kernels32fusedQKNormRopeKernelNTokenHeadsIN3c108BFloat16ENS2_4HalfELi128ELb0ELi2EEEvPviiifPKvS7_S7_PKlii,@function
_ZN12tensorrt_llm7kernels32fusedQKNormRopeKernelNTokenHeadsIN3c108BFloat16ENS2_4HalfELi128ELb0ELi2EEEvPviiifPKvS7_S7_PKlii: ; @_ZN12tensorrt_llm7kernels32fusedQKNormRopeKernelNTokenHeadsIN3c108BFloat16ENS2_4HalfELi128ELb0ELi2EEEvPviiifPKvS7_S7_PKlii
; %bb.0:
	s_load_dwordx4 s[12:15], s[4:5], 0x8
	s_load_dwordx2 s[2:3], s[4:5], 0x38
	s_load_dword s1, s[4:5], 0x4c
	v_lshrrev_b32_e32 v3, 5, v0
	s_waitcnt lgkmcnt(0)
	s_add_i32 s0, s13, s12
	s_add_i32 s7, s0, 1
	s_lshr_b32 s8, s7, 31
	s_add_i32 s7, s7, s8
	s_ashr_i32 s20, s7, 1
	s_abs_i32 s7, s20
	v_cvt_f32_u32_e32 v1, s7
	s_bfe_u32 s1, s1, 0xb0005
	s_mul_i32 s6, s6, s1
	v_rcp_iflag_f32_e32 v2, v1
	v_add_u32_e32 v1, s6, v3
	s_sub_i32 s6, 0, s7
	v_sub_u32_e32 v4, 0, v1
	v_mul_f32_e32 v2, 0x4f7ffffe, v2
	v_cvt_u32_f32_e32 v2, v2
	v_max_i32_e32 v4, v1, v4
	v_xor_b32_e32 v5, s20, v1
	v_ashrrev_i32_e32 v5, 31, v5
	v_mul_lo_u32 v6, s6, v2
	v_mul_hi_u32 v6, v2, v6
	v_add_u32_e32 v2, v2, v6
	v_mul_hi_u32 v2, v4, v2
	v_mul_lo_u32 v6, v2, s7
	v_sub_u32_e32 v4, v4, v6
	v_add_u32_e32 v6, 1, v2
	v_cmp_le_u32_e32 vcc, s7, v4
	v_cndmask_b32_e32 v2, v2, v6, vcc
	v_subrev_u32_e32 v6, s7, v4
	v_cndmask_b32_e32 v4, v4, v6, vcc
	v_add_u32_e32 v6, 1, v2
	v_cmp_le_u32_e32 vcc, s7, v4
	v_cndmask_b32_e32 v2, v2, v6, vcc
	v_xor_b32_e32 v2, v2, v5
	v_sub_u32_e32 v2, v2, v5
	v_cmp_gt_i32_e32 vcc, s2, v2
	s_and_saveexec_b64 s[6:7], vcc
	s_cbranch_execz .LBB105_28
; %bb.1:
	v_and_b32_e32 v8, 31, v0
	v_mul_lo_u32 v0, v2, s20
	v_sub_u32_e32 v0, v1, v0
	s_load_dwordx2 s[16:17], s[4:5], 0x0
	v_lshlrev_b32_e32 v10, 1, v0
	v_add_u32_e32 v0, 2, v10
	v_sub_u32_e32 v4, s0, v10
	v_cmp_lt_i32_e32 vcc, s0, v0
	v_cndmask_b32_e32 v11, 2, v4, vcc
	s_lshl_b32 s2, s3, 1
	s_mul_i32 s21, s2, s1
	v_lshlrev_b32_e32 v9, 9, v3
	v_cmp_lt_i32_e64 s[0:1], 0, v11
	v_lshlrev_b32_e32 v26, 3, v8
	v_lshlrev_b32_e32 v27, 8, v1
	s_and_saveexec_b64 s[6:7], s[0:1]
	s_cbranch_execz .LBB105_4
; %bb.2:
	s_add_i32 s8, s21, 0
	v_add3_u32 v4, s8, v9, v26
	s_add_i32 s8, s14, s13
	s_add_i32 s8, s8, s12
	s_lshl_b32 s9, s20, 1
	s_sub_i32 s8, s8, s9
	v_mul_lo_u32 v0, s8, v2
	v_lshl_add_u32 v0, v0, 7, v27
	s_mov_b32 s10, 0
	v_lshl_or_b32 v0, v8, 2, v0
	s_mov_b64 s[8:9], 0
	s_waitcnt lgkmcnt(0)
	v_mov_b32_e32 v5, s17
.LBB105_3:                              ; =>This Inner Loop Header: Depth=1
	v_ashrrev_i32_e32 v1, 31, v0
	v_lshlrev_b64 v[6:7], 1, v[0:1]
	v_add_co_u32_e32 v6, vcc, s16, v6
	v_addc_co_u32_e32 v7, vcc, v5, v7, vcc
	global_load_dwordx2 v[6:7], v[6:7], off
	s_add_i32 s10, s10, 1
	v_cmp_ge_i32_e32 vcc, s10, v11
	v_add_u32_e32 v0, 0x80, v0
	s_or_b64 s[8:9], vcc, s[8:9]
	s_waitcnt vmcnt(0)
	ds_write_b64 v4, v[6:7]
	v_add_u32_e32 v4, 0x100, v4
	s_andn2_b64 exec, exec, s[8:9]
	s_cbranch_execnz .LBB105_3
.LBB105_4:
	s_or_b64 exec, exec, s[6:7]
	s_add_i32 s2, s2, 15
	s_load_dwordx8 s[4:11], s[4:5], 0x18
	s_ashr_i32 s18, s2, 31
	s_lshr_b32 s18, s18, 28
	s_add_i32 s2, s2, s18
	s_ashr_i32 s2, s2, 4
	v_cmp_gt_i32_e32 vcc, s2, v8
	v_mul_lo_u32 v12, v3, s3
	s_and_saveexec_b64 s[18:19], vcc
	s_cbranch_execz .LBB105_7
; %bb.5:
	v_ashrrev_i32_e32 v3, 31, v2
	v_lshlrev_b64 v[0:1], 3, v[2:3]
	s_waitcnt lgkmcnt(0)
	v_mov_b32_e32 v3, s11
	v_add_co_u32_e32 v0, vcc, s10, v0
	v_addc_co_u32_e32 v1, vcc, v3, v1, vcc
	global_load_dwordx2 v[0:1], v[0:1], off
	s_ashr_i32 s22, s3, 31
	v_lshlrev_b32_e32 v4, 4, v8
	v_lshlrev_b32_e32 v3, 1, v12
	v_mov_b32_e32 v5, s9
	s_mov_b64 s[10:11], 0
	v_add3_u32 v3, v3, v4, 0
	s_waitcnt vmcnt(0)
	v_mul_lo_u32 v6, v1, s3
	v_mul_lo_u32 v7, v0, s22
	v_mad_u64_u32 v[0:1], s[22:23], v0, s3, 0
	v_add3_u32 v1, v1, v7, v6
	v_lshlrev_b64 v[0:1], 1, v[0:1]
	v_add_co_u32_e32 v0, vcc, v0, v4
	v_addc_co_u32_e32 v1, vcc, 0, v1, vcc
	v_add_co_u32_e32 v0, vcc, s8, v0
	v_addc_co_u32_e32 v1, vcc, v5, v1, vcc
	v_mov_b32_e32 v4, v8
.LBB105_6:                              ; =>This Inner Loop Header: Depth=1
	global_load_dwordx4 v[14:17], v[0:1], off
	v_add_co_u32_e32 v0, vcc, 0x200, v0
	v_add_u32_e32 v4, 32, v4
	v_addc_co_u32_e32 v1, vcc, 0, v1, vcc
	v_cmp_le_i32_e32 vcc, s2, v4
	s_or_b64 s[10:11], vcc, s[10:11]
	s_waitcnt vmcnt(0)
	ds_write_b128 v3, v[14:17]
	v_add_u32_e32 v3, 0x200, v3
	s_andn2_b64 exec, exec, s[10:11]
	s_cbranch_execnz .LBB105_6
.LBB105_7:
	s_or_b64 exec, exec, s[18:19]
	s_and_b64 exec, exec, s[0:1]
	s_cbranch_execz .LBB105_28
; %bb.8:
	s_waitcnt lgkmcnt(0)
	global_load_dwordx2 v[4:5], v26, s[4:5]
	global_load_dwordx2 v[6:7], v26, s[6:7]
	v_mbcnt_lo_u32_b32 v1, -1, 0
	s_abs_i32 s4, s3
	v_mbcnt_hi_u32_b32 v1, -1, v1
	v_cvt_f32_u32_e32 v14, s4
	v_lshl_add_u32 v0, v12, 1, 0
	v_and_b32_e32 v12, 0x60, v1
	v_xor_b32_e32 v13, 16, v1
	v_add_u32_e32 v12, 32, v12
	v_xor_b32_e32 v15, 8, v1
	v_cmp_lt_i32_e32 vcc, v13, v12
	v_xor_b32_e32 v16, 4, v1
	v_cndmask_b32_e32 v13, v1, v13, vcc
	v_cmp_lt_i32_e32 vcc, v15, v12
	v_rcp_iflag_f32_e32 v21, v14
	v_xor_b32_e32 v17, 2, v1
	v_cndmask_b32_e32 v15, v1, v15, vcc
	v_cmp_lt_i32_e32 vcc, v16, v12
	s_ashr_i32 s1, s3, 31
	v_xor_b32_e32 v18, 1, v1
	v_cndmask_b32_e32 v16, v1, v16, vcc
	v_cmp_lt_i32_e32 vcc, v17, v12
	s_lshr_b32 s2, s1, 30
	s_lshr_b32 s1, s1, 29
	v_cndmask_b32_e32 v17, v1, v17, vcc
	v_cmp_lt_i32_e32 vcc, v18, v12
	s_lshr_b32 s0, s3, 31
	s_add_i32 s1, s3, s1
	v_cndmask_b32_e32 v18, v1, v18, vcc
	v_lshlrev_b32_e32 v12, 2, v13
	v_lshlrev_b32_e32 v13, 2, v15
	;; [unrolled: 1-line block ×3, first 2 shown]
	v_mul_f32_e32 v17, 0x4f7ffffe, v21
	s_add_i32 s0, s3, s0
	v_and_b32_e32 v19, 64, v1
	s_ashr_i32 s1, s1, 3
	v_lshlrev_b32_e32 v14, 2, v16
	v_lshlrev_b32_e32 v16, 2, v18
	v_cvt_u32_f32_e32 v18, v17
	s_and_b32 s0, s0, -2
	s_add_i32 s2, s3, s2
	v_add_u32_e32 v19, 64, v19
	v_xor_b32_e32 v20, s1, v1
	v_add_u32_e32 v31, s0, v0
	s_ashr_i32 s0, s2, 2
	v_cmp_lt_i32_e64 s[2:3], v20, v19
	s_sub_i32 s5, 0, s4
	v_cndmask_b32_e64 v1, v1, v20, s[2:3]
	v_lshlrev_b32_e32 v17, 2, v1
	v_mul_lo_u32 v1, s5, v18
	v_mul_hi_u32 v1, v18, v1
	v_add_u32_e32 v1, v18, v1
	v_or_b32_e32 v3, 2, v26
	v_mul_hi_u32 v18, v26, v1
	v_mul_hi_u32 v19, v3, v1
	v_mul_lo_u32 v18, v18, s4
	v_mul_lo_u32 v19, v19, s4
	v_sub_u32_e32 v18, v26, v18
	v_sub_u32_e32 v3, v3, v19
	v_subrev_u32_e32 v19, s4, v18
	v_cmp_le_u32_e64 s[2:3], s4, v18
	v_subrev_u32_e32 v20, s4, v3
	v_cndmask_b32_e64 v18, v18, v19, s[2:3]
	v_cmp_le_u32_e64 s[2:3], s4, v3
	v_cndmask_b32_e64 v3, v3, v20, s[2:3]
	v_subrev_u32_e32 v19, s4, v18
	v_cmp_le_u32_e64 s[2:3], s4, v18
	v_cndmask_b32_e64 v18, v18, v19, s[2:3]
	v_subrev_u32_e32 v24, s4, v3
	v_cmp_le_u32_e64 s[2:3], s4, v3
	v_cndmask_b32_e64 v3, v3, v24, s[2:3]
	v_or_b32_e32 v28, 4, v26
	v_and_b32_e32 v3, -2, v3
	v_add_u32_e32 v24, v0, v3
	v_add_u32_e32 v25, v31, v3
	v_mul_hi_u32 v3, v28, v1
	v_mul_lo_u32 v3, v3, s4
	v_sub_u32_e32 v3, v28, v3
	v_subrev_u32_e32 v28, s4, v3
	v_cmp_le_u32_e64 s[2:3], s4, v3
	v_or_b32_e32 v30, 6, v26
	v_cndmask_b32_e64 v3, v3, v28, s[2:3]
	v_subrev_u32_e32 v28, s4, v3
	v_cmp_le_u32_e64 s[2:3], s4, v3
	v_mul_hi_u32 v1, v30, v1
	v_cndmask_b32_e64 v3, v3, v28, s[2:3]
	v_mul_lo_u32 v1, v1, s4
	v_and_b32_e32 v3, -2, v3
	v_sub_u32_e32 v1, v30, v1
	v_add_u32_e32 v28, v0, v3
	v_add_u32_e32 v29, v31, v3
	v_subrev_u32_e32 v3, s4, v1
	v_cmp_le_u32_e64 s[2:3], s4, v1
	v_cndmask_b32_e64 v1, v1, v3, s[2:3]
	v_subrev_u32_e32 v3, s4, v1
	v_cmp_le_u32_e64 s[2:3], s4, v1
	v_cndmask_b32_e64 v1, v1, v3, s[2:3]
	s_add_i32 s2, s14, s13
	s_add_i32 s2, s2, s12
	s_lshl_b32 s3, s20, 1
	v_and_b32_e32 v19, -2, v18
	v_and_b32_e32 v1, -2, v1
	s_sub_i32 s2, s2, s3
	v_add_u32_e32 v18, v0, v19
	v_add_u32_e32 v30, v0, v1
	v_mul_lo_u32 v0, s2, v2
	v_lshl_add_u32 v0, v0, 7, v27
	v_cmp_gt_i32_e32 vcc, s0, v8
	v_cmp_gt_i32_e64 s[0:1], s1, v8
	v_lshl_or_b32 v8, v8, 2, v0
	v_add_u32_e32 v0, s21, v9
	s_mov_b32 s8, 0
	v_add_u32_e32 v19, v31, v19
	s_waitcnt vmcnt(1)
	v_lshrrev_b32_e32 v20, 16, v4
	v_lshrrev_b32_e32 v21, 16, v5
	s_waitcnt vmcnt(0)
	v_lshrrev_b32_e32 v22, 16, v6
	v_lshrrev_b32_e32 v23, 16, v7
	v_add_u32_e32 v31, v31, v1
	v_add3_u32 v26, v0, v26, 0
	s_mov_b64 s[4:5], 0
	s_mov_b32 s9, 0xffff0000
	s_mov_b32 s10, 0x800000
	;; [unrolled: 1-line block ×3, first 2 shown]
	s_movk_i32 s13, 0x7fff
	v_mov_b32_e32 v27, s15
	v_mov_b32_e32 v32, 0
	s_branch .LBB105_10
.LBB105_9:                              ;   in Loop: Header=BB105_10 Depth=1
	s_or_b64 exec, exec, s[6:7]
	v_lshrrev_b32_e32 v2, 16, v9
	v_ashrrev_i32_e32 v9, 31, v8
	v_lshlrev_b64 v[0:1], 1, v[8:9]
	v_mov_b32_e32 v3, s17
	v_add_co_u32_e64 v0, s[2:3], s16, v0
	v_addc_co_u32_e64 v1, s[2:3], v3, v1, s[2:3]
	s_add_i32 s8, s8, 1
	v_and_b32_e32 v3, 0xffff0000, v35
	v_cmp_ge_i32_e64 s[2:3], s8, v11
	v_or_b32_sdwa v3, v3, v34 dst_sel:DWORD dst_unused:UNUSED_PAD src0_sel:DWORD src1_sel:WORD_1
	v_and_or_b32 v2, v33, s9, v2
	v_add_u32_e32 v8, 0x80, v8
	s_or_b64 s[4:5], s[2:3], s[4:5]
	v_add_u32_e32 v26, 0x100, v26
	global_store_dwordx2 v[0:1], v[2:3], off
	s_andn2_b64 exec, exec, s[4:5]
	s_cbranch_execz .LBB105_28
.LBB105_10:                             ; =>This Inner Loop Header: Depth=1
	ds_read_b64 v[0:1], v26
	v_add_u32_e32 v34, s8, v10
	v_mov_b32_e32 v35, v27
	v_cmp_gt_i32_e64 s[2:3], s12, v34
	v_cndmask_b32_e64 v34, v6, v4, s[2:3]
	s_waitcnt lgkmcnt(0)
	v_and_b32_e32 v2, 0xffff0000, v0
	v_lshlrev_b32_e32 v3, 16, v0
	v_alignbit_b32 v0, v1, v0, 16
	v_and_b32_e32 v9, 0xffff0000, v1
	v_mul_f32_e32 v1, v2, v2
	v_and_b32_e32 v33, 0xffff0000, v0
	v_fmac_f32_e32 v1, v3, v3
	v_fmac_f32_e32 v1, v33, v33
	;; [unrolled: 1-line block ×3, first 2 shown]
	ds_bpermute_b32 v0, v12, v1
	v_cndmask_b32_e64 v36, v22, v20, s[2:3]
	v_cndmask_b32_e64 v37, v7, v5, s[2:3]
	;; [unrolled: 1-line block ×3, first 2 shown]
	v_lshlrev_b32_e32 v34, 16, v34
	s_waitcnt lgkmcnt(0)
	v_add_f32_e32 v0, v1, v0
	ds_bpermute_b32 v1, v13, v0
	s_waitcnt lgkmcnt(0)
	v_add_f32_e32 v0, v0, v1
	ds_bpermute_b32 v1, v14, v0
	;; [unrolled: 3-line block ×4, first 2 shown]
	s_waitcnt lgkmcnt(0)
	v_add_f32_e32 v0, v0, v1
	v_fmac_f32_e32 v35, 0x3c000000, v0
	v_mul_f32_e32 v0, 0x4b800000, v35
	v_cmp_gt_f32_e64 s[2:3], s10, v35
	v_cndmask_b32_e64 v0, v35, v0, s[2:3]
	v_rsq_f32_e32 v0, v0
	v_lshlrev_b32_e32 v35, 16, v37
	v_lshlrev_b32_e32 v1, 16, v36
	;; [unrolled: 1-line block ×3, first 2 shown]
	v_mul_f32_e32 v37, 0x45800000, v0
	v_cndmask_b32_e64 v0, v0, v37, s[2:3]
	v_mul_f32_e32 v34, v0, v34
	v_mul_f32_e32 v1, v0, v1
	;; [unrolled: 1-line block ×8, first 2 shown]
	s_and_saveexec_b64 s[2:3], vcc
	s_cbranch_execz .LBB105_12
; %bb.11:                               ;   in Loop: Header=BB105_10 Depth=1
	ds_bpermute_b32 v9, v17, v0
	; wave barrier
	ds_read_u16 v33, v19
	ds_read_u16 v34, v24
	;; [unrolled: 1-line block ×7, first 2 shown]
	s_waitcnt lgkmcnt(6)
	v_cvt_f32_f16_e32 v33, v33
	ds_read_u16 v40, v18
	ds_bpermute_b32 v41, v17, v1
	v_cndmask_b32_e64 v9, v9, -v9, s[0:1]
	v_mul_f32_e32 v9, v9, v33
	s_waitcnt lgkmcnt(6)
	v_cvt_f32_f16_e32 v33, v35
	ds_bpermute_b32 v35, v17, v2
	s_waitcnt lgkmcnt(2)
	v_fma_mix_f32 v0, v0, v40, v9 op_sel_hi:[0,1,0]
	s_waitcnt lgkmcnt(1)
	v_cndmask_b32_e64 v9, v41, -v41, s[0:1]
	v_mul_f32_e32 v9, v9, v33
	v_fma_mix_f32 v1, v1, v34, v9 op_sel_hi:[0,1,0]
	v_cvt_f32_f16_e32 v9, v37
	ds_bpermute_b32 v33, v17, v3
	s_waitcnt lgkmcnt(1)
	v_cndmask_b32_e64 v34, v35, -v35, s[0:1]
	v_cvt_f32_f16_e32 v35, v39
	v_mul_f32_e32 v9, v34, v9
	v_fma_mix_f32 v2, v2, v36, v9 op_sel_hi:[0,1,0]
	s_waitcnt lgkmcnt(0)
	v_cndmask_b32_e64 v9, v33, -v33, s[0:1]
	v_mul_f32_e32 v9, v9, v35
	v_fma_mix_f32 v3, v3, v38, v9 op_sel_hi:[0,1,0]
	; wave barrier
.LBB105_12:                             ;   in Loop: Header=BB105_10 Depth=1
	s_or_b64 exec, exec, s[2:3]
	v_and_b32_e32 v9, 0x7f800000, v0
	v_cmp_ne_u32_e64 s[2:3], s11, v9
                                        ; implicit-def: $vgpr9
	s_and_saveexec_b64 s[6:7], s[2:3]
	s_xor_b64 s[2:3], exec, s[6:7]
; %bb.13:                               ;   in Loop: Header=BB105_10 Depth=1
	v_bfe_u32 v9, v0, 16, 1
	v_add3_u32 v9, v0, v9, s13
; %bb.14:                               ;   in Loop: Header=BB105_10 Depth=1
	s_andn2_saveexec_b64 s[6:7], s[2:3]
; %bb.15:                               ;   in Loop: Header=BB105_10 Depth=1
	v_or_b32_e32 v9, 0x10000, v0
	v_cmp_eq_u32_sdwa s[2:3], v0, v32 src0_sel:WORD_0 src1_sel:DWORD
	v_cndmask_b32_e64 v9, v9, v0, s[2:3]
; %bb.16:                               ;   in Loop: Header=BB105_10 Depth=1
	s_or_b64 exec, exec, s[6:7]
	v_and_b32_e32 v0, 0x7f800000, v1
	v_cmp_ne_u32_e64 s[2:3], s11, v0
                                        ; implicit-def: $vgpr33
	s_and_saveexec_b64 s[6:7], s[2:3]
	s_xor_b64 s[2:3], exec, s[6:7]
; %bb.17:                               ;   in Loop: Header=BB105_10 Depth=1
	v_bfe_u32 v0, v1, 16, 1
	v_add3_u32 v33, v1, v0, s13
; %bb.18:                               ;   in Loop: Header=BB105_10 Depth=1
	s_andn2_saveexec_b64 s[6:7], s[2:3]
; %bb.19:                               ;   in Loop: Header=BB105_10 Depth=1
	v_or_b32_e32 v0, 0x10000, v1
	v_cmp_eq_u32_sdwa s[2:3], v1, v32 src0_sel:WORD_0 src1_sel:DWORD
	v_cndmask_b32_e64 v33, v0, v1, s[2:3]
; %bb.20:                               ;   in Loop: Header=BB105_10 Depth=1
	s_or_b64 exec, exec, s[6:7]
	v_and_b32_e32 v0, 0x7f800000, v2
	v_cmp_ne_u32_e64 s[2:3], s11, v0
                                        ; implicit-def: $vgpr34
	s_and_saveexec_b64 s[6:7], s[2:3]
	s_xor_b64 s[2:3], exec, s[6:7]
; %bb.21:                               ;   in Loop: Header=BB105_10 Depth=1
	v_bfe_u32 v0, v2, 16, 1
	v_add3_u32 v34, v2, v0, s13
; %bb.22:                               ;   in Loop: Header=BB105_10 Depth=1
	s_andn2_saveexec_b64 s[6:7], s[2:3]
; %bb.23:                               ;   in Loop: Header=BB105_10 Depth=1
	v_or_b32_e32 v0, 0x10000, v2
	v_cmp_eq_u32_sdwa s[2:3], v2, v32 src0_sel:WORD_0 src1_sel:DWORD
	v_cndmask_b32_e64 v34, v0, v2, s[2:3]
; %bb.24:                               ;   in Loop: Header=BB105_10 Depth=1
	s_or_b64 exec, exec, s[6:7]
	v_and_b32_e32 v0, 0x7f800000, v3
	v_cmp_ne_u32_e64 s[2:3], s11, v0
                                        ; implicit-def: $vgpr35
	s_and_saveexec_b64 s[6:7], s[2:3]
	s_xor_b64 s[2:3], exec, s[6:7]
; %bb.25:                               ;   in Loop: Header=BB105_10 Depth=1
	v_bfe_u32 v0, v3, 16, 1
	v_add3_u32 v35, v3, v0, s13
                                        ; implicit-def: $vgpr0_vgpr1_vgpr2_vgpr3
; %bb.26:                               ;   in Loop: Header=BB105_10 Depth=1
	s_andn2_saveexec_b64 s[6:7], s[2:3]
	s_cbranch_execz .LBB105_9
; %bb.27:                               ;   in Loop: Header=BB105_10 Depth=1
	v_or_b32_e32 v0, 0x10000, v3
	v_cmp_eq_u32_sdwa s[2:3], v3, v32 src0_sel:WORD_0 src1_sel:DWORD
	v_cndmask_b32_e64 v35, v0, v3, s[2:3]
	s_branch .LBB105_9
.LBB105_28:
	s_endpgm
	.section	.rodata,"a",@progbits
	.p2align	6, 0x0
	.amdhsa_kernel _ZN12tensorrt_llm7kernels32fusedQKNormRopeKernelNTokenHeadsIN3c108BFloat16ENS2_4HalfELi128ELb0ELi2EEEvPviiifPKvS7_S7_PKlii
		.amdhsa_group_segment_fixed_size 0
		.amdhsa_private_segment_fixed_size 0
		.amdhsa_kernarg_size 320
		.amdhsa_user_sgpr_count 6
		.amdhsa_user_sgpr_private_segment_buffer 1
		.amdhsa_user_sgpr_dispatch_ptr 0
		.amdhsa_user_sgpr_queue_ptr 0
		.amdhsa_user_sgpr_kernarg_segment_ptr 1
		.amdhsa_user_sgpr_dispatch_id 0
		.amdhsa_user_sgpr_flat_scratch_init 0
		.amdhsa_user_sgpr_kernarg_preload_length 0
		.amdhsa_user_sgpr_kernarg_preload_offset 0
		.amdhsa_user_sgpr_private_segment_size 0
		.amdhsa_uses_dynamic_stack 0
		.amdhsa_system_sgpr_private_segment_wavefront_offset 0
		.amdhsa_system_sgpr_workgroup_id_x 1
		.amdhsa_system_sgpr_workgroup_id_y 0
		.amdhsa_system_sgpr_workgroup_id_z 0
		.amdhsa_system_sgpr_workgroup_info 0
		.amdhsa_system_vgpr_workitem_id 0
		.amdhsa_next_free_vgpr 42
		.amdhsa_next_free_sgpr 24
		.amdhsa_accum_offset 44
		.amdhsa_reserve_vcc 1
		.amdhsa_reserve_flat_scratch 0
		.amdhsa_float_round_mode_32 0
		.amdhsa_float_round_mode_16_64 0
		.amdhsa_float_denorm_mode_32 3
		.amdhsa_float_denorm_mode_16_64 3
		.amdhsa_dx10_clamp 1
		.amdhsa_ieee_mode 1
		.amdhsa_fp16_overflow 0
		.amdhsa_tg_split 0
		.amdhsa_exception_fp_ieee_invalid_op 0
		.amdhsa_exception_fp_denorm_src 0
		.amdhsa_exception_fp_ieee_div_zero 0
		.amdhsa_exception_fp_ieee_overflow 0
		.amdhsa_exception_fp_ieee_underflow 0
		.amdhsa_exception_fp_ieee_inexact 0
		.amdhsa_exception_int_div_zero 0
	.end_amdhsa_kernel
	.section	.text._ZN12tensorrt_llm7kernels32fusedQKNormRopeKernelNTokenHeadsIN3c108BFloat16ENS2_4HalfELi128ELb0ELi2EEEvPviiifPKvS7_S7_PKlii,"axG",@progbits,_ZN12tensorrt_llm7kernels32fusedQKNormRopeKernelNTokenHeadsIN3c108BFloat16ENS2_4HalfELi128ELb0ELi2EEEvPviiifPKvS7_S7_PKlii,comdat
.Lfunc_end105:
	.size	_ZN12tensorrt_llm7kernels32fusedQKNormRopeKernelNTokenHeadsIN3c108BFloat16ENS2_4HalfELi128ELb0ELi2EEEvPviiifPKvS7_S7_PKlii, .Lfunc_end105-_ZN12tensorrt_llm7kernels32fusedQKNormRopeKernelNTokenHeadsIN3c108BFloat16ENS2_4HalfELi128ELb0ELi2EEEvPviiifPKvS7_S7_PKlii
                                        ; -- End function
	.section	.AMDGPU.csdata,"",@progbits
; Kernel info:
; codeLenInByte = 2304
; NumSgprs: 28
; NumVgprs: 42
; NumAgprs: 0
; TotalNumVgprs: 42
; ScratchSize: 0
; MemoryBound: 0
; FloatMode: 240
; IeeeMode: 1
; LDSByteSize: 0 bytes/workgroup (compile time only)
; SGPRBlocks: 3
; VGPRBlocks: 5
; NumSGPRsForWavesPerEU: 28
; NumVGPRsForWavesPerEU: 42
; AccumOffset: 44
; Occupancy: 8
; WaveLimiterHint : 0
; COMPUTE_PGM_RSRC2:SCRATCH_EN: 0
; COMPUTE_PGM_RSRC2:USER_SGPR: 6
; COMPUTE_PGM_RSRC2:TRAP_HANDLER: 0
; COMPUTE_PGM_RSRC2:TGID_X_EN: 1
; COMPUTE_PGM_RSRC2:TGID_Y_EN: 0
; COMPUTE_PGM_RSRC2:TGID_Z_EN: 0
; COMPUTE_PGM_RSRC2:TIDIG_COMP_CNT: 0
; COMPUTE_PGM_RSRC3_GFX90A:ACCUM_OFFSET: 10
; COMPUTE_PGM_RSRC3_GFX90A:TG_SPLIT: 0
	.section	.text._ZN12tensorrt_llm7kernels32fusedQKNormRopeKernelNTokenHeadsIN3c108BFloat16ENS2_4HalfELi256ELb1ELi2EEEvPviiifPKvS7_S7_PKlii,"axG",@progbits,_ZN12tensorrt_llm7kernels32fusedQKNormRopeKernelNTokenHeadsIN3c108BFloat16ENS2_4HalfELi256ELb1ELi2EEEvPviiifPKvS7_S7_PKlii,comdat
	.protected	_ZN12tensorrt_llm7kernels32fusedQKNormRopeKernelNTokenHeadsIN3c108BFloat16ENS2_4HalfELi256ELb1ELi2EEEvPviiifPKvS7_S7_PKlii ; -- Begin function _ZN12tensorrt_llm7kernels32fusedQKNormRopeKernelNTokenHeadsIN3c108BFloat16ENS2_4HalfELi256ELb1ELi2EEEvPviiifPKvS7_S7_PKlii
	.globl	_ZN12tensorrt_llm7kernels32fusedQKNormRopeKernelNTokenHeadsIN3c108BFloat16ENS2_4HalfELi256ELb1ELi2EEEvPviiifPKvS7_S7_PKlii
	.p2align	8
	.type	_ZN12tensorrt_llm7kernels32fusedQKNormRopeKernelNTokenHeadsIN3c108BFloat16ENS2_4HalfELi256ELb1ELi2EEEvPviiifPKvS7_S7_PKlii,@function
_ZN12tensorrt_llm7kernels32fusedQKNormRopeKernelNTokenHeadsIN3c108BFloat16ENS2_4HalfELi256ELb1ELi2EEEvPviiifPKvS7_S7_PKlii: ; @_ZN12tensorrt_llm7kernels32fusedQKNormRopeKernelNTokenHeadsIN3c108BFloat16ENS2_4HalfELi256ELb1ELi2EEEvPviiifPKvS7_S7_PKlii
; %bb.0:
	s_load_dwordx4 s[12:15], s[4:5], 0x8
	s_load_dwordx2 s[2:3], s[4:5], 0x38
	s_load_dword s1, s[4:5], 0x4c
	v_lshrrev_b32_e32 v1, 5, v0
	s_waitcnt lgkmcnt(0)
	s_add_i32 s0, s13, s12
	s_add_i32 s7, s0, 1
	s_lshr_b32 s8, s7, 31
	s_add_i32 s7, s7, s8
	s_ashr_i32 s20, s7, 1
	s_abs_i32 s7, s20
	v_cvt_f32_u32_e32 v2, s7
	s_bfe_u32 s1, s1, 0xb0005
	s_mul_i32 s6, s6, s1
	v_rcp_iflag_f32_e32 v3, v2
	v_add_u32_e32 v2, s6, v1
	s_sub_i32 s6, 0, s7
	v_sub_u32_e32 v4, 0, v2
	v_mul_f32_e32 v3, 0x4f7ffffe, v3
	v_cvt_u32_f32_e32 v3, v3
	v_max_i32_e32 v4, v2, v4
	v_xor_b32_e32 v5, s20, v2
	v_ashrrev_i32_e32 v5, 31, v5
	v_mul_lo_u32 v6, s6, v3
	v_mul_hi_u32 v6, v3, v6
	v_add_u32_e32 v3, v3, v6
	v_mul_hi_u32 v3, v4, v3
	v_mul_lo_u32 v6, v3, s7
	v_sub_u32_e32 v4, v4, v6
	v_add_u32_e32 v6, 1, v3
	v_cmp_le_u32_e32 vcc, s7, v4
	v_cndmask_b32_e32 v3, v3, v6, vcc
	v_subrev_u32_e32 v6, s7, v4
	v_cndmask_b32_e32 v4, v4, v6, vcc
	v_add_u32_e32 v6, 1, v3
	v_cmp_le_u32_e32 vcc, s7, v4
	v_cndmask_b32_e32 v3, v3, v6, vcc
	v_xor_b32_e32 v3, v3, v5
	v_sub_u32_e32 v8, v3, v5
	v_cmp_gt_i32_e32 vcc, s2, v8
	s_and_saveexec_b64 s[6:7], vcc
	s_cbranch_execz .LBB106_44
; %bb.1:
	v_mul_lo_u32 v3, v8, s20
	v_sub_u32_e32 v3, v2, v3
	s_load_dwordx2 s[16:17], s[4:5], 0x0
	v_lshlrev_b32_e32 v18, 1, v3
	v_add_u32_e32 v3, 2, v18
	v_sub_u32_e32 v4, s0, v18
	v_cmp_lt_i32_e32 vcc, s0, v3
	v_and_b32_e32 v10, 31, v0
	v_cndmask_b32_e32 v19, 2, v4, vcc
	s_lshl_b32 s18, s3, 1
	s_mul_i32 s2, s18, s1
	v_lshlrev_b32_e32 v13, 10, v1
	v_cmp_lt_i32_e64 s[0:1], 0, v19
	v_lshlrev_b32_e32 v12, 4, v10
	v_lshlrev_b32_e32 v11, 9, v2
	s_and_saveexec_b64 s[6:7], s[0:1]
	s_cbranch_execz .LBB106_4
; %bb.2:
	s_add_i32 s8, s2, 0
	v_add3_u32 v4, s8, v13, v12
	s_add_i32 s8, s14, s13
	s_add_i32 s8, s8, s12
	s_lshl_b32 s9, s20, 1
	s_sub_i32 s8, s8, s9
	v_mul_lo_u32 v2, s8, v8
	v_lshl_add_u32 v2, v2, 8, v11
	s_mov_b32 s10, 0
	v_lshl_or_b32 v2, v10, 3, v2
	s_mov_b64 s[8:9], 0
	s_waitcnt lgkmcnt(0)
	v_mov_b32_e32 v5, s17
.LBB106_3:                              ; =>This Inner Loop Header: Depth=1
	v_ashrrev_i32_e32 v3, 31, v2
	v_lshlrev_b64 v[6:7], 1, v[2:3]
	v_add_co_u32_e32 v6, vcc, s16, v6
	v_addc_co_u32_e32 v7, vcc, v5, v7, vcc
	global_load_dwordx4 v[14:17], v[6:7], off
	s_add_i32 s10, s10, 1
	v_cmp_ge_i32_e32 vcc, s10, v19
	v_add_u32_e32 v2, 0x100, v2
	s_or_b64 s[8:9], vcc, s[8:9]
	s_waitcnt vmcnt(0)
	ds_write_b128 v4, v[14:17]
	v_add_u32_e32 v4, 0x200, v4
	s_andn2_b64 exec, exec, s[8:9]
	s_cbranch_execnz .LBB106_3
.LBB106_4:
	s_or_b64 exec, exec, s[6:7]
	s_add_i32 s18, s18, 15
	s_load_dwordx8 s[4:11], s[4:5], 0x18
	s_ashr_i32 s19, s18, 31
	s_lshr_b32 s19, s19, 28
	s_add_i32 s18, s18, s19
	s_ashr_i32 s21, s18, 4
	v_mul_lo_u32 v1, v1, s3
	v_cmp_gt_i32_e32 vcc, s21, v10
	v_lshlrev_b32_e32 v14, 1, v1
	s_and_saveexec_b64 s[18:19], vcc
	s_cbranch_execz .LBB106_7
; %bb.5:
	v_ashrrev_i32_e32 v9, 31, v8
	v_lshlrev_b64 v[2:3], 3, v[8:9]
	s_waitcnt lgkmcnt(0)
	v_mov_b32_e32 v1, s11
	v_add_co_u32_e32 v2, vcc, s10, v2
	v_addc_co_u32_e32 v3, vcc, v1, v3, vcc
	global_load_dwordx2 v[4:5], v[2:3], off
	s_ashr_i32 s22, s3, 31
	v_and_b32_e32 v0, 31, v0
	v_lshlrev_b32_e32 v6, 4, v0
	v_mov_b32_e32 v3, s9
	v_add3_u32 v2, v14, v12, 0
	s_mov_b64 s[10:11], 0
	s_waitcnt vmcnt(0)
	v_mul_lo_u32 v5, v5, s3
	v_mul_lo_u32 v7, v4, s22
	v_mad_u64_u32 v[0:1], s[22:23], v4, s3, 0
	v_add3_u32 v1, v1, v7, v5
	v_lshlrev_b64 v[0:1], 1, v[0:1]
	v_add_co_u32_e32 v0, vcc, v0, v6
	v_addc_co_u32_e32 v1, vcc, 0, v1, vcc
	v_add_co_u32_e32 v0, vcc, s8, v0
	v_addc_co_u32_e32 v1, vcc, v3, v1, vcc
	v_mov_b32_e32 v3, v10
.LBB106_6:                              ; =>This Inner Loop Header: Depth=1
	global_load_dwordx4 v[4:7], v[0:1], off
	v_add_co_u32_e32 v0, vcc, 0x200, v0
	v_add_u32_e32 v3, 32, v3
	v_addc_co_u32_e32 v1, vcc, 0, v1, vcc
	v_cmp_le_i32_e32 vcc, s21, v3
	s_or_b64 s[10:11], vcc, s[10:11]
	s_waitcnt vmcnt(0)
	ds_write_b128 v2, v[4:7]
	v_add_u32_e32 v2, 0x200, v2
	s_andn2_b64 exec, exec, s[10:11]
	s_cbranch_execnz .LBB106_6
.LBB106_7:
	s_or_b64 exec, exec, s[18:19]
	s_and_b64 exec, exec, s[0:1]
	s_cbranch_execz .LBB106_44
; %bb.8:
	s_waitcnt lgkmcnt(0)
	global_load_dwordx4 v[0:3], v12, s[4:5]
	global_load_dwordx4 v[4:7], v12, s[6:7]
	v_mbcnt_lo_u32_b32 v15, -1, 0
	v_add_u32_e32 v13, s2, v13
	v_mbcnt_hi_u32_b32 v15, -1, v15
	v_add3_u32 v22, v13, v12, 0
	v_and_b32_e32 v12, 0x60, v15
	v_lshlrev_b32_e32 v9, 3, v10
	v_xor_b32_e32 v13, 16, v15
	v_add_u32_e32 v12, 32, v12
	v_add3_u32 v21, 0, v14, v9
	v_xor_b32_e32 v14, 8, v15
	v_cmp_lt_i32_e32 vcc, v13, v12
	s_add_i32 s11, s14, s13
	v_xor_b32_e32 v16, 4, v15
	v_cndmask_b32_e32 v13, v15, v13, vcc
	v_cmp_lt_i32_e32 vcc, v14, v12
	s_ashr_i32 s1, s3, 31
	s_lshl_b32 s13, s20, 1
	s_add_i32 s11, s11, s12
	v_xor_b32_e32 v17, 2, v15
	v_cndmask_b32_e32 v14, v15, v14, vcc
	v_cmp_lt_i32_e32 vcc, v16, v12
	s_lshr_b32 s0, s3, 31
	s_lshr_b32 s1, s1, 29
	v_xor_b32_e32 v24, 1, v15
	s_sub_i32 s2, s11, s13
	v_cndmask_b32_e32 v16, v15, v16, vcc
	v_cmp_lt_i32_e32 vcc, v17, v12
	s_add_i32 s0, s3, s0
	s_add_i32 s1, s3, s1
	v_mul_lo_u32 v8, s2, v8
	v_cndmask_b32_e32 v17, v15, v17, vcc
	v_cmp_lt_i32_e32 vcc, v24, v12
	s_and_b32 s0, s0, -2
	s_ashr_i32 s1, s1, 3
	v_cndmask_b32_e32 v12, v15, v24, vcc
	v_lshl_add_u32 v8, v8, 8, v11
	s_mov_b32 s6, 0
	s_mov_b64 s[4:5], 0
	v_mov_b32_e32 v20, s15
	s_mov_b32 s7, 0x800000
	s_mov_b32 s8, 0x7f800000
	s_movk_i32 s9, 0x7fff
	s_mov_b32 s10, 0x7060302
	v_add_u32_e32 v23, s0, v21
	v_cmp_gt_i32_e32 vcc, s1, v10
	v_lshlrev_b32_e32 v24, 2, v13
	v_lshlrev_b32_e32 v25, 2, v14
	;; [unrolled: 1-line block ×5, first 2 shown]
	v_or_b32_e32 v8, v8, v9
	v_mov_b32_e32 v37, 0
	s_waitcnt vmcnt(1)
	v_lshrrev_b32_e32 v29, 16, v0
	s_waitcnt vmcnt(0)
	v_lshrrev_b32_e32 v30, 16, v4
	v_lshrrev_b32_e32 v31, 16, v1
	;; [unrolled: 1-line block ×7, first 2 shown]
	s_branch .LBB106_10
.LBB106_9:                              ;   in Loop: Header=BB106_10 Depth=1
	s_or_b64 exec, exec, s[2:3]
	v_ashrrev_i32_e32 v9, 31, v8
	v_lshlrev_b64 v[40:41], 1, v[8:9]
	v_mov_b32_e32 v9, s17
	v_add_co_u32_e64 v40, s[0:1], s16, v40
	v_addc_co_u32_e64 v41, s[0:1], v9, v41, s[0:1]
	s_add_i32 s6, s6, 1
	v_cmp_ge_i32_e64 s[0:1], s6, v19
	v_perm_b32 v13, v10, v13, s10
	v_perm_b32 v12, v12, v15, s10
	;; [unrolled: 1-line block ×4, first 2 shown]
	v_add_u32_e32 v8, 0x100, v8
	s_or_b64 s[4:5], s[0:1], s[4:5]
	v_add_u32_e32 v22, 0x200, v22
	global_store_dwordx4 v[40:41], v[10:13], off
	s_andn2_b64 exec, exec, s[4:5]
	s_cbranch_execz .LBB106_44
.LBB106_10:                             ; =>This Inner Loop Header: Depth=1
	ds_read_b128 v[10:13], v22
	s_waitcnt lgkmcnt(0)
	v_and_b32_e32 v15, 0xffff0000, v10
	v_lshlrev_b32_e32 v14, 16, v10
	v_pk_mul_f32 v[40:41], v[14:15], v[14:15]
	v_and_b32_e32 v43, 0xffff0000, v11
	v_lshlrev_b32_e32 v42, 16, v11
	v_pk_mul_f32 v[10:11], v[42:43], v[42:43]
	v_add_f32_e32 v9, v40, v41
	v_and_b32_e32 v39, 0xffff0000, v13
	v_lshlrev_b32_e32 v38, 16, v13
	v_and_b32_e32 v13, 0xffff0000, v12
	v_lshlrev_b32_e32 v12, 16, v12
	v_add_f32_e32 v9, v9, v10
	v_pk_mul_f32 v[44:45], v[12:13], v[12:13]
	v_add_f32_e32 v9, v9, v11
	v_add_f32_e32 v9, v9, v44
	v_pk_mul_f32 v[16:17], v[38:39], v[38:39]
	v_add_f32_e32 v9, v9, v45
	v_add_f32_e32 v9, v9, v16
	;; [unrolled: 1-line block ×3, first 2 shown]
	ds_bpermute_b32 v10, v24, v9
	v_mov_b32_e32 v16, v20
	v_add_u32_e32 v11, s6, v18
	v_cmp_gt_i32_e64 s[0:1], s12, v11
	v_cndmask_b32_e64 v11, v30, v29, s[0:1]
	s_waitcnt lgkmcnt(0)
	v_add_f32_e32 v9, v9, v10
	ds_bpermute_b32 v10, v25, v9
	v_cndmask_b32_e64 v17, v4, v0, s[0:1]
	v_lshlrev_b32_e32 v11, 16, v11
	v_cndmask_b32_e64 v40, v32, v31, s[0:1]
	v_cndmask_b32_e64 v41, v5, v1, s[0:1]
	s_waitcnt lgkmcnt(0)
	v_add_f32_e32 v9, v9, v10
	ds_bpermute_b32 v10, v26, v9
	v_cndmask_b32_e64 v45, v34, v33, s[0:1]
	v_cndmask_b32_e64 v46, v6, v2, s[0:1]
	s_waitcnt lgkmcnt(0)
	v_add_f32_e32 v9, v9, v10
	ds_bpermute_b32 v10, v27, v9
	s_waitcnt lgkmcnt(0)
	v_add_f32_e32 v9, v9, v10
	ds_bpermute_b32 v44, v28, v9
	v_lshlrev_b32_e32 v10, 16, v17
	v_lshlrev_b32_e32 v17, 16, v40
	;; [unrolled: 1-line block ×3, first 2 shown]
	s_waitcnt lgkmcnt(0)
	v_add_f32_e32 v9, v9, v44
	v_fmac_f32_e32 v16, 0x3b800000, v9
	v_mul_f32_e32 v9, 0x4b800000, v16
	v_cmp_gt_f32_e64 s[2:3], s7, v16
	v_cndmask_b32_e64 v9, v16, v9, s[2:3]
	v_rsq_f32_e32 v9, v9
	v_lshlrev_b32_e32 v16, 16, v41
	v_lshlrev_b32_e32 v41, 16, v45
	v_mul_f32_e32 v44, 0x45800000, v9
	v_cndmask_b32_e64 v44, v9, v44, s[2:3]
	v_pk_mul_f32 v[10:11], v[44:45], v[10:11] op_sel_hi:[0,1]
	v_pk_mul_f32 v[46:47], v[44:45], v[16:17] op_sel_hi:[0,1]
	v_pk_mul_f32 v[16:17], v[10:11], v[14:15]
	v_pk_mul_f32 v[10:11], v[44:45], v[40:41] op_sel_hi:[0,1]
	v_pk_mul_f32 v[12:13], v[10:11], v[12:13]
	v_cndmask_b32_e64 v9, v36, v35, s[0:1]
	v_cndmask_b32_e64 v10, v7, v3, s[0:1]
	v_lshlrev_b32_e32 v11, 16, v9
	v_lshlrev_b32_e32 v10, 16, v10
	v_pk_mul_f32 v[10:11], v[44:45], v[10:11] op_sel_hi:[0,1]
	v_pk_mul_f32 v[14:15], v[46:47], v[42:43]
	v_pk_mul_f32 v[10:11], v[10:11], v[38:39]
	s_and_saveexec_b64 s[0:1], vcc
	s_cbranch_execz .LBB106_12
; %bb.11:                               ;   in Loop: Header=BB106_10 Depth=1
	ds_read_b64 v[38:39], v21
	ds_read_b64 v[40:41], v23
	s_waitcnt lgkmcnt(1)
	v_cvt_f32_f16_e32 v42, v38
	s_waitcnt lgkmcnt(0)
	v_cvt_f32_f16_e32 v44, v40
	v_cvt_f32_f16_sdwa v40, v40 dst_sel:DWORD dst_unused:UNUSED_PAD src0_sel:WORD_1
	v_cvt_f32_f16_sdwa v38, v38 dst_sel:DWORD dst_unused:UNUSED_PAD src0_sel:WORD_1
	v_cvt_f32_f16_e32 v46, v41
	v_pk_mul_f32 v[44:45], v[16:17], v[44:45] op_sel_hi:[1,0]
	v_pk_mul_f32 v[48:49], v[16:17], v[42:43] op_sel_hi:[1,0]
	v_pk_fma_f32 v[16:17], v[16:17], v[42:43], v[44:45] op_sel:[0,0,1] op_sel_hi:[1,0,0]
	v_pk_mul_f32 v[50:51], v[14:15], v[40:41] op_sel_hi:[1,0]
	v_cvt_f32_f16_e32 v16, v39
	v_pk_fma_f32 v[42:43], v[14:15], v[38:39], v[50:51] op_sel:[0,0,1] op_sel_hi:[1,0,0] neg_lo:[0,0,1] neg_hi:[0,0,1]
	v_pk_fma_f32 v[14:15], v[14:15], v[38:39], v[50:51] op_sel:[0,0,1] op_sel_hi:[1,0,0]
	v_cvt_f32_f16_sdwa v39, v39 dst_sel:DWORD dst_unused:UNUSED_PAD src0_sel:WORD_1
	v_cvt_f32_f16_sdwa v38, v41 dst_sel:DWORD dst_unused:UNUSED_PAD src0_sel:WORD_1
	v_pk_mul_f32 v[46:47], v[12:13], v[46:47] op_sel_hi:[1,0]
	v_pk_fma_f32 v[50:51], v[12:13], v[16:17], v[46:47] op_sel:[0,0,1] op_sel_hi:[1,0,0] neg_lo:[0,0,1] neg_hi:[0,0,1]
	v_pk_fma_f32 v[12:13], v[12:13], v[16:17], v[46:47] op_sel:[0,0,1] op_sel_hi:[1,0,0]
	v_mov_b32_e32 v14, v11
	v_mov_b32_e32 v12, v39
	v_pk_mul_f32 v[40:41], v[14:15], v[38:39]
	v_pk_mul_f32 v[46:47], v[10:11], v[38:39]
	v_pk_fma_f32 v[40:41], v[10:11], v[12:13], v[40:41] op_sel_hi:[1,0,1] neg_lo:[0,0,1] neg_hi:[0,0,1]
	v_mov_b32_e32 v12, v47
	v_pk_fma_f32 v[38:39], v[10:11], v[38:39], v[12:13]
	v_sub_f32_e32 v16, v48, v45
	v_mov_b32_e32 v14, v42
	v_mov_b32_e32 v12, v50
	;; [unrolled: 1-line block ×4, first 2 shown]
.LBB106_12:                             ;   in Loop: Header=BB106_10 Depth=1
	s_or_b64 exec, exec, s[0:1]
	v_and_b32_e32 v9, 0x7f800000, v16
	v_cmp_ne_u32_e64 s[0:1], s8, v9
                                        ; implicit-def: $vgpr38
	s_and_saveexec_b64 s[2:3], s[0:1]
	s_xor_b64 s[0:1], exec, s[2:3]
; %bb.13:                               ;   in Loop: Header=BB106_10 Depth=1
	v_bfe_u32 v9, v16, 16, 1
	v_add3_u32 v38, v16, v9, s9
; %bb.14:                               ;   in Loop: Header=BB106_10 Depth=1
	s_andn2_saveexec_b64 s[2:3], s[0:1]
; %bb.15:                               ;   in Loop: Header=BB106_10 Depth=1
	v_or_b32_e32 v9, 0x10000, v16
	v_cmp_eq_u32_sdwa s[0:1], v16, v37 src0_sel:WORD_0 src1_sel:DWORD
	v_cndmask_b32_e64 v38, v9, v16, s[0:1]
; %bb.16:                               ;   in Loop: Header=BB106_10 Depth=1
	s_or_b64 exec, exec, s[2:3]
	v_and_b32_e32 v9, 0x7f800000, v17
	v_cmp_ne_u32_e64 s[0:1], s8, v9
                                        ; implicit-def: $vgpr16
	s_and_saveexec_b64 s[2:3], s[0:1]
	s_xor_b64 s[0:1], exec, s[2:3]
; %bb.17:                               ;   in Loop: Header=BB106_10 Depth=1
	v_bfe_u32 v9, v17, 16, 1
	v_add3_u32 v16, v17, v9, s9
                                        ; implicit-def: $vgpr17
; %bb.18:                               ;   in Loop: Header=BB106_10 Depth=1
	s_andn2_saveexec_b64 s[2:3], s[0:1]
; %bb.19:                               ;   in Loop: Header=BB106_10 Depth=1
	v_or_b32_e32 v9, 0x10000, v17
	v_cmp_eq_u32_sdwa s[0:1], v17, v37 src0_sel:WORD_0 src1_sel:DWORD
	v_cndmask_b32_e64 v16, v9, v17, s[0:1]
; %bb.20:                               ;   in Loop: Header=BB106_10 Depth=1
	s_or_b64 exec, exec, s[2:3]
	v_and_b32_e32 v9, 0x7f800000, v14
	v_cmp_ne_u32_e64 s[0:1], s8, v9
                                        ; implicit-def: $vgpr17
	s_and_saveexec_b64 s[2:3], s[0:1]
	s_xor_b64 s[0:1], exec, s[2:3]
; %bb.21:                               ;   in Loop: Header=BB106_10 Depth=1
	v_bfe_u32 v9, v14, 16, 1
	v_add3_u32 v17, v14, v9, s9
; %bb.22:                               ;   in Loop: Header=BB106_10 Depth=1
	s_andn2_saveexec_b64 s[2:3], s[0:1]
; %bb.23:                               ;   in Loop: Header=BB106_10 Depth=1
	v_or_b32_e32 v9, 0x10000, v14
	v_cmp_eq_u32_sdwa s[0:1], v14, v37 src0_sel:WORD_0 src1_sel:DWORD
	v_cndmask_b32_e64 v17, v9, v14, s[0:1]
; %bb.24:                               ;   in Loop: Header=BB106_10 Depth=1
	s_or_b64 exec, exec, s[2:3]
	v_and_b32_e32 v9, 0x7f800000, v15
	v_cmp_ne_u32_e64 s[0:1], s8, v9
                                        ; implicit-def: $vgpr14
	s_and_saveexec_b64 s[2:3], s[0:1]
	s_xor_b64 s[0:1], exec, s[2:3]
; %bb.25:                               ;   in Loop: Header=BB106_10 Depth=1
	v_bfe_u32 v9, v15, 16, 1
	v_add3_u32 v14, v15, v9, s9
                                        ; implicit-def: $vgpr15
; %bb.26:                               ;   in Loop: Header=BB106_10 Depth=1
	s_andn2_saveexec_b64 s[2:3], s[0:1]
; %bb.27:                               ;   in Loop: Header=BB106_10 Depth=1
	v_or_b32_e32 v9, 0x10000, v15
	v_cmp_eq_u32_sdwa s[0:1], v15, v37 src0_sel:WORD_0 src1_sel:DWORD
	v_cndmask_b32_e64 v14, v9, v15, s[0:1]
; %bb.28:                               ;   in Loop: Header=BB106_10 Depth=1
	s_or_b64 exec, exec, s[2:3]
	v_and_b32_e32 v9, 0x7f800000, v12
	v_cmp_ne_u32_e64 s[0:1], s8, v9
                                        ; implicit-def: $vgpr15
	s_and_saveexec_b64 s[2:3], s[0:1]
	s_xor_b64 s[0:1], exec, s[2:3]
; %bb.29:                               ;   in Loop: Header=BB106_10 Depth=1
	v_bfe_u32 v9, v12, 16, 1
	v_add3_u32 v15, v12, v9, s9
; %bb.30:                               ;   in Loop: Header=BB106_10 Depth=1
	s_andn2_saveexec_b64 s[2:3], s[0:1]
; %bb.31:                               ;   in Loop: Header=BB106_10 Depth=1
	v_or_b32_e32 v9, 0x10000, v12
	v_cmp_eq_u32_sdwa s[0:1], v12, v37 src0_sel:WORD_0 src1_sel:DWORD
	v_cndmask_b32_e64 v15, v9, v12, s[0:1]
; %bb.32:                               ;   in Loop: Header=BB106_10 Depth=1
	s_or_b64 exec, exec, s[2:3]
	v_and_b32_e32 v9, 0x7f800000, v13
	v_cmp_ne_u32_e64 s[0:1], s8, v9
                                        ; implicit-def: $vgpr12
	s_and_saveexec_b64 s[2:3], s[0:1]
	s_xor_b64 s[0:1], exec, s[2:3]
; %bb.33:                               ;   in Loop: Header=BB106_10 Depth=1
	v_bfe_u32 v9, v13, 16, 1
	v_add3_u32 v12, v13, v9, s9
                                        ; implicit-def: $vgpr13
; %bb.34:                               ;   in Loop: Header=BB106_10 Depth=1
	s_andn2_saveexec_b64 s[2:3], s[0:1]
; %bb.35:                               ;   in Loop: Header=BB106_10 Depth=1
	v_or_b32_e32 v9, 0x10000, v13
	v_cmp_eq_u32_sdwa s[0:1], v13, v37 src0_sel:WORD_0 src1_sel:DWORD
	v_cndmask_b32_e64 v12, v9, v13, s[0:1]
; %bb.36:                               ;   in Loop: Header=BB106_10 Depth=1
	s_or_b64 exec, exec, s[2:3]
	v_and_b32_e32 v9, 0x7f800000, v10
	v_cmp_ne_u32_e64 s[0:1], s8, v9
                                        ; implicit-def: $vgpr13
	s_and_saveexec_b64 s[2:3], s[0:1]
	s_xor_b64 s[0:1], exec, s[2:3]
; %bb.37:                               ;   in Loop: Header=BB106_10 Depth=1
	v_bfe_u32 v9, v10, 16, 1
	v_add3_u32 v13, v10, v9, s9
; %bb.38:                               ;   in Loop: Header=BB106_10 Depth=1
	s_andn2_saveexec_b64 s[2:3], s[0:1]
; %bb.39:                               ;   in Loop: Header=BB106_10 Depth=1
	v_or_b32_e32 v9, 0x10000, v10
	v_cmp_eq_u32_sdwa s[0:1], v10, v37 src0_sel:WORD_0 src1_sel:DWORD
	v_cndmask_b32_e64 v13, v9, v10, s[0:1]
; %bb.40:                               ;   in Loop: Header=BB106_10 Depth=1
	s_or_b64 exec, exec, s[2:3]
	v_and_b32_e32 v9, 0x7f800000, v11
	v_cmp_ne_u32_e64 s[0:1], s8, v9
                                        ; implicit-def: $vgpr10
	s_and_saveexec_b64 s[2:3], s[0:1]
	s_xor_b64 s[0:1], exec, s[2:3]
; %bb.41:                               ;   in Loop: Header=BB106_10 Depth=1
	v_bfe_u32 v9, v11, 16, 1
	v_add3_u32 v10, v11, v9, s9
                                        ; implicit-def: $vgpr11
; %bb.42:                               ;   in Loop: Header=BB106_10 Depth=1
	s_andn2_saveexec_b64 s[2:3], s[0:1]
	s_cbranch_execz .LBB106_9
; %bb.43:                               ;   in Loop: Header=BB106_10 Depth=1
	v_or_b32_e32 v9, 0x10000, v11
	v_cmp_eq_u32_sdwa s[0:1], v11, v37 src0_sel:WORD_0 src1_sel:DWORD
	v_cndmask_b32_e64 v10, v9, v11, s[0:1]
	s_branch .LBB106_9
.LBB106_44:
	s_endpgm
	.section	.rodata,"a",@progbits
	.p2align	6, 0x0
	.amdhsa_kernel _ZN12tensorrt_llm7kernels32fusedQKNormRopeKernelNTokenHeadsIN3c108BFloat16ENS2_4HalfELi256ELb1ELi2EEEvPviiifPKvS7_S7_PKlii
		.amdhsa_group_segment_fixed_size 0
		.amdhsa_private_segment_fixed_size 0
		.amdhsa_kernarg_size 320
		.amdhsa_user_sgpr_count 6
		.amdhsa_user_sgpr_private_segment_buffer 1
		.amdhsa_user_sgpr_dispatch_ptr 0
		.amdhsa_user_sgpr_queue_ptr 0
		.amdhsa_user_sgpr_kernarg_segment_ptr 1
		.amdhsa_user_sgpr_dispatch_id 0
		.amdhsa_user_sgpr_flat_scratch_init 0
		.amdhsa_user_sgpr_kernarg_preload_length 0
		.amdhsa_user_sgpr_kernarg_preload_offset 0
		.amdhsa_user_sgpr_private_segment_size 0
		.amdhsa_uses_dynamic_stack 0
		.amdhsa_system_sgpr_private_segment_wavefront_offset 0
		.amdhsa_system_sgpr_workgroup_id_x 1
		.amdhsa_system_sgpr_workgroup_id_y 0
		.amdhsa_system_sgpr_workgroup_id_z 0
		.amdhsa_system_sgpr_workgroup_info 0
		.amdhsa_system_vgpr_workitem_id 0
		.amdhsa_next_free_vgpr 52
		.amdhsa_next_free_sgpr 24
		.amdhsa_accum_offset 52
		.amdhsa_reserve_vcc 1
		.amdhsa_reserve_flat_scratch 0
		.amdhsa_float_round_mode_32 0
		.amdhsa_float_round_mode_16_64 0
		.amdhsa_float_denorm_mode_32 3
		.amdhsa_float_denorm_mode_16_64 3
		.amdhsa_dx10_clamp 1
		.amdhsa_ieee_mode 1
		.amdhsa_fp16_overflow 0
		.amdhsa_tg_split 0
		.amdhsa_exception_fp_ieee_invalid_op 0
		.amdhsa_exception_fp_denorm_src 0
		.amdhsa_exception_fp_ieee_div_zero 0
		.amdhsa_exception_fp_ieee_overflow 0
		.amdhsa_exception_fp_ieee_underflow 0
		.amdhsa_exception_fp_ieee_inexact 0
		.amdhsa_exception_int_div_zero 0
	.end_amdhsa_kernel
	.section	.text._ZN12tensorrt_llm7kernels32fusedQKNormRopeKernelNTokenHeadsIN3c108BFloat16ENS2_4HalfELi256ELb1ELi2EEEvPviiifPKvS7_S7_PKlii,"axG",@progbits,_ZN12tensorrt_llm7kernels32fusedQKNormRopeKernelNTokenHeadsIN3c108BFloat16ENS2_4HalfELi256ELb1ELi2EEEvPviiifPKvS7_S7_PKlii,comdat
.Lfunc_end106:
	.size	_ZN12tensorrt_llm7kernels32fusedQKNormRopeKernelNTokenHeadsIN3c108BFloat16ENS2_4HalfELi256ELb1ELi2EEEvPviiifPKvS7_S7_PKlii, .Lfunc_end106-_ZN12tensorrt_llm7kernels32fusedQKNormRopeKernelNTokenHeadsIN3c108BFloat16ENS2_4HalfELi256ELb1ELi2EEEvPviiifPKvS7_S7_PKlii
                                        ; -- End function
	.section	.AMDGPU.csdata,"",@progbits
; Kernel info:
; codeLenInByte = 2344
; NumSgprs: 28
; NumVgprs: 52
; NumAgprs: 0
; TotalNumVgprs: 52
; ScratchSize: 0
; MemoryBound: 0
; FloatMode: 240
; IeeeMode: 1
; LDSByteSize: 0 bytes/workgroup (compile time only)
; SGPRBlocks: 3
; VGPRBlocks: 6
; NumSGPRsForWavesPerEU: 28
; NumVGPRsForWavesPerEU: 52
; AccumOffset: 52
; Occupancy: 8
; WaveLimiterHint : 0
; COMPUTE_PGM_RSRC2:SCRATCH_EN: 0
; COMPUTE_PGM_RSRC2:USER_SGPR: 6
; COMPUTE_PGM_RSRC2:TRAP_HANDLER: 0
; COMPUTE_PGM_RSRC2:TGID_X_EN: 1
; COMPUTE_PGM_RSRC2:TGID_Y_EN: 0
; COMPUTE_PGM_RSRC2:TGID_Z_EN: 0
; COMPUTE_PGM_RSRC2:TIDIG_COMP_CNT: 0
; COMPUTE_PGM_RSRC3_GFX90A:ACCUM_OFFSET: 12
; COMPUTE_PGM_RSRC3_GFX90A:TG_SPLIT: 0
	.section	.text._ZN12tensorrt_llm7kernels32fusedQKNormRopeKernelNTokenHeadsIN3c108BFloat16ENS2_4HalfELi256ELb0ELi2EEEvPviiifPKvS7_S7_PKlii,"axG",@progbits,_ZN12tensorrt_llm7kernels32fusedQKNormRopeKernelNTokenHeadsIN3c108BFloat16ENS2_4HalfELi256ELb0ELi2EEEvPviiifPKvS7_S7_PKlii,comdat
	.protected	_ZN12tensorrt_llm7kernels32fusedQKNormRopeKernelNTokenHeadsIN3c108BFloat16ENS2_4HalfELi256ELb0ELi2EEEvPviiifPKvS7_S7_PKlii ; -- Begin function _ZN12tensorrt_llm7kernels32fusedQKNormRopeKernelNTokenHeadsIN3c108BFloat16ENS2_4HalfELi256ELb0ELi2EEEvPviiifPKvS7_S7_PKlii
	.globl	_ZN12tensorrt_llm7kernels32fusedQKNormRopeKernelNTokenHeadsIN3c108BFloat16ENS2_4HalfELi256ELb0ELi2EEEvPviiifPKvS7_S7_PKlii
	.p2align	8
	.type	_ZN12tensorrt_llm7kernels32fusedQKNormRopeKernelNTokenHeadsIN3c108BFloat16ENS2_4HalfELi256ELb0ELi2EEEvPviiifPKvS7_S7_PKlii,@function
_ZN12tensorrt_llm7kernels32fusedQKNormRopeKernelNTokenHeadsIN3c108BFloat16ENS2_4HalfELi256ELb0ELi2EEEvPviiifPKvS7_S7_PKlii: ; @_ZN12tensorrt_llm7kernels32fusedQKNormRopeKernelNTokenHeadsIN3c108BFloat16ENS2_4HalfELi256ELb0ELi2EEEvPviiifPKvS7_S7_PKlii
; %bb.0:
	s_load_dwordx4 s[12:15], s[4:5], 0x8
	s_load_dwordx2 s[2:3], s[4:5], 0x38
	s_load_dword s1, s[4:5], 0x4c
	v_lshrrev_b32_e32 v1, 5, v0
	s_waitcnt lgkmcnt(0)
	s_add_i32 s0, s13, s12
	s_add_i32 s7, s0, 1
	s_lshr_b32 s8, s7, 31
	s_add_i32 s7, s7, s8
	s_ashr_i32 s20, s7, 1
	s_abs_i32 s7, s20
	v_cvt_f32_u32_e32 v2, s7
	s_bfe_u32 s1, s1, 0xb0005
	s_mul_i32 s6, s6, s1
	v_add_u32_e32 v3, s6, v1
	v_rcp_iflag_f32_e32 v2, v2
	s_sub_i32 s6, 0, s7
	v_sub_u32_e32 v4, 0, v3
	v_max_i32_e32 v4, v3, v4
	v_mul_f32_e32 v2, 0x4f7ffffe, v2
	v_cvt_u32_f32_e32 v2, v2
	v_xor_b32_e32 v5, s20, v3
	v_ashrrev_i32_e32 v5, 31, v5
	v_mul_lo_u32 v6, s6, v2
	v_mul_hi_u32 v6, v2, v6
	v_add_u32_e32 v2, v2, v6
	v_mul_hi_u32 v2, v4, v2
	v_mul_lo_u32 v6, v2, s7
	v_sub_u32_e32 v4, v4, v6
	v_add_u32_e32 v6, 1, v2
	v_cmp_le_u32_e32 vcc, s7, v4
	v_cndmask_b32_e32 v2, v2, v6, vcc
	v_subrev_u32_e32 v6, s7, v4
	v_cndmask_b32_e32 v4, v4, v6, vcc
	v_add_u32_e32 v6, 1, v2
	v_cmp_le_u32_e32 vcc, s7, v4
	v_cndmask_b32_e32 v2, v2, v6, vcc
	v_xor_b32_e32 v2, v2, v5
	v_sub_u32_e32 v2, v2, v5
	v_cmp_gt_i32_e32 vcc, s2, v2
	s_and_saveexec_b64 s[6:7], vcc
	s_cbranch_execz .LBB107_44
; %bb.1:
	v_mul_lo_u32 v4, v2, s20
	v_sub_u32_e32 v4, v3, v4
	s_load_dwordx2 s[16:17], s[4:5], 0x0
	v_lshlrev_b32_e32 v18, 1, v4
	v_add_u32_e32 v4, 2, v18
	v_sub_u32_e32 v5, s0, v18
	v_cmp_lt_i32_e32 vcc, s0, v4
	v_and_b32_e32 v6, 31, v0
	v_cndmask_b32_e32 v19, 2, v5, vcc
	s_lshl_b32 s2, s3, 1
	s_mul_i32 s21, s2, s1
	v_lshlrev_b32_e32 v7, 10, v1
	v_cmp_lt_i32_e64 s[0:1], 0, v19
	v_lshlrev_b32_e32 v17, 4, v6
	v_lshlrev_b32_e32 v16, 9, v3
	s_and_saveexec_b64 s[6:7], s[0:1]
	s_cbranch_execz .LBB107_4
; %bb.2:
	s_add_i32 s8, s21, 0
	v_add3_u32 v3, s8, v7, v17
	s_add_i32 s8, s14, s13
	s_add_i32 s8, s8, s12
	s_lshl_b32 s9, s20, 1
	s_sub_i32 s8, s8, s9
	v_mul_lo_u32 v4, s8, v2
	v_lshl_add_u32 v4, v4, 8, v16
	s_mov_b32 s10, 0
	v_lshl_or_b32 v4, v6, 3, v4
	s_mov_b64 s[8:9], 0
	s_waitcnt lgkmcnt(0)
	v_mov_b32_e32 v8, s17
.LBB107_3:                              ; =>This Inner Loop Header: Depth=1
	v_ashrrev_i32_e32 v5, 31, v4
	v_lshlrev_b64 v[10:11], 1, v[4:5]
	v_add_co_u32_e32 v10, vcc, s16, v10
	v_addc_co_u32_e32 v11, vcc, v8, v11, vcc
	global_load_dwordx4 v[10:13], v[10:11], off
	s_add_i32 s10, s10, 1
	v_cmp_ge_i32_e32 vcc, s10, v19
	v_add_u32_e32 v4, 0x100, v4
	s_or_b64 s[8:9], vcc, s[8:9]
	s_waitcnt vmcnt(0)
	ds_write_b128 v3, v[10:13]
	v_add_u32_e32 v3, 0x200, v3
	s_andn2_b64 exec, exec, s[8:9]
	s_cbranch_execnz .LBB107_3
.LBB107_4:
	s_or_b64 exec, exec, s[6:7]
	s_add_i32 s2, s2, 15
	s_load_dwordx8 s[4:11], s[4:5], 0x18
	s_ashr_i32 s18, s2, 31
	s_lshr_b32 s18, s18, 28
	s_add_i32 s2, s2, s18
	s_ashr_i32 s2, s2, 4
	v_cmp_gt_i32_e32 vcc, s2, v6
	v_mul_lo_u32 v4, v1, s3
	s_and_saveexec_b64 s[18:19], vcc
	s_cbranch_execz .LBB107_7
; %bb.5:
	v_ashrrev_i32_e32 v3, 31, v2
	v_lshlrev_b64 v[8:9], 3, v[2:3]
	s_waitcnt lgkmcnt(0)
	v_mov_b32_e32 v1, s11
	v_add_co_u32_e32 v8, vcc, s10, v8
	v_addc_co_u32_e32 v9, vcc, v1, v9, vcc
	global_load_dwordx2 v[8:9], v[8:9], off
	s_ashr_i32 s22, s3, 31
	v_lshlrev_b32_e32 v1, 1, v4
	v_and_b32_e32 v0, 31, v0
	v_add3_u32 v3, v1, v17, 0
	v_lshlrev_b32_e32 v10, 4, v0
	v_mov_b32_e32 v5, s9
	s_mov_b64 s[10:11], 0
	s_waitcnt vmcnt(0)
	v_mul_lo_u32 v9, v9, s3
	v_mul_lo_u32 v11, v8, s22
	v_mad_u64_u32 v[0:1], s[22:23], v8, s3, 0
	v_add3_u32 v1, v1, v11, v9
	v_lshlrev_b64 v[0:1], 1, v[0:1]
	v_add_co_u32_e32 v0, vcc, v0, v10
	v_addc_co_u32_e32 v1, vcc, 0, v1, vcc
	v_add_co_u32_e32 v0, vcc, s8, v0
	v_addc_co_u32_e32 v1, vcc, v5, v1, vcc
	v_mov_b32_e32 v5, v6
.LBB107_6:                              ; =>This Inner Loop Header: Depth=1
	global_load_dwordx4 v[8:11], v[0:1], off
	v_add_co_u32_e32 v0, vcc, 0x200, v0
	v_add_u32_e32 v5, 32, v5
	v_addc_co_u32_e32 v1, vcc, 0, v1, vcc
	v_cmp_le_i32_e32 vcc, s2, v5
	s_or_b64 s[10:11], vcc, s[10:11]
	s_waitcnt vmcnt(0)
	ds_write_b128 v3, v[8:11]
	v_add_u32_e32 v3, 0x200, v3
	s_andn2_b64 exec, exec, s[10:11]
	s_cbranch_execnz .LBB107_6
.LBB107_7:
	s_or_b64 exec, exec, s[18:19]
	s_and_b64 exec, exec, s[0:1]
	s_cbranch_execz .LBB107_44
; %bb.8:
	s_waitcnt lgkmcnt(0)
	global_load_dwordx4 v[8:11], v17, s[4:5]
	global_load_dwordx4 v[12:15], v17, s[6:7]
	v_mbcnt_lo_u32_b32 v1, -1, 0
	s_abs_i32 s4, s3
	v_mbcnt_hi_u32_b32 v1, -1, v1
	v_cvt_f32_u32_e32 v22, s4
	v_and_b32_e32 v20, 0x60, v1
	v_xor_b32_e32 v21, 16, v1
	v_add_u32_e32 v20, 32, v20
	v_xor_b32_e32 v23, 8, v1
	v_cmp_lt_i32_e32 vcc, v21, v20
	v_xor_b32_e32 v24, 4, v1
	v_cndmask_b32_e32 v21, v1, v21, vcc
	v_cmp_lt_i32_e32 vcc, v23, v20
	v_rcp_iflag_f32_e32 v29, v22
	v_xor_b32_e32 v25, 2, v1
	v_cndmask_b32_e32 v23, v1, v23, vcc
	v_cmp_lt_i32_e32 vcc, v24, v20
	s_ashr_i32 s1, s3, 31
	v_xor_b32_e32 v26, 1, v1
	v_cndmask_b32_e32 v24, v1, v24, vcc
	v_cmp_lt_i32_e32 vcc, v25, v20
	s_lshr_b32 s2, s1, 29
	s_lshr_b32 s1, s1, 28
	v_cndmask_b32_e32 v25, v1, v25, vcc
	v_cmp_lt_i32_e32 vcc, v26, v20
	s_lshr_b32 s0, s3, 31
	s_add_i32 s1, s3, s1
	v_cndmask_b32_e32 v26, v1, v26, vcc
	v_lshlrev_b32_e32 v20, 2, v21
	v_lshlrev_b32_e32 v21, 2, v23
	;; [unrolled: 1-line block ×3, first 2 shown]
	v_mul_f32_e32 v25, 0x4f7ffffe, v29
	s_add_i32 s0, s3, s0
	v_and_b32_e32 v27, 64, v1
	s_ashr_i32 s1, s1, 4
	v_lshlrev_b32_e32 v22, 2, v24
	v_lshlrev_b32_e32 v24, 2, v26
	v_cvt_u32_f32_e32 v26, v25
	v_lshl_add_u32 v0, v4, 1, 0
	s_and_b32 s0, s0, -2
	s_add_i32 s2, s3, s2
	v_add_u32_e32 v27, 64, v27
	v_xor_b32_e32 v28, s1, v1
	v_add_u32_e32 v49, s0, v0
	s_ashr_i32 s0, s2, 3
	v_cmp_lt_i32_e64 s[2:3], v28, v27
	s_sub_i32 s5, 0, s4
	v_cndmask_b32_e64 v1, v1, v28, s[2:3]
	v_lshlrev_b32_e32 v25, 2, v1
	v_mul_lo_u32 v1, s5, v26
	v_mul_hi_u32 v1, v26, v1
	v_add_u32_e32 v1, v26, v1
	v_mul_hi_u32 v26, v17, v1
	v_mul_lo_u32 v26, v26, s4
	v_or_b32_e32 v3, 2, v17
	v_sub_u32_e32 v26, v17, v26
	v_subrev_u32_e32 v27, s4, v26
	v_cmp_le_u32_e64 s[2:3], s4, v26
	v_mul_hi_u32 v36, v3, v1
	v_cndmask_b32_e64 v26, v26, v27, s[2:3]
	v_mul_lo_u32 v36, v36, s4
	v_subrev_u32_e32 v27, s4, v26
	v_cmp_le_u32_e64 s[2:3], s4, v26
	v_sub_u32_e32 v3, v3, v36
	v_cndmask_b32_e64 v26, v26, v27, s[2:3]
	v_subrev_u32_e32 v36, s4, v3
	v_cmp_le_u32_e64 s[2:3], s4, v3
	v_cndmask_b32_e64 v3, v3, v36, s[2:3]
	v_subrev_u32_e32 v36, s4, v3
	v_cmp_le_u32_e64 s[2:3], s4, v3
	v_cndmask_b32_e64 v3, v3, v36, s[2:3]
	v_or_b32_e32 v4, 4, v17
	v_and_b32_e32 v3, -2, v3
	v_add_u32_e32 v36, v0, v3
	v_add_u32_e32 v37, v49, v3
	v_mul_hi_u32 v3, v4, v1
	v_mul_lo_u32 v3, v3, s4
	v_sub_u32_e32 v3, v4, v3
	v_subrev_u32_e32 v4, s4, v3
	v_cmp_le_u32_e64 s[2:3], s4, v3
	v_cndmask_b32_e64 v3, v3, v4, s[2:3]
	v_subrev_u32_e32 v4, s4, v3
	v_cmp_le_u32_e64 s[2:3], s4, v3
	v_cndmask_b32_e64 v3, v3, v4, s[2:3]
	v_or_b32_e32 v5, 6, v17
	v_and_b32_e32 v3, -2, v3
	v_add_u32_e32 v38, v0, v3
	v_add_u32_e32 v39, v49, v3
	v_mul_hi_u32 v3, v5, v1
	v_mul_lo_u32 v3, v3, s4
	v_sub_u32_e32 v3, v5, v3
	;; [unrolled: 13-line block ×5, first 2 shown]
	v_subrev_u32_e32 v4, s4, v3
	v_cmp_le_u32_e64 s[2:3], s4, v3
	v_or_b32_e32 v48, 14, v17
	v_cndmask_b32_e64 v3, v3, v4, s[2:3]
	v_subrev_u32_e32 v4, s4, v3
	v_cmp_le_u32_e64 s[2:3], s4, v3
	v_mul_hi_u32 v1, v48, v1
	v_cndmask_b32_e64 v3, v3, v4, s[2:3]
	v_mul_lo_u32 v1, v1, s4
	v_and_b32_e32 v3, -2, v3
	v_sub_u32_e32 v1, v48, v1
	v_add_u32_e32 v46, v0, v3
	v_add_u32_e32 v47, v49, v3
	v_subrev_u32_e32 v3, s4, v1
	v_cmp_le_u32_e64 s[2:3], s4, v1
	v_cndmask_b32_e64 v1, v1, v3, s[2:3]
	v_subrev_u32_e32 v3, s4, v1
	v_cmp_le_u32_e64 s[2:3], s4, v1
	v_cndmask_b32_e64 v1, v1, v3, s[2:3]
	s_add_i32 s2, s14, s13
	s_add_i32 s2, s2, s12
	s_lshl_b32 s3, s20, 1
	v_and_b32_e32 v35, -2, v26
	v_and_b32_e32 v1, -2, v1
	s_sub_i32 s2, s2, s3
	v_add_u32_e32 v34, v0, v35
	v_add_u32_e32 v48, v0, v1
	v_mul_lo_u32 v0, s2, v2
	v_lshl_add_u32 v0, v0, 8, v16
	v_lshl_or_b32 v16, v6, 3, v0
	v_add_u32_e32 v0, s21, v7
	s_mov_b32 s8, 0
	v_cmp_gt_i32_e32 vcc, s0, v6
	v_cmp_gt_i32_e64 s[0:1], s1, v6
	s_waitcnt vmcnt(1)
	v_lshrrev_b32_e32 v26, 16, v8
	v_lshrrev_b32_e32 v27, 16, v9
	;; [unrolled: 1-line block ×4, first 2 shown]
	s_waitcnt vmcnt(0)
	v_lshrrev_b32_e32 v30, 16, v12
	v_lshrrev_b32_e32 v31, 16, v13
	;; [unrolled: 1-line block ×4, first 2 shown]
	v_add_u32_e32 v35, v49, v35
	v_add_u32_e32 v49, v49, v1
	v_add3_u32 v50, v0, v17, 0
	s_mov_b64 s[6:7], 0
	s_mov_b32 s9, 0x800000
	s_mov_b32 s10, 0x7f800000
	s_movk_i32 s11, 0x7fff
	s_mov_b32 s13, 0x7060302
	v_mov_b32_e32 v51, 0
	s_branch .LBB107_10
.LBB107_9:                              ;   in Loop: Header=BB107_10 Depth=1
	s_or_b64 exec, exec, s[4:5]
	v_ashrrev_i32_e32 v17, 31, v16
	v_lshlrev_b64 v[0:1], 1, v[16:17]
	v_mov_b32_e32 v2, s17
	v_add_co_u32_e64 v4, s[2:3], s16, v0
	v_addc_co_u32_e64 v5, s[2:3], v2, v1, s[2:3]
	s_add_i32 s8, s8, 1
	v_cmp_ge_i32_e64 s[2:3], s8, v19
	v_perm_b32 v3, v59, v58, s13
	v_perm_b32 v2, v57, v56, s13
	;; [unrolled: 1-line block ×4, first 2 shown]
	v_add_u32_e32 v16, 0x100, v16
	s_or_b64 s[6:7], s[2:3], s[6:7]
	v_add_u32_e32 v50, 0x200, v50
	global_store_dwordx4 v[4:5], v[0:3], off
	s_andn2_b64 exec, exec, s[6:7]
	s_cbranch_execz .LBB107_44
.LBB107_10:                             ; =>This Inner Loop Header: Depth=1
	ds_read_b128 v[0:3], v50
	v_mov_b32_e32 v54, s15
	s_waitcnt lgkmcnt(0)
	v_and_b32_e32 v52, 0xffff0000, v0
	v_lshlrev_b32_e32 v17, 16, v0
	v_and_b32_e32 v5, 0xffff0000, v1
	v_lshlrev_b32_e32 v4, 16, v1
	v_mul_f32_e32 v6, v52, v52
	v_pk_mul_f32 v[0:1], v[4:5], v[4:5]
	v_fmac_f32_e32 v6, v17, v17
	v_add_f32_e32 v0, v6, v0
	v_add_f32_e32 v53, v0, v1
	v_and_b32_e32 v1, 0xffff0000, v2
	v_lshlrev_b32_e32 v0, 16, v2
	v_pk_mul_f32 v[6:7], v[0:1], v[0:1]
	v_add_f32_e32 v2, v53, v6
	v_add_f32_e32 v53, v2, v7
	v_and_b32_e32 v7, 0xffff0000, v3
	v_lshlrev_b32_e32 v6, 16, v3
	v_pk_mul_f32 v[2:3], v[6:7], v[6:7]
	v_add_f32_e32 v2, v53, v2
	v_add_f32_e32 v2, v2, v3
	ds_bpermute_b32 v3, v20, v2
	v_add_u32_e32 v53, s8, v18
	v_cmp_gt_i32_e64 s[2:3], s12, v53
	v_cndmask_b32_e64 v56, v13, v9, s[2:3]
	v_cndmask_b32_e64 v55, v30, v26, s[2:3]
	s_waitcnt lgkmcnt(0)
	v_add_f32_e32 v2, v2, v3
	ds_bpermute_b32 v3, v21, v2
	v_cndmask_b32_e64 v57, v31, v27, s[2:3]
	v_cndmask_b32_e64 v58, v14, v10, s[2:3]
	;; [unrolled: 1-line block ×3, first 2 shown]
	v_lshlrev_b32_e32 v53, 16, v53
	s_waitcnt lgkmcnt(0)
	v_add_f32_e32 v2, v2, v3
	ds_bpermute_b32 v3, v22, v2
	s_waitcnt lgkmcnt(0)
	v_add_f32_e32 v2, v2, v3
	ds_bpermute_b32 v3, v23, v2
	;; [unrolled: 3-line block ×3, first 2 shown]
	s_waitcnt lgkmcnt(0)
	v_add_f32_e32 v2, v2, v3
	v_fmac_f32_e32 v54, 0x3b800000, v2
	v_mul_f32_e32 v2, 0x4b800000, v54
	v_cmp_gt_f32_e64 s[4:5], s9, v54
	v_cndmask_b32_e64 v2, v54, v2, s[4:5]
	v_rsq_f32_e32 v2, v2
	v_lshlrev_b32_e32 v54, 16, v56
	v_lshlrev_b32_e32 v3, 16, v55
	;; [unrolled: 1-line block ×3, first 2 shown]
	v_mul_f32_e32 v56, 0x45800000, v2
	v_cndmask_b32_e64 v56, v2, v56, s[4:5]
	v_mul_f32_e32 v57, v56, v3
	v_mul_f32_e32 v2, v56, v54
	;; [unrolled: 1-line block ×5, first 2 shown]
	v_lshlrev_b32_e32 v4, 16, v58
	v_cndmask_b32_e64 v5, v15, v11, s[2:3]
	v_mul_f32_e32 v4, v56, v4
	v_lshlrev_b32_e32 v5, 16, v5
	v_mul_f32_e32 v4, v4, v0
	v_cndmask_b32_e64 v0, v32, v28, s[2:3]
	v_mul_f32_e32 v54, v56, v5
	v_cndmask_b32_e64 v5, v33, v29, s[2:3]
	v_lshlrev_b32_e32 v0, 16, v0
	v_lshlrev_b32_e32 v5, 16, v5
	v_mul_f32_e32 v53, v56, v53
	v_mul_f32_e32 v0, v56, v0
	;; [unrolled: 1-line block ×8, first 2 shown]
	s_and_saveexec_b64 s[2:3], vcc
	s_cbranch_execz .LBB107_12
; %bb.11:                               ;   in Loop: Header=BB107_10 Depth=1
	ds_bpermute_b32 v58, v25, v0
	; wave barrier
	ds_read_u16 v17, v35
	ds_read_u16 v52, v36
	;; [unrolled: 1-line block ×7, first 2 shown]
	s_waitcnt lgkmcnt(6)
	v_cvt_f32_f16_e32 v17, v17
	v_cndmask_b32_e64 v58, v58, -v58, s[0:1]
	v_mul_f32_e32 v17, v58, v17
	ds_read_u16 v58, v34
	s_waitcnt lgkmcnt(0)
	v_fma_mix_f32 v0, v0, v58, v17 op_sel_hi:[0,1,0]
	v_cvt_f32_f16_e32 v17, v53
	ds_bpermute_b32 v53, v25, v1
	ds_bpermute_b32 v58, v25, v4
	s_waitcnt lgkmcnt(1)
	v_cndmask_b32_e64 v53, v53, -v53, s[0:1]
	v_mul_f32_e32 v17, v53, v17
	v_fma_mix_f32 v1, v1, v52, v17 op_sel_hi:[0,1,0]
	ds_bpermute_b32 v52, v25, v2
	v_cvt_f32_f16_e32 v17, v55
	s_waitcnt lgkmcnt(1)
	v_cndmask_b32_e64 v58, v58, -v58, s[0:1]
	s_waitcnt lgkmcnt(0)
	v_cndmask_b32_e64 v52, v52, -v52, s[0:1]
	v_mul_f32_e32 v17, v52, v17
	ds_bpermute_b32 v52, v25, v3
	v_fma_mix_f32 v2, v2, v54, v17 op_sel_hi:[0,1,0]
	v_cvt_f32_f16_e32 v17, v57
	s_waitcnt lgkmcnt(0)
	v_cndmask_b32_e64 v52, v52, -v52, s[0:1]
	v_mul_f32_e32 v17, v52, v17
	v_fma_mix_f32 v3, v3, v56, v17 op_sel_hi:[0,1,0]
	ds_read_u16 v17, v43
	ds_read_u16 v52, v44
	ds_read_u16 v53, v45
	ds_read_u16 v54, v46
	ds_read_u16 v55, v47
	ds_read_u16 v56, v48
	ds_read_u16 v57, v49
	s_waitcnt lgkmcnt(6)
	v_cvt_f32_f16_e32 v17, v17
	v_mul_f32_e32 v17, v58, v17
	ds_read_u16 v58, v42
	; wave barrier
	s_waitcnt lgkmcnt(0)
	v_fma_mix_f32 v4, v4, v58, v17 op_sel_hi:[0,1,0]
	v_cvt_f32_f16_e32 v17, v53
	ds_bpermute_b32 v53, v25, v5
	s_waitcnt lgkmcnt(0)
	v_cndmask_b32_e64 v53, v53, -v53, s[0:1]
	v_mul_f32_e32 v17, v53, v17
	v_fma_mix_f32 v5, v5, v52, v17 op_sel_hi:[0,1,0]
	ds_bpermute_b32 v52, v25, v6
	v_cvt_f32_f16_e32 v17, v55
	s_waitcnt lgkmcnt(0)
	v_cndmask_b32_e64 v52, v52, -v52, s[0:1]
	v_mul_f32_e32 v17, v52, v17
	ds_bpermute_b32 v52, v25, v7
	v_fma_mix_f32 v6, v6, v54, v17 op_sel_hi:[0,1,0]
	v_cvt_f32_f16_e32 v17, v57
	s_waitcnt lgkmcnt(0)
	v_cndmask_b32_e64 v52, v52, -v52, s[0:1]
	v_mul_f32_e32 v17, v52, v17
	v_fma_mix_f32 v7, v7, v56, v17 op_sel_hi:[0,1,0]
.LBB107_12:                             ;   in Loop: Header=BB107_10 Depth=1
	s_or_b64 exec, exec, s[2:3]
	v_and_b32_e32 v17, 0x7f800000, v0
	v_cmp_ne_u32_e64 s[2:3], s10, v17
                                        ; implicit-def: $vgpr52
	s_and_saveexec_b64 s[4:5], s[2:3]
	s_xor_b64 s[2:3], exec, s[4:5]
; %bb.13:                               ;   in Loop: Header=BB107_10 Depth=1
	v_bfe_u32 v17, v0, 16, 1
	v_add3_u32 v52, v0, v17, s11
; %bb.14:                               ;   in Loop: Header=BB107_10 Depth=1
	s_andn2_saveexec_b64 s[4:5], s[2:3]
; %bb.15:                               ;   in Loop: Header=BB107_10 Depth=1
	v_or_b32_e32 v17, 0x10000, v0
	v_cmp_eq_u32_sdwa s[2:3], v0, v51 src0_sel:WORD_0 src1_sel:DWORD
	v_cndmask_b32_e64 v52, v17, v0, s[2:3]
; %bb.16:                               ;   in Loop: Header=BB107_10 Depth=1
	s_or_b64 exec, exec, s[4:5]
	v_and_b32_e32 v0, 0x7f800000, v1
	v_cmp_ne_u32_e64 s[2:3], s10, v0
                                        ; implicit-def: $vgpr53
	s_and_saveexec_b64 s[4:5], s[2:3]
	s_xor_b64 s[2:3], exec, s[4:5]
; %bb.17:                               ;   in Loop: Header=BB107_10 Depth=1
	v_bfe_u32 v0, v1, 16, 1
	v_add3_u32 v53, v1, v0, s11
; %bb.18:                               ;   in Loop: Header=BB107_10 Depth=1
	s_andn2_saveexec_b64 s[4:5], s[2:3]
; %bb.19:                               ;   in Loop: Header=BB107_10 Depth=1
	v_or_b32_e32 v0, 0x10000, v1
	v_cmp_eq_u32_sdwa s[2:3], v1, v51 src0_sel:WORD_0 src1_sel:DWORD
	v_cndmask_b32_e64 v53, v0, v1, s[2:3]
; %bb.20:                               ;   in Loop: Header=BB107_10 Depth=1
	s_or_b64 exec, exec, s[4:5]
	v_and_b32_e32 v0, 0x7f800000, v2
	v_cmp_ne_u32_e64 s[2:3], s10, v0
                                        ; implicit-def: $vgpr54
	s_and_saveexec_b64 s[4:5], s[2:3]
	s_xor_b64 s[2:3], exec, s[4:5]
; %bb.21:                               ;   in Loop: Header=BB107_10 Depth=1
	v_bfe_u32 v0, v2, 16, 1
	v_add3_u32 v54, v2, v0, s11
; %bb.22:                               ;   in Loop: Header=BB107_10 Depth=1
	s_andn2_saveexec_b64 s[4:5], s[2:3]
; %bb.23:                               ;   in Loop: Header=BB107_10 Depth=1
	v_or_b32_e32 v0, 0x10000, v2
	v_cmp_eq_u32_sdwa s[2:3], v2, v51 src0_sel:WORD_0 src1_sel:DWORD
	v_cndmask_b32_e64 v54, v0, v2, s[2:3]
; %bb.24:                               ;   in Loop: Header=BB107_10 Depth=1
	s_or_b64 exec, exec, s[4:5]
	v_and_b32_e32 v0, 0x7f800000, v3
	v_cmp_ne_u32_e64 s[2:3], s10, v0
                                        ; implicit-def: $vgpr55
	s_and_saveexec_b64 s[4:5], s[2:3]
	s_xor_b64 s[2:3], exec, s[4:5]
; %bb.25:                               ;   in Loop: Header=BB107_10 Depth=1
	v_bfe_u32 v0, v3, 16, 1
	v_add3_u32 v55, v3, v0, s11
; %bb.26:                               ;   in Loop: Header=BB107_10 Depth=1
	s_andn2_saveexec_b64 s[4:5], s[2:3]
; %bb.27:                               ;   in Loop: Header=BB107_10 Depth=1
	v_or_b32_e32 v0, 0x10000, v3
	v_cmp_eq_u32_sdwa s[2:3], v3, v51 src0_sel:WORD_0 src1_sel:DWORD
	v_cndmask_b32_e64 v55, v0, v3, s[2:3]
; %bb.28:                               ;   in Loop: Header=BB107_10 Depth=1
	s_or_b64 exec, exec, s[4:5]
	v_and_b32_e32 v0, 0x7f800000, v4
	v_cmp_ne_u32_e64 s[2:3], s10, v0
                                        ; implicit-def: $vgpr56
	s_and_saveexec_b64 s[4:5], s[2:3]
	s_xor_b64 s[2:3], exec, s[4:5]
; %bb.29:                               ;   in Loop: Header=BB107_10 Depth=1
	v_bfe_u32 v0, v4, 16, 1
	v_add3_u32 v56, v4, v0, s11
; %bb.30:                               ;   in Loop: Header=BB107_10 Depth=1
	s_andn2_saveexec_b64 s[4:5], s[2:3]
; %bb.31:                               ;   in Loop: Header=BB107_10 Depth=1
	v_or_b32_e32 v0, 0x10000, v4
	v_cmp_eq_u32_sdwa s[2:3], v4, v51 src0_sel:WORD_0 src1_sel:DWORD
	v_cndmask_b32_e64 v56, v0, v4, s[2:3]
; %bb.32:                               ;   in Loop: Header=BB107_10 Depth=1
	s_or_b64 exec, exec, s[4:5]
	v_and_b32_e32 v0, 0x7f800000, v5
	v_cmp_ne_u32_e64 s[2:3], s10, v0
                                        ; implicit-def: $vgpr57
	s_and_saveexec_b64 s[4:5], s[2:3]
	s_xor_b64 s[2:3], exec, s[4:5]
; %bb.33:                               ;   in Loop: Header=BB107_10 Depth=1
	v_bfe_u32 v0, v5, 16, 1
	v_add3_u32 v57, v5, v0, s11
; %bb.34:                               ;   in Loop: Header=BB107_10 Depth=1
	s_andn2_saveexec_b64 s[4:5], s[2:3]
; %bb.35:                               ;   in Loop: Header=BB107_10 Depth=1
	v_or_b32_e32 v0, 0x10000, v5
	v_cmp_eq_u32_sdwa s[2:3], v5, v51 src0_sel:WORD_0 src1_sel:DWORD
	v_cndmask_b32_e64 v57, v0, v5, s[2:3]
; %bb.36:                               ;   in Loop: Header=BB107_10 Depth=1
	s_or_b64 exec, exec, s[4:5]
	v_and_b32_e32 v0, 0x7f800000, v6
	v_cmp_ne_u32_e64 s[2:3], s10, v0
                                        ; implicit-def: $vgpr58
	s_and_saveexec_b64 s[4:5], s[2:3]
	s_xor_b64 s[2:3], exec, s[4:5]
; %bb.37:                               ;   in Loop: Header=BB107_10 Depth=1
	v_bfe_u32 v0, v6, 16, 1
	v_add3_u32 v58, v6, v0, s11
; %bb.38:                               ;   in Loop: Header=BB107_10 Depth=1
	s_andn2_saveexec_b64 s[4:5], s[2:3]
; %bb.39:                               ;   in Loop: Header=BB107_10 Depth=1
	v_or_b32_e32 v0, 0x10000, v6
	v_cmp_eq_u32_sdwa s[2:3], v6, v51 src0_sel:WORD_0 src1_sel:DWORD
	v_cndmask_b32_e64 v58, v0, v6, s[2:3]
; %bb.40:                               ;   in Loop: Header=BB107_10 Depth=1
	s_or_b64 exec, exec, s[4:5]
	v_and_b32_e32 v0, 0x7f800000, v7
	v_cmp_ne_u32_e64 s[2:3], s10, v0
                                        ; implicit-def: $vgpr59
	s_and_saveexec_b64 s[4:5], s[2:3]
	s_xor_b64 s[2:3], exec, s[4:5]
; %bb.41:                               ;   in Loop: Header=BB107_10 Depth=1
	v_bfe_u32 v0, v7, 16, 1
	v_add3_u32 v59, v7, v0, s11
                                        ; implicit-def: $vgpr0_vgpr1_vgpr2_vgpr3_vgpr4_vgpr5_vgpr6_vgpr7
; %bb.42:                               ;   in Loop: Header=BB107_10 Depth=1
	s_andn2_saveexec_b64 s[4:5], s[2:3]
	s_cbranch_execz .LBB107_9
; %bb.43:                               ;   in Loop: Header=BB107_10 Depth=1
	v_or_b32_e32 v0, 0x10000, v7
	v_cmp_eq_u32_sdwa s[2:3], v7, v51 src0_sel:WORD_0 src1_sel:DWORD
	v_cndmask_b32_e64 v59, v0, v7, s[2:3]
	s_branch .LBB107_9
.LBB107_44:
	s_endpgm
	.section	.rodata,"a",@progbits
	.p2align	6, 0x0
	.amdhsa_kernel _ZN12tensorrt_llm7kernels32fusedQKNormRopeKernelNTokenHeadsIN3c108BFloat16ENS2_4HalfELi256ELb0ELi2EEEvPviiifPKvS7_S7_PKlii
		.amdhsa_group_segment_fixed_size 0
		.amdhsa_private_segment_fixed_size 0
		.amdhsa_kernarg_size 320
		.amdhsa_user_sgpr_count 6
		.amdhsa_user_sgpr_private_segment_buffer 1
		.amdhsa_user_sgpr_dispatch_ptr 0
		.amdhsa_user_sgpr_queue_ptr 0
		.amdhsa_user_sgpr_kernarg_segment_ptr 1
		.amdhsa_user_sgpr_dispatch_id 0
		.amdhsa_user_sgpr_flat_scratch_init 0
		.amdhsa_user_sgpr_kernarg_preload_length 0
		.amdhsa_user_sgpr_kernarg_preload_offset 0
		.amdhsa_user_sgpr_private_segment_size 0
		.amdhsa_uses_dynamic_stack 0
		.amdhsa_system_sgpr_private_segment_wavefront_offset 0
		.amdhsa_system_sgpr_workgroup_id_x 1
		.amdhsa_system_sgpr_workgroup_id_y 0
		.amdhsa_system_sgpr_workgroup_id_z 0
		.amdhsa_system_sgpr_workgroup_info 0
		.amdhsa_system_vgpr_workitem_id 0
		.amdhsa_next_free_vgpr 60
		.amdhsa_next_free_sgpr 24
		.amdhsa_accum_offset 60
		.amdhsa_reserve_vcc 1
		.amdhsa_reserve_flat_scratch 0
		.amdhsa_float_round_mode_32 0
		.amdhsa_float_round_mode_16_64 0
		.amdhsa_float_denorm_mode_32 3
		.amdhsa_float_denorm_mode_16_64 3
		.amdhsa_dx10_clamp 1
		.amdhsa_ieee_mode 1
		.amdhsa_fp16_overflow 0
		.amdhsa_tg_split 0
		.amdhsa_exception_fp_ieee_invalid_op 0
		.amdhsa_exception_fp_denorm_src 0
		.amdhsa_exception_fp_ieee_div_zero 0
		.amdhsa_exception_fp_ieee_overflow 0
		.amdhsa_exception_fp_ieee_underflow 0
		.amdhsa_exception_fp_ieee_inexact 0
		.amdhsa_exception_int_div_zero 0
	.end_amdhsa_kernel
	.section	.text._ZN12tensorrt_llm7kernels32fusedQKNormRopeKernelNTokenHeadsIN3c108BFloat16ENS2_4HalfELi256ELb0ELi2EEEvPviiifPKvS7_S7_PKlii,"axG",@progbits,_ZN12tensorrt_llm7kernels32fusedQKNormRopeKernelNTokenHeadsIN3c108BFloat16ENS2_4HalfELi256ELb0ELi2EEEvPviiifPKvS7_S7_PKlii,comdat
.Lfunc_end107:
	.size	_ZN12tensorrt_llm7kernels32fusedQKNormRopeKernelNTokenHeadsIN3c108BFloat16ENS2_4HalfELi256ELb0ELi2EEEvPviiifPKvS7_S7_PKlii, .Lfunc_end107-_ZN12tensorrt_llm7kernels32fusedQKNormRopeKernelNTokenHeadsIN3c108BFloat16ENS2_4HalfELi256ELb0ELi2EEEvPviiifPKvS7_S7_PKlii
                                        ; -- End function
	.section	.AMDGPU.csdata,"",@progbits
; Kernel info:
; codeLenInByte = 3260
; NumSgprs: 28
; NumVgprs: 60
; NumAgprs: 0
; TotalNumVgprs: 60
; ScratchSize: 0
; MemoryBound: 0
; FloatMode: 240
; IeeeMode: 1
; LDSByteSize: 0 bytes/workgroup (compile time only)
; SGPRBlocks: 3
; VGPRBlocks: 7
; NumSGPRsForWavesPerEU: 28
; NumVGPRsForWavesPerEU: 60
; AccumOffset: 60
; Occupancy: 8
; WaveLimiterHint : 0
; COMPUTE_PGM_RSRC2:SCRATCH_EN: 0
; COMPUTE_PGM_RSRC2:USER_SGPR: 6
; COMPUTE_PGM_RSRC2:TRAP_HANDLER: 0
; COMPUTE_PGM_RSRC2:TGID_X_EN: 1
; COMPUTE_PGM_RSRC2:TGID_Y_EN: 0
; COMPUTE_PGM_RSRC2:TGID_Z_EN: 0
; COMPUTE_PGM_RSRC2:TIDIG_COMP_CNT: 0
; COMPUTE_PGM_RSRC3_GFX90A:ACCUM_OFFSET: 14
; COMPUTE_PGM_RSRC3_GFX90A:TG_SPLIT: 0
	.section	.text._ZN12tensorrt_llm7kernels32fusedQKNormRopeKernelNTokenHeadsIN3c108BFloat16ENS2_4HalfELi64ELb1ELi4EEEvPviiifPKvS7_S7_PKlii,"axG",@progbits,_ZN12tensorrt_llm7kernels32fusedQKNormRopeKernelNTokenHeadsIN3c108BFloat16ENS2_4HalfELi64ELb1ELi4EEEvPviiifPKvS7_S7_PKlii,comdat
	.protected	_ZN12tensorrt_llm7kernels32fusedQKNormRopeKernelNTokenHeadsIN3c108BFloat16ENS2_4HalfELi64ELb1ELi4EEEvPviiifPKvS7_S7_PKlii ; -- Begin function _ZN12tensorrt_llm7kernels32fusedQKNormRopeKernelNTokenHeadsIN3c108BFloat16ENS2_4HalfELi64ELb1ELi4EEEvPviiifPKvS7_S7_PKlii
	.globl	_ZN12tensorrt_llm7kernels32fusedQKNormRopeKernelNTokenHeadsIN3c108BFloat16ENS2_4HalfELi64ELb1ELi4EEEvPviiifPKvS7_S7_PKlii
	.p2align	8
	.type	_ZN12tensorrt_llm7kernels32fusedQKNormRopeKernelNTokenHeadsIN3c108BFloat16ENS2_4HalfELi64ELb1ELi4EEEvPviiifPKvS7_S7_PKlii,@function
_ZN12tensorrt_llm7kernels32fusedQKNormRopeKernelNTokenHeadsIN3c108BFloat16ENS2_4HalfELi64ELb1ELi4EEEvPviiifPKvS7_S7_PKlii: ; @_ZN12tensorrt_llm7kernels32fusedQKNormRopeKernelNTokenHeadsIN3c108BFloat16ENS2_4HalfELi64ELb1ELi4EEEvPviiifPKvS7_S7_PKlii
; %bb.0:
	s_load_dwordx4 s[12:15], s[4:5], 0x8
	s_load_dwordx2 s[2:3], s[4:5], 0x38
	s_load_dword s0, s[4:5], 0x4c
	v_lshrrev_b32_e32 v13, 5, v0
	s_waitcnt lgkmcnt(0)
	s_add_i32 s21, s13, s12
	s_add_i32 s1, s21, 3
	s_ashr_i32 s7, s1, 31
	s_lshr_b32 s7, s7, 30
	s_add_i32 s1, s1, s7
	s_ashr_i32 s20, s1, 2
	s_abs_i32 s1, s20
	v_cvt_f32_u32_e32 v1, s1
	s_bfe_u32 s0, s0, 0xb0005
	s_mul_i32 s6, s6, s0
	v_add_u32_e32 v9, s6, v13
	v_rcp_iflag_f32_e32 v1, v1
	s_sub_i32 s6, 0, s1
	v_sub_u32_e32 v2, 0, v9
	v_max_i32_e32 v2, v9, v2
	v_mul_f32_e32 v1, 0x4f7ffffe, v1
	v_cvt_u32_f32_e32 v1, v1
	v_xor_b32_e32 v3, s20, v9
	v_ashrrev_i32_e32 v3, 31, v3
	v_mul_lo_u32 v4, s6, v1
	v_mul_hi_u32 v4, v1, v4
	v_add_u32_e32 v1, v1, v4
	v_mul_hi_u32 v1, v2, v1
	v_mul_lo_u32 v4, v1, s1
	v_sub_u32_e32 v2, v2, v4
	v_add_u32_e32 v4, 1, v1
	v_cmp_le_u32_e32 vcc, s1, v2
	v_cndmask_b32_e32 v1, v1, v4, vcc
	v_subrev_u32_e32 v4, s1, v2
	v_cndmask_b32_e32 v2, v2, v4, vcc
	v_add_u32_e32 v4, 1, v1
	v_cmp_le_u32_e32 vcc, s1, v2
	v_cndmask_b32_e32 v1, v1, v4, vcc
	v_xor_b32_e32 v1, v1, v3
	v_sub_u32_e32 v2, v1, v3
	v_cmp_gt_i32_e32 vcc, s2, v2
	s_and_saveexec_b64 s[6:7], vcc
	s_cbranch_execz .LBB108_25
; %bb.1:
	v_and_b32_e32 v10, 31, v0
	v_mul_lo_u32 v0, v2, s20
	v_sub_u32_e32 v0, v9, v0
	s_load_dwordx2 s[16:17], s[4:5], 0x0
	v_lshlrev_b32_e32 v0, 2, v0
	v_add_u32_e32 v1, 4, v0
	v_sub_u32_e32 v3, s21, v0
	v_cmp_lt_i32_e32 vcc, s21, v1
	v_cndmask_b32_e32 v8, 4, v3, vcc
	s_lshl_b32 s18, s3, 1
	s_mul_i32 s2, s18, s0
	v_lshlrev_b32_e32 v12, 9, v13
	v_cmp_lt_i32_e64 s[0:1], 0, v8
	v_lshlrev_b32_e32 v4, 1, v10
	v_lshlrev_b32_e32 v11, 2, v10
	s_and_saveexec_b64 s[6:7], s[0:1]
	s_cbranch_execz .LBB108_9
; %bb.2:
	s_mov_b32 s19, 1
	v_cmp_ne_u32_e32 vcc, 1, v8
	s_mov_b64 s[10:11], -1
	v_mov_b32_e32 v1, 0
	s_and_saveexec_b64 s[8:9], vcc
	s_cbranch_execz .LBB108_6
; %bb.3:
	s_add_i32 s21, s21, s14
	s_add_i32 s10, s2, 0
	v_mul_lo_u32 v6, v2, s21
	s_mov_b32 s22, 0
	v_add3_u32 v7, s10, v12, v11
	v_mov_b32_e32 v1, v0
	s_mov_b32 s21, s12
	s_mov_b32 s23, s12
	v_mov_b32_e32 v3, v6
	v_mov_b32_e32 v5, v4
	v_and_b32_e32 v14, 0x7ffffffe, v8
	s_mov_b64 s[10:11], 0
	v_mov_b32_e32 v15, s12
	v_mov_b32_e32 v16, s12
	s_waitcnt lgkmcnt(0)
	v_mov_b32_e32 v17, s17
.LBB108_4:                              ; =>This Inner Loop Header: Depth=1
	v_add_u32_e32 v19, s19, v1
	v_add_u32_e32 v18, s22, v0
	v_cmp_le_i32_e32 vcc, s23, v19
	v_cndmask_b32_e32 v20, 0, v15, vcc
	v_cmp_le_i32_e32 vcc, s21, v18
	v_cndmask_b32_e32 v21, 0, v16, vcc
	v_sub_u32_e32 v18, v18, v21
	v_sub_u32_e32 v19, v19, v20
	v_add3_u32 v18, v6, v21, v18
	v_add3_u32 v19, v3, v20, v19
	v_lshl_or_b32 v18, v18, 6, v4
	v_lshl_or_b32 v20, v19, 6, v5
	v_ashrrev_i32_e32 v19, 31, v18
	v_lshlrev_b64 v[18:19], 1, v[18:19]
	v_ashrrev_i32_e32 v21, 31, v20
	v_add_co_u32_e32 v18, vcc, s16, v18
	v_lshlrev_b64 v[20:21], 1, v[20:21]
	v_addc_co_u32_e32 v19, vcc, v17, v19, vcc
	v_add_co_u32_e32 v20, vcc, s16, v20
	v_addc_co_u32_e32 v21, vcc, v17, v21, vcc
	global_load_dword v22, v[18:19], off
	global_load_dword v23, v[20:21], off
	v_add_u32_e32 v14, -2, v14
	v_lshl_add_u32 v18, s22, 7, v7
	v_lshl_add_u32 v19, s19, 7, v7
	s_add_i32 s22, s22, 2
	s_add_i32 s19, s19, 2
	v_cmp_eq_u32_e32 vcc, 0, v14
	s_or_b64 s[10:11], vcc, s[10:11]
	s_waitcnt vmcnt(1)
	ds_write_b32 v18, v22
	s_waitcnt vmcnt(0)
	ds_write_b32 v19, v23
	s_andn2_b64 exec, exec, s[10:11]
	s_cbranch_execnz .LBB108_4
; %bb.5:
	s_or_b64 exec, exec, s[10:11]
	v_and_b32_e32 v1, 0x7ffffffe, v8
	v_cmp_ne_u32_e32 vcc, v8, v1
	s_orn2_b64 s[10:11], vcc, exec
.LBB108_6:
	s_or_b64 exec, exec, s[8:9]
	s_and_b64 exec, exec, s[10:11]
	s_cbranch_execz .LBB108_9
; %bb.7:
	s_add_i32 s8, s14, s13
	s_add_i32 s8, s8, s12
	s_lshl_b32 s9, s20, 2
	s_sub_i32 s8, s8, s9
	v_mul_lo_u32 v3, s8, v2
	v_lshlrev_b32_e32 v5, 2, v9
	v_add3_u32 v3, v1, v3, v5
	v_lshl_or_b32 v6, v3, 6, v4
	v_lshlrev_b32_e32 v3, 7, v1
	v_add3_u32 v3, s2, v12, v3
	v_add3_u32 v3, v3, v11, 0
	s_mov_b64 s[8:9], 0
	s_waitcnt lgkmcnt(0)
	v_mov_b32_e32 v5, s17
.LBB108_8:                              ; =>This Inner Loop Header: Depth=1
	v_ashrrev_i32_e32 v7, 31, v6
	v_lshlrev_b64 v[14:15], 1, v[6:7]
	v_add_co_u32_e32 v14, vcc, s16, v14
	v_addc_co_u32_e32 v15, vcc, v5, v15, vcc
	global_load_dword v7, v[14:15], off
	v_add_u32_e32 v1, 1, v1
	v_cmp_ge_i32_e32 vcc, v1, v8
	v_add_u32_e32 v6, 64, v6
	s_or_b64 s[8:9], vcc, s[8:9]
	s_waitcnt vmcnt(0)
	ds_write_b32 v3, v7
	v_add_u32_e32 v3, 0x80, v3
	s_andn2_b64 exec, exec, s[8:9]
	s_cbranch_execnz .LBB108_8
.LBB108_9:
	s_or_b64 exec, exec, s[6:7]
	s_add_i32 s18, s18, 15
	s_load_dwordx8 s[4:11], s[4:5], 0x18
	s_ashr_i32 s19, s18, 31
	s_lshr_b32 s19, s19, 28
	s_add_i32 s18, s18, s19
	s_ashr_i32 s21, s18, 4
	v_mul_lo_u32 v1, v13, s3
	v_cmp_gt_i32_e32 vcc, s21, v10
	v_lshlrev_b32_e32 v5, 1, v1
	s_and_saveexec_b64 s[18:19], vcc
	s_cbranch_execz .LBB108_12
; %bb.10:
	v_ashrrev_i32_e32 v3, 31, v2
	v_lshlrev_b64 v[6:7], 3, v[2:3]
	s_waitcnt lgkmcnt(0)
	v_mov_b32_e32 v1, s11
	v_add_co_u32_e32 v6, vcc, s10, v6
	v_addc_co_u32_e32 v7, vcc, v1, v7, vcc
	global_load_dwordx2 v[6:7], v[6:7], off
	s_ashr_i32 s22, s3, 31
	v_lshlrev_b32_e32 v3, 4, v10
	v_add3_u32 v1, v5, v3, 0
	v_mov_b32_e32 v13, s9
	s_mov_b64 s[10:11], 0
	s_waitcnt vmcnt(0)
	v_mul_lo_u32 v14, v7, s3
	v_mul_lo_u32 v15, v6, s22
	v_mad_u64_u32 v[6:7], s[22:23], v6, s3, 0
	v_add3_u32 v7, v7, v15, v14
	v_lshlrev_b64 v[6:7], 1, v[6:7]
	v_add_co_u32_e32 v3, vcc, v6, v3
	v_addc_co_u32_e32 v7, vcc, 0, v7, vcc
	v_add_co_u32_e32 v6, vcc, s8, v3
	v_addc_co_u32_e32 v7, vcc, v13, v7, vcc
	v_mov_b32_e32 v3, v10
.LBB108_11:                             ; =>This Inner Loop Header: Depth=1
	global_load_dwordx4 v[14:17], v[6:7], off
	v_add_co_u32_e32 v6, vcc, 0x200, v6
	v_add_u32_e32 v3, 32, v3
	v_addc_co_u32_e32 v7, vcc, 0, v7, vcc
	v_cmp_le_i32_e32 vcc, s21, v3
	s_or_b64 s[10:11], vcc, s[10:11]
	s_waitcnt vmcnt(0)
	ds_write_b128 v1, v[14:17]
	v_add_u32_e32 v1, 0x200, v1
	s_andn2_b64 exec, exec, s[10:11]
	s_cbranch_execnz .LBB108_11
.LBB108_12:
	s_or_b64 exec, exec, s[18:19]
	s_and_b64 exec, exec, s[0:1]
	s_cbranch_execz .LBB108_25
; %bb.13:
	s_waitcnt lgkmcnt(0)
	global_load_dword v1, v11, s[4:5]
	global_load_dword v6, v11, s[6:7]
	v_mbcnt_lo_u32_b32 v3, -1, 0
	s_lshr_b32 s0, s3, 31
	s_add_i32 s1, s14, s13
	v_add_u32_e32 v13, s2, v12
	v_mbcnt_hi_u32_b32 v3, -1, v3
	s_lshl_b32 s11, s20, 2
	s_add_i32 s0, s3, s0
	s_add_i32 s1, s1, s12
	v_add3_u32 v11, v13, v11, 0
	v_and_b32_e32 v13, 0x60, v3
	v_add3_u32 v7, 0, v5, v4
	s_ashr_i32 s2, s0, 1
	s_and_b32 s0, s0, -2
	v_xor_b32_e32 v14, 16, v3
	s_sub_i32 s1, s1, s11
	v_add_u32_e32 v13, 32, v13
	v_xor_b32_e32 v15, 8, v3
	v_cmp_gt_i32_e32 vcc, s2, v10
	v_add_u32_e32 v10, s0, v7
	v_mul_lo_u32 v2, s1, v2
	v_cmp_lt_i32_e64 s[0:1], v14, v13
	v_xor_b32_e32 v16, 4, v3
	v_cndmask_b32_e64 v14, v3, v14, s[0:1]
	v_cmp_lt_i32_e64 s[0:1], v15, v13
	v_xor_b32_e32 v17, 2, v3
	v_cndmask_b32_e64 v15, v3, v15, s[0:1]
	;; [unrolled: 3-line block ×3, first 2 shown]
	v_cmp_lt_i32_e64 s[0:1], v17, v13
	v_lshlrev_b32_e32 v5, 8, v9
	v_cndmask_b32_e64 v17, v3, v17, s[0:1]
	v_cmp_lt_i32_e64 s[0:1], v18, v13
	v_cndmask_b32_e64 v3, v3, v18, s[0:1]
	v_lshl_add_u32 v2, v2, 6, v5
	s_mov_b32 s6, 0
	s_mov_b64 s[4:5], 0
	s_mov_b32 s7, 0xffff0000
	v_mov_b32_e32 v9, s15
	s_mov_b32 s8, 0x800000
	s_mov_b32 s9, 0x7f800000
	s_movk_i32 s10, 0x7fff
	v_mov_b32_e32 v12, s17
	v_lshlrev_b32_e32 v13, 2, v14
	v_lshlrev_b32_e32 v14, 2, v15
	;; [unrolled: 1-line block ×5, first 2 shown]
	v_or_b32_e32 v2, v2, v4
	v_mov_b32_e32 v20, 0
	s_waitcnt vmcnt(1)
	v_lshrrev_b32_e32 v18, 16, v1
	s_waitcnt vmcnt(0)
	v_lshrrev_b32_e32 v19, 16, v6
	s_branch .LBB108_15
.LBB108_14:                             ;   in Loop: Header=BB108_15 Depth=1
	s_or_b64 exec, exec, s[2:3]
	v_lshrrev_b32_e32 v3, 16, v3
	v_and_or_b32 v21, v4, s7, v3
	v_ashrrev_i32_e32 v3, 31, v2
	v_lshlrev_b64 v[4:5], 1, v[2:3]
	v_add_co_u32_e64 v4, s[0:1], s16, v4
	v_addc_co_u32_e64 v5, s[0:1], v12, v5, s[0:1]
	s_add_i32 s6, s6, 1
	v_cmp_ge_i32_e64 s[0:1], s6, v8
	v_add_u32_e32 v2, 64, v2
	s_or_b64 s[4:5], s[0:1], s[4:5]
	v_add_u32_e32 v11, 0x80, v11
	global_store_dword v[4:5], v21, off
	s_andn2_b64 exec, exec, s[4:5]
	s_cbranch_execz .LBB108_25
.LBB108_15:                             ; =>This Inner Loop Header: Depth=1
	ds_read_b32 v3, v11
	s_waitcnt lgkmcnt(0)
	v_and_b32_e32 v5, 0xffff0000, v3
	v_lshlrev_b32_e32 v4, 16, v3
	v_pk_mul_f32 v[22:23], v[4:5], v[4:5]
	v_add_f32_e32 v3, v23, v22
	ds_bpermute_b32 v21, v13, v3
	v_mov_b32_e32 v23, v9
	v_add_u32_e32 v22, s6, v0
	v_cmp_gt_i32_e64 s[2:3], s12, v22
	v_cndmask_b32_e64 v22, v6, v1, s[2:3]
	s_waitcnt lgkmcnt(0)
	v_add_f32_e32 v3, v3, v21
	ds_bpermute_b32 v21, v14, v3
	v_lshlrev_b32_e32 v22, 16, v22
	s_waitcnt lgkmcnt(0)
	v_add_f32_e32 v3, v3, v21
	ds_bpermute_b32 v21, v15, v3
	s_waitcnt lgkmcnt(0)
	v_add_f32_e32 v3, v3, v21
	ds_bpermute_b32 v21, v16, v3
	;; [unrolled: 3-line block ×3, first 2 shown]
	s_waitcnt lgkmcnt(0)
	v_add_f32_e32 v3, v3, v21
	v_fmac_f32_e32 v23, 0x3c800000, v3
	v_mul_f32_e32 v3, 0x4b800000, v23
	v_cmp_gt_f32_e64 s[0:1], s8, v23
	v_cndmask_b32_e64 v3, v23, v3, s[0:1]
	v_rsq_f32_e32 v3, v3
	v_cndmask_b32_e64 v21, v19, v18, s[2:3]
	v_lshlrev_b32_e32 v23, 16, v21
	v_mul_f32_e32 v21, 0x45800000, v3
	v_cndmask_b32_e64 v24, v3, v21, s[0:1]
	v_pk_mul_f32 v[22:23], v[24:25], v[22:23] op_sel_hi:[0,1]
	v_pk_mul_f32 v[4:5], v[22:23], v[4:5]
	s_and_saveexec_b64 s[0:1], vcc
	s_cbranch_execz .LBB108_17
; %bb.16:                               ;   in Loop: Header=BB108_15 Depth=1
	ds_read_u16 v3, v7
	ds_read_u16 v21, v10
	s_waitcnt lgkmcnt(1)
	v_cvt_f32_f16_e32 v23, v3
	s_waitcnt lgkmcnt(0)
	v_cvt_f32_f16_e32 v22, v21
	v_pk_mul_f32 v[24:25], v[4:5], v[22:23]
	v_mov_b32_e32 v3, v24
	v_mul_f32_e32 v25, v4, v23
	v_pk_fma_f32 v[22:23], v[4:5], v[22:23], v[2:3]
	v_fma_mix_f32 v4, -v5, v21, v25 op_sel_hi:[0,1,0]
	v_mov_b32_e32 v5, v23
.LBB108_17:                             ;   in Loop: Header=BB108_15 Depth=1
	s_or_b64 exec, exec, s[0:1]
	v_and_b32_e32 v3, 0x7f800000, v4
	v_cmp_ne_u32_e64 s[0:1], s9, v3
                                        ; implicit-def: $vgpr3
	s_and_saveexec_b64 s[2:3], s[0:1]
	s_xor_b64 s[0:1], exec, s[2:3]
; %bb.18:                               ;   in Loop: Header=BB108_15 Depth=1
	v_bfe_u32 v3, v4, 16, 1
	v_add3_u32 v3, v4, v3, s10
; %bb.19:                               ;   in Loop: Header=BB108_15 Depth=1
	s_andn2_saveexec_b64 s[2:3], s[0:1]
; %bb.20:                               ;   in Loop: Header=BB108_15 Depth=1
	v_or_b32_e32 v3, 0x10000, v4
	v_cmp_eq_u32_sdwa s[0:1], v4, v20 src0_sel:WORD_0 src1_sel:DWORD
	v_cndmask_b32_e64 v3, v3, v4, s[0:1]
; %bb.21:                               ;   in Loop: Header=BB108_15 Depth=1
	s_or_b64 exec, exec, s[2:3]
	v_and_b32_e32 v4, 0x7f800000, v5
	v_cmp_ne_u32_e64 s[0:1], s9, v4
                                        ; implicit-def: $vgpr4
	s_and_saveexec_b64 s[2:3], s[0:1]
	s_xor_b64 s[0:1], exec, s[2:3]
; %bb.22:                               ;   in Loop: Header=BB108_15 Depth=1
	v_bfe_u32 v4, v5, 16, 1
	v_add3_u32 v4, v5, v4, s10
                                        ; implicit-def: $vgpr5
; %bb.23:                               ;   in Loop: Header=BB108_15 Depth=1
	s_andn2_saveexec_b64 s[2:3], s[0:1]
	s_cbranch_execz .LBB108_14
; %bb.24:                               ;   in Loop: Header=BB108_15 Depth=1
	v_or_b32_e32 v4, 0x10000, v5
	v_cmp_eq_u32_sdwa s[0:1], v5, v20 src0_sel:WORD_0 src1_sel:DWORD
	v_cndmask_b32_e64 v4, v4, v5, s[0:1]
	s_branch .LBB108_14
.LBB108_25:
	s_endpgm
	.section	.rodata,"a",@progbits
	.p2align	6, 0x0
	.amdhsa_kernel _ZN12tensorrt_llm7kernels32fusedQKNormRopeKernelNTokenHeadsIN3c108BFloat16ENS2_4HalfELi64ELb1ELi4EEEvPviiifPKvS7_S7_PKlii
		.amdhsa_group_segment_fixed_size 0
		.amdhsa_private_segment_fixed_size 0
		.amdhsa_kernarg_size 320
		.amdhsa_user_sgpr_count 6
		.amdhsa_user_sgpr_private_segment_buffer 1
		.amdhsa_user_sgpr_dispatch_ptr 0
		.amdhsa_user_sgpr_queue_ptr 0
		.amdhsa_user_sgpr_kernarg_segment_ptr 1
		.amdhsa_user_sgpr_dispatch_id 0
		.amdhsa_user_sgpr_flat_scratch_init 0
		.amdhsa_user_sgpr_kernarg_preload_length 0
		.amdhsa_user_sgpr_kernarg_preload_offset 0
		.amdhsa_user_sgpr_private_segment_size 0
		.amdhsa_uses_dynamic_stack 0
		.amdhsa_system_sgpr_private_segment_wavefront_offset 0
		.amdhsa_system_sgpr_workgroup_id_x 1
		.amdhsa_system_sgpr_workgroup_id_y 0
		.amdhsa_system_sgpr_workgroup_id_z 0
		.amdhsa_system_sgpr_workgroup_info 0
		.amdhsa_system_vgpr_workitem_id 0
		.amdhsa_next_free_vgpr 26
		.amdhsa_next_free_sgpr 24
		.amdhsa_accum_offset 28
		.amdhsa_reserve_vcc 1
		.amdhsa_reserve_flat_scratch 0
		.amdhsa_float_round_mode_32 0
		.amdhsa_float_round_mode_16_64 0
		.amdhsa_float_denorm_mode_32 3
		.amdhsa_float_denorm_mode_16_64 3
		.amdhsa_dx10_clamp 1
		.amdhsa_ieee_mode 1
		.amdhsa_fp16_overflow 0
		.amdhsa_tg_split 0
		.amdhsa_exception_fp_ieee_invalid_op 0
		.amdhsa_exception_fp_denorm_src 0
		.amdhsa_exception_fp_ieee_div_zero 0
		.amdhsa_exception_fp_ieee_overflow 0
		.amdhsa_exception_fp_ieee_underflow 0
		.amdhsa_exception_fp_ieee_inexact 0
		.amdhsa_exception_int_div_zero 0
	.end_amdhsa_kernel
	.section	.text._ZN12tensorrt_llm7kernels32fusedQKNormRopeKernelNTokenHeadsIN3c108BFloat16ENS2_4HalfELi64ELb1ELi4EEEvPviiifPKvS7_S7_PKlii,"axG",@progbits,_ZN12tensorrt_llm7kernels32fusedQKNormRopeKernelNTokenHeadsIN3c108BFloat16ENS2_4HalfELi64ELb1ELi4EEEvPviiifPKvS7_S7_PKlii,comdat
.Lfunc_end108:
	.size	_ZN12tensorrt_llm7kernels32fusedQKNormRopeKernelNTokenHeadsIN3c108BFloat16ENS2_4HalfELi64ELb1ELi4EEEvPviiifPKvS7_S7_PKlii, .Lfunc_end108-_ZN12tensorrt_llm7kernels32fusedQKNormRopeKernelNTokenHeadsIN3c108BFloat16ENS2_4HalfELi64ELb1ELi4EEEvPviiifPKvS7_S7_PKlii
                                        ; -- End function
	.section	.AMDGPU.csdata,"",@progbits
; Kernel info:
; codeLenInByte = 1872
; NumSgprs: 28
; NumVgprs: 26
; NumAgprs: 0
; TotalNumVgprs: 26
; ScratchSize: 0
; MemoryBound: 0
; FloatMode: 240
; IeeeMode: 1
; LDSByteSize: 0 bytes/workgroup (compile time only)
; SGPRBlocks: 3
; VGPRBlocks: 3
; NumSGPRsForWavesPerEU: 28
; NumVGPRsForWavesPerEU: 26
; AccumOffset: 28
; Occupancy: 8
; WaveLimiterHint : 0
; COMPUTE_PGM_RSRC2:SCRATCH_EN: 0
; COMPUTE_PGM_RSRC2:USER_SGPR: 6
; COMPUTE_PGM_RSRC2:TRAP_HANDLER: 0
; COMPUTE_PGM_RSRC2:TGID_X_EN: 1
; COMPUTE_PGM_RSRC2:TGID_Y_EN: 0
; COMPUTE_PGM_RSRC2:TGID_Z_EN: 0
; COMPUTE_PGM_RSRC2:TIDIG_COMP_CNT: 0
; COMPUTE_PGM_RSRC3_GFX90A:ACCUM_OFFSET: 6
; COMPUTE_PGM_RSRC3_GFX90A:TG_SPLIT: 0
	.section	.text._ZN12tensorrt_llm7kernels32fusedQKNormRopeKernelNTokenHeadsIN3c108BFloat16ENS2_4HalfELi64ELb0ELi4EEEvPviiifPKvS7_S7_PKlii,"axG",@progbits,_ZN12tensorrt_llm7kernels32fusedQKNormRopeKernelNTokenHeadsIN3c108BFloat16ENS2_4HalfELi64ELb0ELi4EEEvPviiifPKvS7_S7_PKlii,comdat
	.protected	_ZN12tensorrt_llm7kernels32fusedQKNormRopeKernelNTokenHeadsIN3c108BFloat16ENS2_4HalfELi64ELb0ELi4EEEvPviiifPKvS7_S7_PKlii ; -- Begin function _ZN12tensorrt_llm7kernels32fusedQKNormRopeKernelNTokenHeadsIN3c108BFloat16ENS2_4HalfELi64ELb0ELi4EEEvPviiifPKvS7_S7_PKlii
	.globl	_ZN12tensorrt_llm7kernels32fusedQKNormRopeKernelNTokenHeadsIN3c108BFloat16ENS2_4HalfELi64ELb0ELi4EEEvPviiifPKvS7_S7_PKlii
	.p2align	8
	.type	_ZN12tensorrt_llm7kernels32fusedQKNormRopeKernelNTokenHeadsIN3c108BFloat16ENS2_4HalfELi64ELb0ELi4EEEvPviiifPKvS7_S7_PKlii,@function
_ZN12tensorrt_llm7kernels32fusedQKNormRopeKernelNTokenHeadsIN3c108BFloat16ENS2_4HalfELi64ELb0ELi4EEEvPviiifPKvS7_S7_PKlii: ; @_ZN12tensorrt_llm7kernels32fusedQKNormRopeKernelNTokenHeadsIN3c108BFloat16ENS2_4HalfELi64ELb0ELi4EEEvPviiifPKvS7_S7_PKlii
; %bb.0:
	s_load_dwordx4 s[12:15], s[4:5], 0x8
	s_load_dwordx2 s[2:3], s[4:5], 0x38
	s_load_dword s0, s[4:5], 0x4c
	v_lshrrev_b32_e32 v12, 5, v0
	s_waitcnt lgkmcnt(0)
	s_add_i32 s19, s13, s12
	s_add_i32 s1, s19, 3
	s_ashr_i32 s7, s1, 31
	s_lshr_b32 s7, s7, 30
	s_add_i32 s1, s1, s7
	s_ashr_i32 s21, s1, 2
	s_abs_i32 s1, s21
	v_cvt_f32_u32_e32 v1, s1
	s_bfe_u32 s0, s0, 0xb0005
	s_mul_i32 s6, s6, s0
	v_add_u32_e32 v8, s6, v12
	v_rcp_iflag_f32_e32 v1, v1
	s_sub_i32 s6, 0, s1
	v_sub_u32_e32 v2, 0, v8
	v_max_i32_e32 v2, v8, v2
	v_mul_f32_e32 v1, 0x4f7ffffe, v1
	v_cvt_u32_f32_e32 v1, v1
	v_xor_b32_e32 v3, s21, v8
	v_ashrrev_i32_e32 v3, 31, v3
	v_mul_lo_u32 v4, s6, v1
	v_mul_hi_u32 v4, v1, v4
	v_add_u32_e32 v1, v1, v4
	v_mul_hi_u32 v1, v2, v1
	v_mul_lo_u32 v4, v1, s1
	v_sub_u32_e32 v2, v2, v4
	v_add_u32_e32 v4, 1, v1
	v_cmp_le_u32_e32 vcc, s1, v2
	v_cndmask_b32_e32 v1, v1, v4, vcc
	v_subrev_u32_e32 v4, s1, v2
	v_cndmask_b32_e32 v2, v2, v4, vcc
	v_add_u32_e32 v4, 1, v1
	v_cmp_le_u32_e32 vcc, s1, v2
	v_cndmask_b32_e32 v1, v1, v4, vcc
	v_xor_b32_e32 v1, v1, v3
	v_sub_u32_e32 v2, v1, v3
	v_cmp_gt_i32_e32 vcc, s2, v2
	s_and_saveexec_b64 s[6:7], vcc
	s_cbranch_execz .LBB109_25
; %bb.1:
	v_and_b32_e32 v9, 31, v0
	v_mul_lo_u32 v0, v2, s21
	v_sub_u32_e32 v0, v8, v0
	s_load_dwordx2 s[16:17], s[4:5], 0x0
	v_lshlrev_b32_e32 v0, 2, v0
	v_add_u32_e32 v1, 4, v0
	v_sub_u32_e32 v3, s19, v0
	v_cmp_lt_i32_e32 vcc, s19, v1
	v_cndmask_b32_e32 v7, 4, v3, vcc
	s_lshl_b32 s2, s3, 1
	s_mul_i32 s20, s2, s0
	v_lshlrev_b32_e32 v10, 9, v12
	v_cmp_lt_i32_e64 s[0:1], 0, v7
	v_lshlrev_b32_e32 v11, 2, v9
	s_and_saveexec_b64 s[6:7], s[0:1]
	s_cbranch_execz .LBB109_9
; %bb.2:
	s_mov_b32 s18, 1
	v_lshlrev_b32_e32 v4, 1, v9
	v_cmp_ne_u32_e32 vcc, 1, v7
	s_mov_b64 s[10:11], -1
	v_mov_b32_e32 v1, 0
	s_and_saveexec_b64 s[8:9], vcc
	s_cbranch_execz .LBB109_6
; %bb.3:
	s_add_i32 s19, s19, s14
	s_add_i32 s10, s20, 0
	v_mul_lo_u32 v6, v2, s19
	s_mov_b32 s22, 0
	v_add3_u32 v13, s10, v10, v11
	v_mov_b32_e32 v1, v0
	s_mov_b32 s19, s12
	s_mov_b32 s23, s12
	v_mov_b32_e32 v3, v6
	v_mov_b32_e32 v5, v4
	v_and_b32_e32 v14, 0x7ffffffe, v7
	s_mov_b64 s[10:11], 0
	v_mov_b32_e32 v15, s12
	v_mov_b32_e32 v16, s12
	s_waitcnt lgkmcnt(0)
	v_mov_b32_e32 v17, s17
.LBB109_4:                              ; =>This Inner Loop Header: Depth=1
	v_add_u32_e32 v19, s18, v1
	v_add_u32_e32 v18, s22, v0
	v_cmp_le_i32_e32 vcc, s23, v19
	v_cndmask_b32_e32 v20, 0, v15, vcc
	v_cmp_le_i32_e32 vcc, s19, v18
	v_cndmask_b32_e32 v21, 0, v16, vcc
	v_sub_u32_e32 v18, v18, v21
	v_sub_u32_e32 v19, v19, v20
	v_add3_u32 v18, v6, v21, v18
	v_add3_u32 v19, v3, v20, v19
	v_lshl_or_b32 v18, v18, 6, v4
	v_lshl_or_b32 v20, v19, 6, v5
	v_ashrrev_i32_e32 v19, 31, v18
	v_lshlrev_b64 v[18:19], 1, v[18:19]
	v_ashrrev_i32_e32 v21, 31, v20
	v_add_co_u32_e32 v18, vcc, s16, v18
	v_lshlrev_b64 v[20:21], 1, v[20:21]
	v_addc_co_u32_e32 v19, vcc, v17, v19, vcc
	v_add_co_u32_e32 v20, vcc, s16, v20
	v_addc_co_u32_e32 v21, vcc, v17, v21, vcc
	global_load_dword v22, v[18:19], off
	global_load_dword v23, v[20:21], off
	v_add_u32_e32 v14, -2, v14
	v_lshl_add_u32 v18, s22, 7, v13
	v_lshl_add_u32 v19, s18, 7, v13
	s_add_i32 s22, s22, 2
	s_add_i32 s18, s18, 2
	v_cmp_eq_u32_e32 vcc, 0, v14
	s_or_b64 s[10:11], vcc, s[10:11]
	s_waitcnt vmcnt(1)
	ds_write_b32 v18, v22
	s_waitcnt vmcnt(0)
	ds_write_b32 v19, v23
	s_andn2_b64 exec, exec, s[10:11]
	s_cbranch_execnz .LBB109_4
; %bb.5:
	s_or_b64 exec, exec, s[10:11]
	v_and_b32_e32 v1, 0x7ffffffe, v7
	v_cmp_ne_u32_e32 vcc, v7, v1
	s_orn2_b64 s[10:11], vcc, exec
.LBB109_6:
	s_or_b64 exec, exec, s[8:9]
	s_and_b64 exec, exec, s[10:11]
	s_cbranch_execz .LBB109_9
; %bb.7:
	s_add_i32 s8, s14, s13
	s_add_i32 s8, s8, s12
	s_lshl_b32 s9, s21, 2
	s_sub_i32 s8, s8, s9
	v_mul_lo_u32 v3, s8, v2
	v_lshlrev_b32_e32 v5, 2, v8
	v_add3_u32 v3, v1, v3, v5
	v_lshl_or_b32 v4, v3, 6, v4
	v_lshlrev_b32_e32 v3, 7, v1
	v_add3_u32 v3, s20, v10, v3
	v_add3_u32 v3, v3, v11, 0
	s_mov_b64 s[8:9], 0
	s_waitcnt lgkmcnt(0)
	v_mov_b32_e32 v6, s17
.LBB109_8:                              ; =>This Inner Loop Header: Depth=1
	v_ashrrev_i32_e32 v5, 31, v4
	v_lshlrev_b64 v[14:15], 1, v[4:5]
	v_add_co_u32_e32 v14, vcc, s16, v14
	v_addc_co_u32_e32 v15, vcc, v6, v15, vcc
	global_load_dword v5, v[14:15], off
	v_add_u32_e32 v1, 1, v1
	v_cmp_ge_i32_e32 vcc, v1, v7
	v_add_u32_e32 v4, 64, v4
	s_or_b64 s[8:9], vcc, s[8:9]
	s_waitcnt vmcnt(0)
	ds_write_b32 v3, v5
	v_add_u32_e32 v3, 0x80, v3
	s_andn2_b64 exec, exec, s[8:9]
	s_cbranch_execnz .LBB109_8
.LBB109_9:
	s_or_b64 exec, exec, s[6:7]
	s_add_i32 s2, s2, 15
	s_load_dwordx8 s[4:11], s[4:5], 0x18
	s_ashr_i32 s18, s2, 31
	s_lshr_b32 s18, s18, 28
	s_add_i32 s2, s2, s18
	s_ashr_i32 s2, s2, 4
	v_cmp_gt_i32_e32 vcc, s2, v9
	v_mul_lo_u32 v12, v12, s3
	s_and_saveexec_b64 s[18:19], vcc
	s_cbranch_execz .LBB109_12
; %bb.10:
	v_ashrrev_i32_e32 v3, 31, v2
	v_lshlrev_b64 v[4:5], 3, v[2:3]
	s_waitcnt lgkmcnt(0)
	v_mov_b32_e32 v1, s11
	v_add_co_u32_e32 v4, vcc, s10, v4
	v_addc_co_u32_e32 v5, vcc, v1, v5, vcc
	global_load_dwordx2 v[4:5], v[4:5], off
	s_ashr_i32 s22, s3, 31
	v_lshlrev_b32_e32 v1, 1, v12
	v_lshlrev_b32_e32 v3, 4, v9
	v_add3_u32 v1, v1, v3, 0
	v_mov_b32_e32 v6, s9
	s_mov_b64 s[10:11], 0
	s_waitcnt vmcnt(0)
	v_mul_lo_u32 v13, v5, s3
	v_mul_lo_u32 v14, v4, s22
	v_mad_u64_u32 v[4:5], s[22:23], v4, s3, 0
	v_add3_u32 v5, v5, v14, v13
	v_lshlrev_b64 v[4:5], 1, v[4:5]
	v_add_co_u32_e32 v3, vcc, v4, v3
	v_addc_co_u32_e32 v5, vcc, 0, v5, vcc
	v_add_co_u32_e32 v4, vcc, s8, v3
	v_addc_co_u32_e32 v5, vcc, v6, v5, vcc
	v_mov_b32_e32 v3, v9
.LBB109_11:                             ; =>This Inner Loop Header: Depth=1
	global_load_dwordx4 v[14:17], v[4:5], off
	v_add_co_u32_e32 v4, vcc, 0x200, v4
	v_add_u32_e32 v3, 32, v3
	v_addc_co_u32_e32 v5, vcc, 0, v5, vcc
	v_cmp_le_i32_e32 vcc, s2, v3
	s_or_b64 s[10:11], vcc, s[10:11]
	s_waitcnt vmcnt(0)
	ds_write_b128 v1, v[14:17]
	v_add_u32_e32 v1, 0x200, v1
	s_andn2_b64 exec, exec, s[10:11]
	s_cbranch_execnz .LBB109_11
.LBB109_12:
	s_or_b64 exec, exec, s[18:19]
	s_and_b64 exec, exec, s[0:1]
	s_cbranch_execz .LBB109_25
; %bb.13:
	s_waitcnt lgkmcnt(0)
	global_load_dword v1, v11, s[4:5]
	global_load_dword v6, v11, s[6:7]
	v_mbcnt_lo_u32_b32 v4, -1, 0
	s_abs_i32 s4, s3
	s_lshr_b32 s0, s3, 31
	v_mbcnt_hi_u32_b32 v4, -1, v4
	v_cvt_f32_u32_e32 v14, s4
	v_lshl_add_u32 v3, v12, 1, 0
	s_add_i32 s1, s14, s13
	s_add_i32 s0, s3, s0
	v_and_b32_e32 v12, 0x60, v4
	s_add_i32 s7, s1, s12
	s_ashr_i32 s1, s0, 1
	s_and_b32 s0, s0, -2
	v_xor_b32_e32 v13, 16, v4
	v_add_u32_e32 v12, 32, v12
	v_xor_b32_e32 v15, 8, v4
	v_add_u32_e32 v21, s0, v3
	v_cmp_gt_i32_e32 vcc, s1, v9
	s_lshr_b32 s2, s1, 1
	v_cmp_lt_i32_e64 s[0:1], v13, v12
	v_xor_b32_e32 v16, 4, v4
	v_cndmask_b32_e64 v13, v4, v13, s[0:1]
	v_cmp_lt_i32_e64 s[0:1], v15, v12
	v_rcp_iflag_f32_e32 v22, v14
	v_xor_b32_e32 v17, 2, v4
	v_cndmask_b32_e64 v15, v4, v15, s[0:1]
	v_cmp_lt_i32_e64 s[0:1], v16, v12
	v_xor_b32_e32 v18, 1, v4
	v_cndmask_b32_e64 v16, v4, v16, s[0:1]
	v_cmp_lt_i32_e64 s[0:1], v17, v12
	v_cndmask_b32_e64 v17, v4, v17, s[0:1]
	v_cmp_lt_i32_e64 s[0:1], v18, v12
	v_cndmask_b32_e64 v18, v4, v18, s[0:1]
	v_lshlrev_b32_e32 v12, 2, v13
	v_lshlrev_b32_e32 v13, 2, v15
	;; [unrolled: 1-line block ×3, first 2 shown]
	v_mul_f32_e32 v17, 0x4f7ffffe, v22
	v_and_b32_e32 v19, 64, v4
	v_lshlrev_b32_e32 v14, 2, v16
	v_lshlrev_b32_e32 v16, 2, v18
	v_cvt_u32_f32_e32 v18, v17
	v_add_u32_e32 v19, 64, v19
	v_xor_b32_e32 v20, s2, v4
	v_cmp_gt_u32_e64 s[0:1], s2, v9
	v_cmp_lt_i32_e64 s[2:3], v20, v19
	s_sub_i32 s6, 0, s4
	v_cndmask_b32_e64 v4, v4, v20, s[2:3]
	v_lshlrev_b32_e32 v17, 2, v4
	v_mul_lo_u32 v4, s6, v18
	v_mul_hi_u32 v4, v18, v4
	v_add_u32_e32 v4, v18, v4
	v_or_b32_e32 v5, 2, v11
	v_mul_hi_u32 v18, v11, v4
	v_mul_hi_u32 v4, v5, v4
	v_mul_lo_u32 v18, v18, s4
	v_mul_lo_u32 v4, v4, s4
	v_sub_u32_e32 v18, v11, v18
	v_sub_u32_e32 v4, v5, v4
	v_subrev_u32_e32 v5, s4, v18
	v_cmp_le_u32_e64 s[2:3], s4, v18
	v_subrev_u32_e32 v19, s4, v4
	v_cndmask_b32_e64 v5, v18, v5, s[2:3]
	v_cmp_le_u32_e64 s[2:3], s4, v4
	v_cndmask_b32_e64 v4, v4, v19, s[2:3]
	v_subrev_u32_e32 v18, s4, v5
	v_cmp_le_u32_e64 s[2:3], s4, v5
	v_subrev_u32_e32 v19, s4, v4
	v_cndmask_b32_e64 v5, v5, v18, s[2:3]
	v_cmp_le_u32_e64 s[2:3], s4, v4
	s_lshl_b32 s5, s21, 2
	v_cndmask_b32_e64 v4, v4, v19, s[2:3]
	v_and_b32_e32 v5, -2, v5
	v_and_b32_e32 v4, -2, v4
	s_sub_i32 s2, s7, s5
	v_add_u32_e32 v18, v3, v5
	v_add_u32_e32 v20, v3, v4
	v_mul_lo_u32 v2, s2, v2
	v_lshlrev_b32_e32 v3, 8, v8
	v_lshl_add_u32 v2, v2, 6, v3
	v_add_u32_e32 v3, s20, v10
	s_mov_b32 s8, 0
	v_add_u32_e32 v19, v21, v5
	v_add_u32_e32 v21, v21, v4
	s_waitcnt vmcnt(1)
	v_lshrrev_b32_e32 v22, 16, v1
	s_waitcnt vmcnt(0)
	v_lshrrev_b32_e32 v23, 16, v6
	v_lshl_or_b32 v2, v9, 1, v2
	v_add3_u32 v8, v3, v11, 0
	s_mov_b64 s[6:7], 0
	s_mov_b32 s9, 0xffff0000
	v_mov_b32_e32 v9, s15
	s_mov_b32 s10, 0x800000
	s_mov_b32 s11, 0x7f800000
	s_movk_i32 s13, 0x7fff
	v_mov_b32_e32 v10, 0
	s_branch .LBB109_15
.LBB109_14:                             ;   in Loop: Header=BB109_15 Depth=1
	s_or_b64 exec, exec, s[4:5]
	v_lshrrev_b32_e32 v3, 16, v3
	v_and_or_b32 v11, v11, s9, v3
	v_ashrrev_i32_e32 v3, 31, v2
	v_lshlrev_b64 v[4:5], 1, v[2:3]
	v_mov_b32_e32 v3, s17
	v_add_co_u32_e64 v4, s[2:3], s16, v4
	v_addc_co_u32_e64 v5, s[2:3], v3, v5, s[2:3]
	s_add_i32 s8, s8, 1
	v_cmp_ge_i32_e64 s[2:3], s8, v7
	v_add_u32_e32 v2, 64, v2
	s_or_b64 s[6:7], s[2:3], s[6:7]
	v_add_u32_e32 v8, 0x80, v8
	global_store_dword v[4:5], v11, off
	s_andn2_b64 exec, exec, s[6:7]
	s_cbranch_execz .LBB109_25
.LBB109_15:                             ; =>This Inner Loop Header: Depth=1
	ds_read_b32 v3, v8
	v_mov_b32_e32 v11, v9
	s_waitcnt lgkmcnt(0)
	v_and_b32_e32 v24, 0xffff0000, v3
	v_lshlrev_b32_e32 v25, 16, v3
	v_pk_mul_f32 v[4:5], v[24:25], v[24:25]
	v_add_f32_e32 v3, v4, v5
	ds_bpermute_b32 v4, v12, v3
	v_add_u32_e32 v5, s8, v0
	v_cmp_gt_i32_e64 s[2:3], s12, v5
	v_cndmask_b32_e64 v5, v6, v1, s[2:3]
	s_waitcnt lgkmcnt(0)
	v_add_f32_e32 v3, v3, v4
	ds_bpermute_b32 v4, v13, v3
	s_waitcnt lgkmcnt(0)
	v_add_f32_e32 v3, v3, v4
	ds_bpermute_b32 v4, v14, v3
	;; [unrolled: 3-line block ×4, first 2 shown]
	s_waitcnt lgkmcnt(0)
	v_add_f32_e32 v3, v3, v4
	v_fmac_f32_e32 v11, 0x3c800000, v3
	v_mul_f32_e32 v3, 0x4b800000, v11
	v_cmp_gt_f32_e64 s[4:5], s10, v11
	v_cndmask_b32_e64 v3, v11, v3, s[4:5]
	v_rsq_f32_e32 v3, v3
	v_lshlrev_b32_e32 v4, 16, v5
	v_cndmask_b32_e64 v5, v23, v22, s[2:3]
	v_lshlrev_b32_e32 v5, 16, v5
	v_mul_f32_e32 v11, 0x45800000, v3
	v_cndmask_b32_e64 v3, v3, v11, s[4:5]
	v_mul_f32_e32 v4, v3, v4
	v_mul_f32_e32 v3, v3, v5
	;; [unrolled: 1-line block ×4, first 2 shown]
	s_and_saveexec_b64 s[2:3], vcc
	s_cbranch_execz .LBB109_17
; %bb.16:                               ;   in Loop: Header=BB109_15 Depth=1
	; wave barrier
	ds_read_u16 v3, v19
	ds_read_u16 v11, v18
	ds_bpermute_b32 v24, v17, v4
	ds_read_u16 v25, v21
	ds_read_u16 v26, v20
	ds_bpermute_b32 v27, v17, v5
	s_waitcnt lgkmcnt(5)
	v_cvt_f32_f16_e32 v3, v3
	s_waitcnt lgkmcnt(2)
	v_cvt_f32_f16_e32 v25, v25
	v_cndmask_b32_e64 v24, v24, -v24, s[0:1]
	v_mul_f32_e32 v3, v24, v3
	v_fma_mix_f32 v4, v4, v11, v3 op_sel_hi:[0,1,0]
	s_waitcnt lgkmcnt(0)
	v_cndmask_b32_e64 v3, v27, -v27, s[0:1]
	v_mul_f32_e32 v3, v3, v25
	v_fma_mix_f32 v5, v5, v26, v3 op_sel_hi:[0,1,0]
	; wave barrier
.LBB109_17:                             ;   in Loop: Header=BB109_15 Depth=1
	s_or_b64 exec, exec, s[2:3]
	v_and_b32_e32 v3, 0x7f800000, v4
	v_cmp_ne_u32_e64 s[2:3], s11, v3
                                        ; implicit-def: $vgpr3
	s_and_saveexec_b64 s[4:5], s[2:3]
	s_xor_b64 s[2:3], exec, s[4:5]
; %bb.18:                               ;   in Loop: Header=BB109_15 Depth=1
	v_bfe_u32 v3, v4, 16, 1
	v_add3_u32 v3, v4, v3, s13
; %bb.19:                               ;   in Loop: Header=BB109_15 Depth=1
	s_andn2_saveexec_b64 s[4:5], s[2:3]
; %bb.20:                               ;   in Loop: Header=BB109_15 Depth=1
	v_or_b32_e32 v3, 0x10000, v4
	v_cmp_eq_u32_sdwa s[2:3], v4, v10 src0_sel:WORD_0 src1_sel:DWORD
	v_cndmask_b32_e64 v3, v3, v4, s[2:3]
; %bb.21:                               ;   in Loop: Header=BB109_15 Depth=1
	s_or_b64 exec, exec, s[4:5]
	v_and_b32_e32 v4, 0x7f800000, v5
	v_cmp_ne_u32_e64 s[2:3], s11, v4
                                        ; implicit-def: $vgpr11
	s_and_saveexec_b64 s[4:5], s[2:3]
	s_xor_b64 s[2:3], exec, s[4:5]
; %bb.22:                               ;   in Loop: Header=BB109_15 Depth=1
	v_bfe_u32 v4, v5, 16, 1
	v_add3_u32 v11, v5, v4, s13
                                        ; implicit-def: $vgpr4_vgpr5
; %bb.23:                               ;   in Loop: Header=BB109_15 Depth=1
	s_andn2_saveexec_b64 s[4:5], s[2:3]
	s_cbranch_execz .LBB109_14
; %bb.24:                               ;   in Loop: Header=BB109_15 Depth=1
	v_or_b32_e32 v4, 0x10000, v5
	v_cmp_eq_u32_sdwa s[2:3], v5, v10 src0_sel:WORD_0 src1_sel:DWORD
	v_cndmask_b32_e64 v11, v4, v5, s[2:3]
	s_branch .LBB109_14
.LBB109_25:
	s_endpgm
	.section	.rodata,"a",@progbits
	.p2align	6, 0x0
	.amdhsa_kernel _ZN12tensorrt_llm7kernels32fusedQKNormRopeKernelNTokenHeadsIN3c108BFloat16ENS2_4HalfELi64ELb0ELi4EEEvPviiifPKvS7_S7_PKlii
		.amdhsa_group_segment_fixed_size 0
		.amdhsa_private_segment_fixed_size 0
		.amdhsa_kernarg_size 320
		.amdhsa_user_sgpr_count 6
		.amdhsa_user_sgpr_private_segment_buffer 1
		.amdhsa_user_sgpr_dispatch_ptr 0
		.amdhsa_user_sgpr_queue_ptr 0
		.amdhsa_user_sgpr_kernarg_segment_ptr 1
		.amdhsa_user_sgpr_dispatch_id 0
		.amdhsa_user_sgpr_flat_scratch_init 0
		.amdhsa_user_sgpr_kernarg_preload_length 0
		.amdhsa_user_sgpr_kernarg_preload_offset 0
		.amdhsa_user_sgpr_private_segment_size 0
		.amdhsa_uses_dynamic_stack 0
		.amdhsa_system_sgpr_private_segment_wavefront_offset 0
		.amdhsa_system_sgpr_workgroup_id_x 1
		.amdhsa_system_sgpr_workgroup_id_y 0
		.amdhsa_system_sgpr_workgroup_id_z 0
		.amdhsa_system_sgpr_workgroup_info 0
		.amdhsa_system_vgpr_workitem_id 0
		.amdhsa_next_free_vgpr 28
		.amdhsa_next_free_sgpr 24
		.amdhsa_accum_offset 28
		.amdhsa_reserve_vcc 1
		.amdhsa_reserve_flat_scratch 0
		.amdhsa_float_round_mode_32 0
		.amdhsa_float_round_mode_16_64 0
		.amdhsa_float_denorm_mode_32 3
		.amdhsa_float_denorm_mode_16_64 3
		.amdhsa_dx10_clamp 1
		.amdhsa_ieee_mode 1
		.amdhsa_fp16_overflow 0
		.amdhsa_tg_split 0
		.amdhsa_exception_fp_ieee_invalid_op 0
		.amdhsa_exception_fp_denorm_src 0
		.amdhsa_exception_fp_ieee_div_zero 0
		.amdhsa_exception_fp_ieee_overflow 0
		.amdhsa_exception_fp_ieee_underflow 0
		.amdhsa_exception_fp_ieee_inexact 0
		.amdhsa_exception_int_div_zero 0
	.end_amdhsa_kernel
	.section	.text._ZN12tensorrt_llm7kernels32fusedQKNormRopeKernelNTokenHeadsIN3c108BFloat16ENS2_4HalfELi64ELb0ELi4EEEvPviiifPKvS7_S7_PKlii,"axG",@progbits,_ZN12tensorrt_llm7kernels32fusedQKNormRopeKernelNTokenHeadsIN3c108BFloat16ENS2_4HalfELi64ELb0ELi4EEEvPviiifPKvS7_S7_PKlii,comdat
.Lfunc_end109:
	.size	_ZN12tensorrt_llm7kernels32fusedQKNormRopeKernelNTokenHeadsIN3c108BFloat16ENS2_4HalfELi64ELb0ELi4EEEvPviiifPKvS7_S7_PKlii, .Lfunc_end109-_ZN12tensorrt_llm7kernels32fusedQKNormRopeKernelNTokenHeadsIN3c108BFloat16ENS2_4HalfELi64ELb0ELi4EEEvPviiifPKvS7_S7_PKlii
                                        ; -- End function
	.section	.AMDGPU.csdata,"",@progbits
; Kernel info:
; codeLenInByte = 2156
; NumSgprs: 28
; NumVgprs: 28
; NumAgprs: 0
; TotalNumVgprs: 28
; ScratchSize: 0
; MemoryBound: 0
; FloatMode: 240
; IeeeMode: 1
; LDSByteSize: 0 bytes/workgroup (compile time only)
; SGPRBlocks: 3
; VGPRBlocks: 3
; NumSGPRsForWavesPerEU: 28
; NumVGPRsForWavesPerEU: 28
; AccumOffset: 28
; Occupancy: 8
; WaveLimiterHint : 0
; COMPUTE_PGM_RSRC2:SCRATCH_EN: 0
; COMPUTE_PGM_RSRC2:USER_SGPR: 6
; COMPUTE_PGM_RSRC2:TRAP_HANDLER: 0
; COMPUTE_PGM_RSRC2:TGID_X_EN: 1
; COMPUTE_PGM_RSRC2:TGID_Y_EN: 0
; COMPUTE_PGM_RSRC2:TGID_Z_EN: 0
; COMPUTE_PGM_RSRC2:TIDIG_COMP_CNT: 0
; COMPUTE_PGM_RSRC3_GFX90A:ACCUM_OFFSET: 6
; COMPUTE_PGM_RSRC3_GFX90A:TG_SPLIT: 0
	.section	.text._ZN12tensorrt_llm7kernels32fusedQKNormRopeKernelNTokenHeadsIN3c108BFloat16ENS2_4HalfELi128ELb1ELi4EEEvPviiifPKvS7_S7_PKlii,"axG",@progbits,_ZN12tensorrt_llm7kernels32fusedQKNormRopeKernelNTokenHeadsIN3c108BFloat16ENS2_4HalfELi128ELb1ELi4EEEvPviiifPKvS7_S7_PKlii,comdat
	.protected	_ZN12tensorrt_llm7kernels32fusedQKNormRopeKernelNTokenHeadsIN3c108BFloat16ENS2_4HalfELi128ELb1ELi4EEEvPviiifPKvS7_S7_PKlii ; -- Begin function _ZN12tensorrt_llm7kernels32fusedQKNormRopeKernelNTokenHeadsIN3c108BFloat16ENS2_4HalfELi128ELb1ELi4EEEvPviiifPKvS7_S7_PKlii
	.globl	_ZN12tensorrt_llm7kernels32fusedQKNormRopeKernelNTokenHeadsIN3c108BFloat16ENS2_4HalfELi128ELb1ELi4EEEvPviiifPKvS7_S7_PKlii
	.p2align	8
	.type	_ZN12tensorrt_llm7kernels32fusedQKNormRopeKernelNTokenHeadsIN3c108BFloat16ENS2_4HalfELi128ELb1ELi4EEEvPviiifPKvS7_S7_PKlii,@function
_ZN12tensorrt_llm7kernels32fusedQKNormRopeKernelNTokenHeadsIN3c108BFloat16ENS2_4HalfELi128ELb1ELi4EEEvPviiifPKvS7_S7_PKlii: ; @_ZN12tensorrt_llm7kernels32fusedQKNormRopeKernelNTokenHeadsIN3c108BFloat16ENS2_4HalfELi128ELb1ELi4EEEvPviiifPKvS7_S7_PKlii
; %bb.0:
	s_load_dwordx4 s[12:15], s[4:5], 0x8
	s_load_dwordx2 s[16:17], s[4:5], 0x38
	s_load_dword s1, s[4:5], 0x4c
	v_lshrrev_b32_e32 v2, 5, v0
	s_waitcnt lgkmcnt(0)
	s_add_i32 s0, s13, s12
	s_add_i32 s2, s0, 3
	s_ashr_i32 s3, s2, 31
	s_lshr_b32 s3, s3, 30
	s_add_i32 s2, s2, s3
	s_ashr_i32 s20, s2, 2
	s_abs_i32 s2, s20
	v_cvt_f32_u32_e32 v1, s2
	s_bfe_u32 s1, s1, 0xb0005
	s_mul_i32 s6, s6, s1
	s_sub_i32 s3, 0, s2
	v_rcp_iflag_f32_e32 v3, v1
	v_add_u32_e32 v1, s6, v2
	v_sub_u32_e32 v4, 0, v1
	v_max_i32_e32 v4, v1, v4
	v_mul_f32_e32 v3, 0x4f7ffffe, v3
	v_cvt_u32_f32_e32 v3, v3
	v_xor_b32_e32 v5, s20, v1
	v_ashrrev_i32_e32 v5, 31, v5
	v_mul_lo_u32 v6, s3, v3
	v_mul_hi_u32 v6, v3, v6
	v_add_u32_e32 v3, v3, v6
	v_mul_hi_u32 v3, v4, v3
	v_mul_lo_u32 v6, v3, s2
	v_sub_u32_e32 v4, v4, v6
	v_add_u32_e32 v6, 1, v3
	v_cmp_le_u32_e32 vcc, s2, v4
	v_cndmask_b32_e32 v3, v3, v6, vcc
	v_subrev_u32_e32 v6, s2, v4
	v_cndmask_b32_e32 v4, v4, v6, vcc
	v_add_u32_e32 v6, 1, v3
	v_cmp_le_u32_e32 vcc, s2, v4
	v_cndmask_b32_e32 v3, v3, v6, vcc
	v_xor_b32_e32 v3, v3, v5
	v_sub_u32_e32 v4, v3, v5
	v_cmp_gt_i32_e32 vcc, s16, v4
	s_and_saveexec_b64 s[2:3], vcc
	s_cbranch_execz .LBB110_28
; %bb.1:
	v_and_b32_e32 v6, 31, v0
	v_mul_lo_u32 v0, v4, s20
	v_sub_u32_e32 v0, v1, v0
	s_load_dwordx2 s[2:3], s[4:5], 0x0
	v_lshlrev_b32_e32 v10, 2, v0
	v_add_u32_e32 v0, 4, v10
	v_sub_u32_e32 v3, s0, v10
	v_cmp_lt_i32_e32 vcc, s0, v0
	v_cndmask_b32_e32 v11, 4, v3, vcc
	s_lshl_b32 s18, s17, 1
	s_mul_i32 s16, s18, s1
	v_lshlrev_b32_e32 v9, 10, v2
	v_cmp_lt_i32_e64 s[0:1], 0, v11
	v_lshlrev_b32_e32 v8, 3, v6
	v_lshlrev_b32_e32 v7, 9, v1
	s_and_saveexec_b64 s[6:7], s[0:1]
	s_cbranch_execz .LBB110_4
; %bb.2:
	s_add_i32 s8, s16, 0
	v_add3_u32 v3, s8, v9, v8
	s_add_i32 s8, s14, s13
	s_add_i32 s8, s8, s12
	s_lshl_b32 s9, s20, 2
	s_sub_i32 s8, s8, s9
	v_mul_lo_u32 v0, s8, v4
	v_lshl_add_u32 v0, v0, 7, v7
	s_mov_b32 s10, 0
	v_lshl_or_b32 v0, v6, 2, v0
	s_mov_b64 s[8:9], 0
	s_waitcnt lgkmcnt(0)
	v_mov_b32_e32 v5, s3
.LBB110_3:                              ; =>This Inner Loop Header: Depth=1
	v_ashrrev_i32_e32 v1, 31, v0
	v_lshlrev_b64 v[12:13], 1, v[0:1]
	v_add_co_u32_e32 v12, vcc, s2, v12
	v_addc_co_u32_e32 v13, vcc, v5, v13, vcc
	global_load_dwordx2 v[12:13], v[12:13], off
	s_add_i32 s10, s10, 1
	v_cmp_ge_i32_e32 vcc, s10, v11
	v_add_u32_e32 v0, 0x80, v0
	s_or_b64 s[8:9], vcc, s[8:9]
	s_waitcnt vmcnt(0)
	ds_write_b64 v3, v[12:13]
	v_add_u32_e32 v3, 0x100, v3
	s_andn2_b64 exec, exec, s[8:9]
	s_cbranch_execnz .LBB110_3
.LBB110_4:
	s_or_b64 exec, exec, s[6:7]
	s_add_i32 s18, s18, 15
	s_load_dwordx8 s[4:11], s[4:5], 0x18
	s_ashr_i32 s19, s18, 31
	s_lshr_b32 s19, s19, 28
	s_add_i32 s18, s18, s19
	s_ashr_i32 s21, s18, 4
	v_mul_lo_u32 v0, v2, s17
	v_cmp_gt_i32_e32 vcc, s21, v6
	v_lshlrev_b32_e32 v13, 1, v0
	s_and_saveexec_b64 s[18:19], vcc
	s_cbranch_execz .LBB110_7
; %bb.5:
	v_ashrrev_i32_e32 v5, 31, v4
	v_lshlrev_b64 v[0:1], 3, v[4:5]
	s_waitcnt lgkmcnt(0)
	v_mov_b32_e32 v2, s11
	v_add_co_u32_e32 v0, vcc, s10, v0
	v_addc_co_u32_e32 v1, vcc, v2, v1, vcc
	global_load_dwordx2 v[0:1], v[0:1], off
	s_ashr_i32 s22, s17, 31
	v_lshlrev_b32_e32 v3, 4, v6
	v_mov_b32_e32 v5, s9
	s_mov_b64 s[10:11], 0
	v_add3_u32 v2, v13, v3, 0
	s_waitcnt vmcnt(0)
	v_mul_lo_u32 v12, v1, s17
	v_mul_lo_u32 v14, v0, s22
	v_mad_u64_u32 v[0:1], s[22:23], v0, s17, 0
	v_add3_u32 v1, v1, v14, v12
	v_lshlrev_b64 v[0:1], 1, v[0:1]
	v_add_co_u32_e32 v0, vcc, v0, v3
	v_addc_co_u32_e32 v1, vcc, 0, v1, vcc
	v_add_co_u32_e32 v0, vcc, s8, v0
	v_addc_co_u32_e32 v1, vcc, v5, v1, vcc
	v_mov_b32_e32 v3, v6
.LBB110_6:                              ; =>This Inner Loop Header: Depth=1
	global_load_dwordx4 v[14:17], v[0:1], off
	v_add_co_u32_e32 v0, vcc, 0x200, v0
	v_add_u32_e32 v3, 32, v3
	v_addc_co_u32_e32 v1, vcc, 0, v1, vcc
	v_cmp_le_i32_e32 vcc, s21, v3
	s_or_b64 s[10:11], vcc, s[10:11]
	s_waitcnt vmcnt(0)
	ds_write_b128 v2, v[14:17]
	v_add_u32_e32 v2, 0x200, v2
	s_andn2_b64 exec, exec, s[10:11]
	s_cbranch_execnz .LBB110_6
.LBB110_7:
	s_or_b64 exec, exec, s[18:19]
	s_and_b64 exec, exec, s[0:1]
	s_cbranch_execz .LBB110_28
; %bb.8:
	s_waitcnt lgkmcnt(0)
	global_load_dwordx2 v[0:1], v8, s[4:5]
	global_load_dwordx2 v[2:3], v8, s[6:7]
	v_mbcnt_lo_u32_b32 v14, -1, 0
	v_add_u32_e32 v9, s16, v9
	v_mbcnt_hi_u32_b32 v16, -1, v14
	v_add3_u32 v14, v9, v8, 0
	v_and_b32_e32 v8, 0x60, v16
	v_xor_b32_e32 v9, 16, v16
	v_add_u32_e32 v8, 32, v8
	v_xor_b32_e32 v17, 8, v16
	v_cmp_lt_i32_e32 vcc, v9, v8
	s_add_i32 s6, s14, s13
	v_xor_b32_e32 v18, 4, v16
	v_cndmask_b32_e32 v9, v16, v9, vcc
	v_cmp_lt_i32_e32 vcc, v17, v8
	s_ashr_i32 s1, s17, 31
	s_lshl_b32 s7, s20, 2
	s_add_i32 s6, s6, s12
	v_xor_b32_e32 v19, 2, v16
	v_cndmask_b32_e32 v17, v16, v17, vcc
	v_cmp_lt_i32_e32 vcc, v18, v8
	s_lshr_b32 s0, s17, 31
	s_lshr_b32 s1, s1, 30
	v_xor_b32_e32 v20, 1, v16
	s_sub_i32 s6, s6, s7
	v_cndmask_b32_e32 v18, v16, v18, vcc
	v_cmp_lt_i32_e32 vcc, v19, v8
	v_lshlrev_b32_e32 v5, 2, v6
	s_add_i32 s0, s17, s0
	s_add_i32 s1, s17, s1
	v_mul_lo_u32 v4, s6, v4
	v_cndmask_b32_e32 v19, v16, v19, vcc
	v_cmp_lt_i32_e32 vcc, v20, v8
	v_add3_u32 v13, 0, v13, v5
	s_and_b32 s0, s0, -2
	s_ashr_i32 s1, s1, 2
	v_cndmask_b32_e32 v8, v16, v20, vcc
	v_lshl_add_u32 v4, v4, 7, v7
	s_mov_b32 s8, 0
	s_mov_b64 s[4:5], 0
	s_mov_b32 s9, 0xffff0000
	v_mov_b32_e32 v12, s15
	s_mov_b32 s10, 0x800000
	s_mov_b32 s11, 0x7f800000
	s_movk_i32 s13, 0x7fff
	v_add_u32_e32 v15, s0, v13
	v_cmp_gt_i32_e32 vcc, s1, v6
	v_lshlrev_b32_e32 v16, 2, v9
	v_lshlrev_b32_e32 v17, 2, v17
	;; [unrolled: 1-line block ×5, first 2 shown]
	v_or_b32_e32 v4, v4, v5
	v_mov_b32_e32 v25, 0
	s_waitcnt vmcnt(1)
	v_lshrrev_b32_e32 v21, 16, v0
	s_waitcnt vmcnt(0)
	v_lshrrev_b32_e32 v22, 16, v2
	v_lshrrev_b32_e32 v23, 16, v1
	;; [unrolled: 1-line block ×3, first 2 shown]
	s_branch .LBB110_10
.LBB110_9:                              ;   in Loop: Header=BB110_10 Depth=1
	s_or_b64 exec, exec, s[6:7]
	v_lshrrev_b32_e32 v28, 16, v5
	v_ashrrev_i32_e32 v5, 31, v4
	v_lshlrev_b64 v[26:27], 1, v[4:5]
	v_mov_b32_e32 v5, s3
	v_add_co_u32_e64 v26, s[0:1], s2, v26
	v_addc_co_u32_e64 v27, s[0:1], v5, v27, s[0:1]
	s_add_i32 s8, s8, 1
	v_and_b32_e32 v5, 0xffff0000, v6
	v_cmp_ge_i32_e64 s[0:1], s8, v11
	v_or_b32_sdwa v7, v5, v9 dst_sel:DWORD dst_unused:UNUSED_PAD src0_sel:DWORD src1_sel:WORD_1
	v_and_or_b32 v6, v8, s9, v28
	v_add_u32_e32 v4, 0x80, v4
	s_or_b64 s[4:5], s[0:1], s[4:5]
	v_add_u32_e32 v14, 0x100, v14
	global_store_dwordx2 v[26:27], v[6:7], off
	s_andn2_b64 exec, exec, s[4:5]
	s_cbranch_execz .LBB110_28
.LBB110_10:                             ; =>This Inner Loop Header: Depth=1
	ds_read_b64 v[6:7], v14
	s_waitcnt lgkmcnt(0)
	v_alignbit_b32 v5, v7, v6, 16
	v_lshlrev_b32_e32 v8, 16, v6
	v_and_b32_e32 v9, 0xffff0000, v6
	v_and_b32_e32 v7, 0xffff0000, v7
	;; [unrolled: 1-line block ×3, first 2 shown]
	v_pk_mul_f32 v[26:27], v[8:9], v[8:9]
	v_pk_mul_f32 v[28:29], v[6:7], v[6:7]
	v_add_f32_e32 v5, v26, v27
	v_add_f32_e32 v5, v5, v28
	v_add_f32_e32 v5, v5, v29
	ds_bpermute_b32 v26, v16, v5
	v_add_u32_e32 v27, s8, v10
	v_mov_b32_e32 v28, v12
	v_cmp_gt_i32_e64 s[0:1], s12, v27
	v_cndmask_b32_e64 v27, v22, v21, s[0:1]
	s_waitcnt lgkmcnt(0)
	v_add_f32_e32 v5, v5, v26
	ds_bpermute_b32 v26, v17, v5
	v_cndmask_b32_e64 v29, v2, v0, s[0:1]
	v_cndmask_b32_e64 v30, v24, v23, s[0:1]
	;; [unrolled: 1-line block ×3, first 2 shown]
	v_lshlrev_b32_e32 v27, 16, v27
	s_waitcnt lgkmcnt(0)
	v_add_f32_e32 v5, v5, v26
	ds_bpermute_b32 v26, v18, v5
	s_waitcnt lgkmcnt(0)
	v_add_f32_e32 v5, v5, v26
	ds_bpermute_b32 v26, v19, v5
	s_waitcnt lgkmcnt(0)
	v_add_f32_e32 v5, v5, v26
	ds_bpermute_b32 v26, v20, v5
	s_waitcnt lgkmcnt(0)
	v_add_f32_e32 v5, v5, v26
	v_fmac_f32_e32 v28, 0x3c000000, v5
	v_mul_f32_e32 v5, 0x4b800000, v28
	v_cmp_gt_f32_e64 s[0:1], s10, v28
	v_cndmask_b32_e64 v5, v28, v5, s[0:1]
	v_rsq_f32_e32 v5, v5
	v_lshlrev_b32_e32 v26, 16, v29
	v_lshlrev_b32_e32 v29, 16, v30
	;; [unrolled: 1-line block ×3, first 2 shown]
	v_mul_f32_e32 v30, 0x45800000, v5
	v_cndmask_b32_e64 v30, v5, v30, s[0:1]
	v_pk_mul_f32 v[26:27], v[30:31], v[26:27] op_sel_hi:[0,1]
	v_pk_mul_f32 v[28:29], v[30:31], v[28:29] op_sel_hi:[0,1]
	v_pk_mul_f32 v[8:9], v[26:27], v[8:9]
	v_pk_mul_f32 v[6:7], v[28:29], v[6:7]
	s_and_saveexec_b64 s[0:1], vcc
	s_cbranch_execz .LBB110_12
; %bb.11:                               ;   in Loop: Header=BB110_10 Depth=1
	ds_read_u16 v5, v15
	ds_read_u16 v27, v13
	ds_read_u16 v29, v13 offset:2
	ds_read_u16 v30, v15 offset:2
	s_waitcnt lgkmcnt(3)
	v_cvt_f32_f16_e32 v26, v5
	s_waitcnt lgkmcnt(2)
	v_cvt_f32_f16_e32 v28, v27
	;; [unrolled: 2-line block ×4, first 2 shown]
	v_pk_mul_f32 v[26:27], v[8:9], v[26:27] op_sel_hi:[1,0]
	v_pk_mul_f32 v[32:33], v[8:9], v[28:29] op_sel_hi:[1,0]
	v_pk_fma_f32 v[8:9], v[8:9], v[28:29], v[26:27] op_sel:[0,0,1] op_sel_hi:[1,0,0]
	v_mov_b32_e32 v26, v7
	v_mov_b32_e32 v8, v31
	v_pk_mul_f32 v[28:29], v[26:27], v[30:31]
	v_pk_mul_f32 v[34:35], v[6:7], v[30:31]
	v_pk_fma_f32 v[28:29], v[6:7], v[8:9], v[28:29] op_sel_hi:[1,0,1] neg_lo:[0,0,1] neg_hi:[0,0,1]
	v_mov_b32_e32 v8, v35
	v_pk_fma_f32 v[30:31], v[6:7], v[30:31], v[8:9]
	v_sub_f32_e32 v8, v32, v27
	v_mov_b32_e32 v6, v28
	v_mov_b32_e32 v7, v30
.LBB110_12:                             ;   in Loop: Header=BB110_10 Depth=1
	s_or_b64 exec, exec, s[0:1]
	v_and_b32_e32 v5, 0x7f800000, v8
	v_cmp_ne_u32_e64 s[0:1], s11, v5
                                        ; implicit-def: $vgpr5
	s_and_saveexec_b64 s[6:7], s[0:1]
	s_xor_b64 s[0:1], exec, s[6:7]
; %bb.13:                               ;   in Loop: Header=BB110_10 Depth=1
	v_bfe_u32 v5, v8, 16, 1
	v_add3_u32 v5, v8, v5, s13
; %bb.14:                               ;   in Loop: Header=BB110_10 Depth=1
	s_andn2_saveexec_b64 s[6:7], s[0:1]
; %bb.15:                               ;   in Loop: Header=BB110_10 Depth=1
	v_or_b32_e32 v5, 0x10000, v8
	v_cmp_eq_u32_sdwa s[0:1], v8, v25 src0_sel:WORD_0 src1_sel:DWORD
	v_cndmask_b32_e64 v5, v5, v8, s[0:1]
; %bb.16:                               ;   in Loop: Header=BB110_10 Depth=1
	s_or_b64 exec, exec, s[6:7]
	v_and_b32_e32 v8, 0x7f800000, v9
	v_cmp_ne_u32_e64 s[0:1], s11, v8
                                        ; implicit-def: $vgpr8
	s_and_saveexec_b64 s[6:7], s[0:1]
	s_xor_b64 s[0:1], exec, s[6:7]
; %bb.17:                               ;   in Loop: Header=BB110_10 Depth=1
	v_bfe_u32 v8, v9, 16, 1
	v_add3_u32 v8, v9, v8, s13
                                        ; implicit-def: $vgpr9
; %bb.18:                               ;   in Loop: Header=BB110_10 Depth=1
	s_andn2_saveexec_b64 s[6:7], s[0:1]
; %bb.19:                               ;   in Loop: Header=BB110_10 Depth=1
	v_or_b32_e32 v8, 0x10000, v9
	v_cmp_eq_u32_sdwa s[0:1], v9, v25 src0_sel:WORD_0 src1_sel:DWORD
	v_cndmask_b32_e64 v8, v8, v9, s[0:1]
; %bb.20:                               ;   in Loop: Header=BB110_10 Depth=1
	s_or_b64 exec, exec, s[6:7]
	v_and_b32_e32 v9, 0x7f800000, v6
	v_cmp_ne_u32_e64 s[0:1], s11, v9
                                        ; implicit-def: $vgpr9
	s_and_saveexec_b64 s[6:7], s[0:1]
	s_xor_b64 s[0:1], exec, s[6:7]
; %bb.21:                               ;   in Loop: Header=BB110_10 Depth=1
	v_bfe_u32 v9, v6, 16, 1
	v_add3_u32 v9, v6, v9, s13
; %bb.22:                               ;   in Loop: Header=BB110_10 Depth=1
	s_andn2_saveexec_b64 s[6:7], s[0:1]
; %bb.23:                               ;   in Loop: Header=BB110_10 Depth=1
	v_or_b32_e32 v9, 0x10000, v6
	v_cmp_eq_u32_sdwa s[0:1], v6, v25 src0_sel:WORD_0 src1_sel:DWORD
	v_cndmask_b32_e64 v9, v9, v6, s[0:1]
; %bb.24:                               ;   in Loop: Header=BB110_10 Depth=1
	s_or_b64 exec, exec, s[6:7]
	v_and_b32_e32 v6, 0x7f800000, v7
	v_cmp_ne_u32_e64 s[0:1], s11, v6
                                        ; implicit-def: $vgpr6
	s_and_saveexec_b64 s[6:7], s[0:1]
	s_xor_b64 s[0:1], exec, s[6:7]
; %bb.25:                               ;   in Loop: Header=BB110_10 Depth=1
	v_bfe_u32 v6, v7, 16, 1
	v_add3_u32 v6, v7, v6, s13
                                        ; implicit-def: $vgpr7
; %bb.26:                               ;   in Loop: Header=BB110_10 Depth=1
	s_andn2_saveexec_b64 s[6:7], s[0:1]
	s_cbranch_execz .LBB110_9
; %bb.27:                               ;   in Loop: Header=BB110_10 Depth=1
	v_or_b32_e32 v6, 0x10000, v7
	v_cmp_eq_u32_sdwa s[0:1], v7, v25 src0_sel:WORD_0 src1_sel:DWORD
	v_cndmask_b32_e64 v6, v6, v7, s[0:1]
	s_branch .LBB110_9
.LBB110_28:
	s_endpgm
	.section	.rodata,"a",@progbits
	.p2align	6, 0x0
	.amdhsa_kernel _ZN12tensorrt_llm7kernels32fusedQKNormRopeKernelNTokenHeadsIN3c108BFloat16ENS2_4HalfELi128ELb1ELi4EEEvPviiifPKvS7_S7_PKlii
		.amdhsa_group_segment_fixed_size 0
		.amdhsa_private_segment_fixed_size 0
		.amdhsa_kernarg_size 320
		.amdhsa_user_sgpr_count 6
		.amdhsa_user_sgpr_private_segment_buffer 1
		.amdhsa_user_sgpr_dispatch_ptr 0
		.amdhsa_user_sgpr_queue_ptr 0
		.amdhsa_user_sgpr_kernarg_segment_ptr 1
		.amdhsa_user_sgpr_dispatch_id 0
		.amdhsa_user_sgpr_flat_scratch_init 0
		.amdhsa_user_sgpr_kernarg_preload_length 0
		.amdhsa_user_sgpr_kernarg_preload_offset 0
		.amdhsa_user_sgpr_private_segment_size 0
		.amdhsa_uses_dynamic_stack 0
		.amdhsa_system_sgpr_private_segment_wavefront_offset 0
		.amdhsa_system_sgpr_workgroup_id_x 1
		.amdhsa_system_sgpr_workgroup_id_y 0
		.amdhsa_system_sgpr_workgroup_id_z 0
		.amdhsa_system_sgpr_workgroup_info 0
		.amdhsa_system_vgpr_workitem_id 0
		.amdhsa_next_free_vgpr 36
		.amdhsa_next_free_sgpr 24
		.amdhsa_accum_offset 36
		.amdhsa_reserve_vcc 1
		.amdhsa_reserve_flat_scratch 0
		.amdhsa_float_round_mode_32 0
		.amdhsa_float_round_mode_16_64 0
		.amdhsa_float_denorm_mode_32 3
		.amdhsa_float_denorm_mode_16_64 3
		.amdhsa_dx10_clamp 1
		.amdhsa_ieee_mode 1
		.amdhsa_fp16_overflow 0
		.amdhsa_tg_split 0
		.amdhsa_exception_fp_ieee_invalid_op 0
		.amdhsa_exception_fp_denorm_src 0
		.amdhsa_exception_fp_ieee_div_zero 0
		.amdhsa_exception_fp_ieee_overflow 0
		.amdhsa_exception_fp_ieee_underflow 0
		.amdhsa_exception_fp_ieee_inexact 0
		.amdhsa_exception_int_div_zero 0
	.end_amdhsa_kernel
	.section	.text._ZN12tensorrt_llm7kernels32fusedQKNormRopeKernelNTokenHeadsIN3c108BFloat16ENS2_4HalfELi128ELb1ELi4EEEvPviiifPKvS7_S7_PKlii,"axG",@progbits,_ZN12tensorrt_llm7kernels32fusedQKNormRopeKernelNTokenHeadsIN3c108BFloat16ENS2_4HalfELi128ELb1ELi4EEEvPviiifPKvS7_S7_PKlii,comdat
.Lfunc_end110:
	.size	_ZN12tensorrt_llm7kernels32fusedQKNormRopeKernelNTokenHeadsIN3c108BFloat16ENS2_4HalfELi128ELb1ELi4EEEvPviiifPKvS7_S7_PKlii, .Lfunc_end110-_ZN12tensorrt_llm7kernels32fusedQKNormRopeKernelNTokenHeadsIN3c108BFloat16ENS2_4HalfELi128ELb1ELi4EEEvPviiifPKvS7_S7_PKlii
                                        ; -- End function
	.section	.AMDGPU.csdata,"",@progbits
; Kernel info:
; codeLenInByte = 1848
; NumSgprs: 28
; NumVgprs: 36
; NumAgprs: 0
; TotalNumVgprs: 36
; ScratchSize: 0
; MemoryBound: 0
; FloatMode: 240
; IeeeMode: 1
; LDSByteSize: 0 bytes/workgroup (compile time only)
; SGPRBlocks: 3
; VGPRBlocks: 4
; NumSGPRsForWavesPerEU: 28
; NumVGPRsForWavesPerEU: 36
; AccumOffset: 36
; Occupancy: 8
; WaveLimiterHint : 0
; COMPUTE_PGM_RSRC2:SCRATCH_EN: 0
; COMPUTE_PGM_RSRC2:USER_SGPR: 6
; COMPUTE_PGM_RSRC2:TRAP_HANDLER: 0
; COMPUTE_PGM_RSRC2:TGID_X_EN: 1
; COMPUTE_PGM_RSRC2:TGID_Y_EN: 0
; COMPUTE_PGM_RSRC2:TGID_Z_EN: 0
; COMPUTE_PGM_RSRC2:TIDIG_COMP_CNT: 0
; COMPUTE_PGM_RSRC3_GFX90A:ACCUM_OFFSET: 8
; COMPUTE_PGM_RSRC3_GFX90A:TG_SPLIT: 0
	.section	.text._ZN12tensorrt_llm7kernels32fusedQKNormRopeKernelNTokenHeadsIN3c108BFloat16ENS2_4HalfELi128ELb0ELi4EEEvPviiifPKvS7_S7_PKlii,"axG",@progbits,_ZN12tensorrt_llm7kernels32fusedQKNormRopeKernelNTokenHeadsIN3c108BFloat16ENS2_4HalfELi128ELb0ELi4EEEvPviiifPKvS7_S7_PKlii,comdat
	.protected	_ZN12tensorrt_llm7kernels32fusedQKNormRopeKernelNTokenHeadsIN3c108BFloat16ENS2_4HalfELi128ELb0ELi4EEEvPviiifPKvS7_S7_PKlii ; -- Begin function _ZN12tensorrt_llm7kernels32fusedQKNormRopeKernelNTokenHeadsIN3c108BFloat16ENS2_4HalfELi128ELb0ELi4EEEvPviiifPKvS7_S7_PKlii
	.globl	_ZN12tensorrt_llm7kernels32fusedQKNormRopeKernelNTokenHeadsIN3c108BFloat16ENS2_4HalfELi128ELb0ELi4EEEvPviiifPKvS7_S7_PKlii
	.p2align	8
	.type	_ZN12tensorrt_llm7kernels32fusedQKNormRopeKernelNTokenHeadsIN3c108BFloat16ENS2_4HalfELi128ELb0ELi4EEEvPviiifPKvS7_S7_PKlii,@function
_ZN12tensorrt_llm7kernels32fusedQKNormRopeKernelNTokenHeadsIN3c108BFloat16ENS2_4HalfELi128ELb0ELi4EEEvPviiifPKvS7_S7_PKlii: ; @_ZN12tensorrt_llm7kernels32fusedQKNormRopeKernelNTokenHeadsIN3c108BFloat16ENS2_4HalfELi128ELb0ELi4EEEvPviiifPKvS7_S7_PKlii
; %bb.0:
	s_load_dwordx4 s[12:15], s[4:5], 0x8
	s_load_dwordx2 s[2:3], s[4:5], 0x38
	s_load_dword s1, s[4:5], 0x4c
	v_lshrrev_b32_e32 v3, 5, v0
	s_waitcnt lgkmcnt(0)
	s_add_i32 s0, s13, s12
	s_add_i32 s7, s0, 3
	s_ashr_i32 s8, s7, 31
	s_lshr_b32 s8, s8, 30
	s_add_i32 s7, s7, s8
	s_ashr_i32 s20, s7, 2
	s_abs_i32 s7, s20
	v_cvt_f32_u32_e32 v1, s7
	s_bfe_u32 s1, s1, 0xb0005
	s_mul_i32 s6, s6, s1
	v_rcp_iflag_f32_e32 v2, v1
	v_add_u32_e32 v1, s6, v3
	s_sub_i32 s6, 0, s7
	v_sub_u32_e32 v4, 0, v1
	v_mul_f32_e32 v2, 0x4f7ffffe, v2
	v_cvt_u32_f32_e32 v2, v2
	v_max_i32_e32 v4, v1, v4
	v_xor_b32_e32 v5, s20, v1
	v_ashrrev_i32_e32 v5, 31, v5
	v_mul_lo_u32 v6, s6, v2
	v_mul_hi_u32 v6, v2, v6
	v_add_u32_e32 v2, v2, v6
	v_mul_hi_u32 v2, v4, v2
	v_mul_lo_u32 v6, v2, s7
	v_sub_u32_e32 v4, v4, v6
	v_add_u32_e32 v6, 1, v2
	v_cmp_le_u32_e32 vcc, s7, v4
	v_cndmask_b32_e32 v2, v2, v6, vcc
	v_subrev_u32_e32 v6, s7, v4
	v_cndmask_b32_e32 v4, v4, v6, vcc
	v_add_u32_e32 v6, 1, v2
	v_cmp_le_u32_e32 vcc, s7, v4
	v_cndmask_b32_e32 v2, v2, v6, vcc
	v_xor_b32_e32 v2, v2, v5
	v_sub_u32_e32 v2, v2, v5
	v_cmp_gt_i32_e32 vcc, s2, v2
	s_and_saveexec_b64 s[6:7], vcc
	s_cbranch_execz .LBB111_28
; %bb.1:
	v_and_b32_e32 v8, 31, v0
	v_mul_lo_u32 v0, v2, s20
	v_sub_u32_e32 v0, v1, v0
	s_load_dwordx2 s[16:17], s[4:5], 0x0
	v_lshlrev_b32_e32 v10, 2, v0
	v_add_u32_e32 v0, 4, v10
	v_sub_u32_e32 v4, s0, v10
	v_cmp_lt_i32_e32 vcc, s0, v0
	v_cndmask_b32_e32 v11, 4, v4, vcc
	s_lshl_b32 s2, s3, 1
	s_mul_i32 s21, s2, s1
	v_lshlrev_b32_e32 v9, 10, v3
	v_cmp_lt_i32_e64 s[0:1], 0, v11
	v_lshlrev_b32_e32 v26, 3, v8
	v_lshlrev_b32_e32 v27, 9, v1
	s_and_saveexec_b64 s[6:7], s[0:1]
	s_cbranch_execz .LBB111_4
; %bb.2:
	s_add_i32 s8, s21, 0
	v_add3_u32 v4, s8, v9, v26
	s_add_i32 s8, s14, s13
	s_add_i32 s8, s8, s12
	s_lshl_b32 s9, s20, 2
	s_sub_i32 s8, s8, s9
	v_mul_lo_u32 v0, s8, v2
	v_lshl_add_u32 v0, v0, 7, v27
	s_mov_b32 s10, 0
	v_lshl_or_b32 v0, v8, 2, v0
	s_mov_b64 s[8:9], 0
	s_waitcnt lgkmcnt(0)
	v_mov_b32_e32 v5, s17
.LBB111_3:                              ; =>This Inner Loop Header: Depth=1
	v_ashrrev_i32_e32 v1, 31, v0
	v_lshlrev_b64 v[6:7], 1, v[0:1]
	v_add_co_u32_e32 v6, vcc, s16, v6
	v_addc_co_u32_e32 v7, vcc, v5, v7, vcc
	global_load_dwordx2 v[6:7], v[6:7], off
	s_add_i32 s10, s10, 1
	v_cmp_ge_i32_e32 vcc, s10, v11
	v_add_u32_e32 v0, 0x80, v0
	s_or_b64 s[8:9], vcc, s[8:9]
	s_waitcnt vmcnt(0)
	ds_write_b64 v4, v[6:7]
	v_add_u32_e32 v4, 0x100, v4
	s_andn2_b64 exec, exec, s[8:9]
	s_cbranch_execnz .LBB111_3
.LBB111_4:
	s_or_b64 exec, exec, s[6:7]
	s_add_i32 s2, s2, 15
	s_load_dwordx8 s[4:11], s[4:5], 0x18
	s_ashr_i32 s18, s2, 31
	s_lshr_b32 s18, s18, 28
	s_add_i32 s2, s2, s18
	s_ashr_i32 s2, s2, 4
	v_cmp_gt_i32_e32 vcc, s2, v8
	v_mul_lo_u32 v12, v3, s3
	s_and_saveexec_b64 s[18:19], vcc
	s_cbranch_execz .LBB111_7
; %bb.5:
	v_ashrrev_i32_e32 v3, 31, v2
	v_lshlrev_b64 v[0:1], 3, v[2:3]
	s_waitcnt lgkmcnt(0)
	v_mov_b32_e32 v3, s11
	v_add_co_u32_e32 v0, vcc, s10, v0
	v_addc_co_u32_e32 v1, vcc, v3, v1, vcc
	global_load_dwordx2 v[0:1], v[0:1], off
	s_ashr_i32 s22, s3, 31
	v_lshlrev_b32_e32 v4, 4, v8
	v_lshlrev_b32_e32 v3, 1, v12
	v_mov_b32_e32 v5, s9
	s_mov_b64 s[10:11], 0
	v_add3_u32 v3, v3, v4, 0
	s_waitcnt vmcnt(0)
	v_mul_lo_u32 v6, v1, s3
	v_mul_lo_u32 v7, v0, s22
	v_mad_u64_u32 v[0:1], s[22:23], v0, s3, 0
	v_add3_u32 v1, v1, v7, v6
	v_lshlrev_b64 v[0:1], 1, v[0:1]
	v_add_co_u32_e32 v0, vcc, v0, v4
	v_addc_co_u32_e32 v1, vcc, 0, v1, vcc
	v_add_co_u32_e32 v0, vcc, s8, v0
	v_addc_co_u32_e32 v1, vcc, v5, v1, vcc
	v_mov_b32_e32 v4, v8
.LBB111_6:                              ; =>This Inner Loop Header: Depth=1
	global_load_dwordx4 v[14:17], v[0:1], off
	v_add_co_u32_e32 v0, vcc, 0x200, v0
	v_add_u32_e32 v4, 32, v4
	v_addc_co_u32_e32 v1, vcc, 0, v1, vcc
	v_cmp_le_i32_e32 vcc, s2, v4
	s_or_b64 s[10:11], vcc, s[10:11]
	s_waitcnt vmcnt(0)
	ds_write_b128 v3, v[14:17]
	v_add_u32_e32 v3, 0x200, v3
	s_andn2_b64 exec, exec, s[10:11]
	s_cbranch_execnz .LBB111_6
.LBB111_7:
	s_or_b64 exec, exec, s[18:19]
	s_and_b64 exec, exec, s[0:1]
	s_cbranch_execz .LBB111_28
; %bb.8:
	s_waitcnt lgkmcnt(0)
	global_load_dwordx2 v[4:5], v26, s[4:5]
	global_load_dwordx2 v[6:7], v26, s[6:7]
	v_mbcnt_lo_u32_b32 v1, -1, 0
	s_abs_i32 s4, s3
	v_mbcnt_hi_u32_b32 v1, -1, v1
	v_cvt_f32_u32_e32 v14, s4
	v_lshl_add_u32 v0, v12, 1, 0
	v_and_b32_e32 v12, 0x60, v1
	v_xor_b32_e32 v13, 16, v1
	v_add_u32_e32 v12, 32, v12
	v_xor_b32_e32 v15, 8, v1
	v_cmp_lt_i32_e32 vcc, v13, v12
	v_xor_b32_e32 v16, 4, v1
	v_cndmask_b32_e32 v13, v1, v13, vcc
	v_cmp_lt_i32_e32 vcc, v15, v12
	v_rcp_iflag_f32_e32 v21, v14
	v_xor_b32_e32 v17, 2, v1
	v_cndmask_b32_e32 v15, v1, v15, vcc
	v_cmp_lt_i32_e32 vcc, v16, v12
	s_ashr_i32 s1, s3, 31
	v_xor_b32_e32 v18, 1, v1
	v_cndmask_b32_e32 v16, v1, v16, vcc
	v_cmp_lt_i32_e32 vcc, v17, v12
	s_lshr_b32 s2, s1, 30
	s_lshr_b32 s1, s1, 29
	v_cndmask_b32_e32 v17, v1, v17, vcc
	v_cmp_lt_i32_e32 vcc, v18, v12
	s_lshr_b32 s0, s3, 31
	s_add_i32 s1, s3, s1
	v_cndmask_b32_e32 v18, v1, v18, vcc
	v_lshlrev_b32_e32 v12, 2, v13
	v_lshlrev_b32_e32 v13, 2, v15
	;; [unrolled: 1-line block ×3, first 2 shown]
	v_mul_f32_e32 v17, 0x4f7ffffe, v21
	s_add_i32 s0, s3, s0
	v_and_b32_e32 v19, 64, v1
	s_ashr_i32 s1, s1, 3
	v_lshlrev_b32_e32 v14, 2, v16
	v_lshlrev_b32_e32 v16, 2, v18
	v_cvt_u32_f32_e32 v18, v17
	s_and_b32 s0, s0, -2
	s_add_i32 s2, s3, s2
	v_add_u32_e32 v19, 64, v19
	v_xor_b32_e32 v20, s1, v1
	v_add_u32_e32 v31, s0, v0
	s_ashr_i32 s0, s2, 2
	v_cmp_lt_i32_e64 s[2:3], v20, v19
	s_sub_i32 s5, 0, s4
	v_cndmask_b32_e64 v1, v1, v20, s[2:3]
	v_lshlrev_b32_e32 v17, 2, v1
	v_mul_lo_u32 v1, s5, v18
	v_mul_hi_u32 v1, v18, v1
	v_add_u32_e32 v1, v18, v1
	v_or_b32_e32 v3, 2, v26
	v_mul_hi_u32 v18, v26, v1
	v_mul_hi_u32 v19, v3, v1
	v_mul_lo_u32 v18, v18, s4
	v_mul_lo_u32 v19, v19, s4
	v_sub_u32_e32 v18, v26, v18
	v_sub_u32_e32 v3, v3, v19
	v_subrev_u32_e32 v19, s4, v18
	v_cmp_le_u32_e64 s[2:3], s4, v18
	v_subrev_u32_e32 v20, s4, v3
	v_cndmask_b32_e64 v18, v18, v19, s[2:3]
	v_cmp_le_u32_e64 s[2:3], s4, v3
	v_cndmask_b32_e64 v3, v3, v20, s[2:3]
	v_subrev_u32_e32 v19, s4, v18
	v_cmp_le_u32_e64 s[2:3], s4, v18
	v_cndmask_b32_e64 v18, v18, v19, s[2:3]
	v_subrev_u32_e32 v24, s4, v3
	v_cmp_le_u32_e64 s[2:3], s4, v3
	v_cndmask_b32_e64 v3, v3, v24, s[2:3]
	v_or_b32_e32 v28, 4, v26
	v_and_b32_e32 v3, -2, v3
	v_add_u32_e32 v24, v0, v3
	v_add_u32_e32 v25, v31, v3
	v_mul_hi_u32 v3, v28, v1
	v_mul_lo_u32 v3, v3, s4
	v_sub_u32_e32 v3, v28, v3
	v_subrev_u32_e32 v28, s4, v3
	v_cmp_le_u32_e64 s[2:3], s4, v3
	v_or_b32_e32 v30, 6, v26
	v_cndmask_b32_e64 v3, v3, v28, s[2:3]
	v_subrev_u32_e32 v28, s4, v3
	v_cmp_le_u32_e64 s[2:3], s4, v3
	v_mul_hi_u32 v1, v30, v1
	v_cndmask_b32_e64 v3, v3, v28, s[2:3]
	v_mul_lo_u32 v1, v1, s4
	v_and_b32_e32 v3, -2, v3
	v_sub_u32_e32 v1, v30, v1
	v_add_u32_e32 v28, v0, v3
	v_add_u32_e32 v29, v31, v3
	v_subrev_u32_e32 v3, s4, v1
	v_cmp_le_u32_e64 s[2:3], s4, v1
	v_cndmask_b32_e64 v1, v1, v3, s[2:3]
	v_subrev_u32_e32 v3, s4, v1
	v_cmp_le_u32_e64 s[2:3], s4, v1
	v_cndmask_b32_e64 v1, v1, v3, s[2:3]
	s_add_i32 s2, s14, s13
	s_add_i32 s2, s2, s12
	s_lshl_b32 s3, s20, 2
	v_and_b32_e32 v19, -2, v18
	v_and_b32_e32 v1, -2, v1
	s_sub_i32 s2, s2, s3
	v_add_u32_e32 v18, v0, v19
	v_add_u32_e32 v30, v0, v1
	v_mul_lo_u32 v0, s2, v2
	v_lshl_add_u32 v0, v0, 7, v27
	v_cmp_gt_i32_e32 vcc, s0, v8
	v_cmp_gt_i32_e64 s[0:1], s1, v8
	v_lshl_or_b32 v8, v8, 2, v0
	v_add_u32_e32 v0, s21, v9
	s_mov_b32 s8, 0
	v_add_u32_e32 v19, v31, v19
	s_waitcnt vmcnt(1)
	v_lshrrev_b32_e32 v20, 16, v4
	v_lshrrev_b32_e32 v21, 16, v5
	s_waitcnt vmcnt(0)
	v_lshrrev_b32_e32 v22, 16, v6
	v_lshrrev_b32_e32 v23, 16, v7
	v_add_u32_e32 v31, v31, v1
	v_add3_u32 v26, v0, v26, 0
	s_mov_b64 s[4:5], 0
	s_mov_b32 s9, 0xffff0000
	s_mov_b32 s10, 0x800000
	;; [unrolled: 1-line block ×3, first 2 shown]
	s_movk_i32 s13, 0x7fff
	v_mov_b32_e32 v27, s15
	v_mov_b32_e32 v32, 0
	s_branch .LBB111_10
.LBB111_9:                              ;   in Loop: Header=BB111_10 Depth=1
	s_or_b64 exec, exec, s[6:7]
	v_lshrrev_b32_e32 v2, 16, v9
	v_ashrrev_i32_e32 v9, 31, v8
	v_lshlrev_b64 v[0:1], 1, v[8:9]
	v_mov_b32_e32 v3, s17
	v_add_co_u32_e64 v0, s[2:3], s16, v0
	v_addc_co_u32_e64 v1, s[2:3], v3, v1, s[2:3]
	s_add_i32 s8, s8, 1
	v_and_b32_e32 v3, 0xffff0000, v35
	v_cmp_ge_i32_e64 s[2:3], s8, v11
	v_or_b32_sdwa v3, v3, v34 dst_sel:DWORD dst_unused:UNUSED_PAD src0_sel:DWORD src1_sel:WORD_1
	v_and_or_b32 v2, v33, s9, v2
	v_add_u32_e32 v8, 0x80, v8
	s_or_b64 s[4:5], s[2:3], s[4:5]
	v_add_u32_e32 v26, 0x100, v26
	global_store_dwordx2 v[0:1], v[2:3], off
	s_andn2_b64 exec, exec, s[4:5]
	s_cbranch_execz .LBB111_28
.LBB111_10:                             ; =>This Inner Loop Header: Depth=1
	ds_read_b64 v[0:1], v26
	v_add_u32_e32 v34, s8, v10
	v_mov_b32_e32 v35, v27
	v_cmp_gt_i32_e64 s[2:3], s12, v34
	v_cndmask_b32_e64 v34, v6, v4, s[2:3]
	s_waitcnt lgkmcnt(0)
	v_and_b32_e32 v2, 0xffff0000, v0
	v_lshlrev_b32_e32 v3, 16, v0
	v_alignbit_b32 v0, v1, v0, 16
	v_and_b32_e32 v9, 0xffff0000, v1
	v_mul_f32_e32 v1, v2, v2
	v_and_b32_e32 v33, 0xffff0000, v0
	v_fmac_f32_e32 v1, v3, v3
	v_fmac_f32_e32 v1, v33, v33
	;; [unrolled: 1-line block ×3, first 2 shown]
	ds_bpermute_b32 v0, v12, v1
	v_cndmask_b32_e64 v36, v22, v20, s[2:3]
	v_cndmask_b32_e64 v37, v7, v5, s[2:3]
	;; [unrolled: 1-line block ×3, first 2 shown]
	v_lshlrev_b32_e32 v34, 16, v34
	s_waitcnt lgkmcnt(0)
	v_add_f32_e32 v0, v1, v0
	ds_bpermute_b32 v1, v13, v0
	s_waitcnt lgkmcnt(0)
	v_add_f32_e32 v0, v0, v1
	ds_bpermute_b32 v1, v14, v0
	;; [unrolled: 3-line block ×4, first 2 shown]
	s_waitcnt lgkmcnt(0)
	v_add_f32_e32 v0, v0, v1
	v_fmac_f32_e32 v35, 0x3c000000, v0
	v_mul_f32_e32 v0, 0x4b800000, v35
	v_cmp_gt_f32_e64 s[2:3], s10, v35
	v_cndmask_b32_e64 v0, v35, v0, s[2:3]
	v_rsq_f32_e32 v0, v0
	v_lshlrev_b32_e32 v35, 16, v37
	v_lshlrev_b32_e32 v1, 16, v36
	;; [unrolled: 1-line block ×3, first 2 shown]
	v_mul_f32_e32 v37, 0x45800000, v0
	v_cndmask_b32_e64 v0, v0, v37, s[2:3]
	v_mul_f32_e32 v34, v0, v34
	v_mul_f32_e32 v1, v0, v1
	;; [unrolled: 1-line block ×8, first 2 shown]
	s_and_saveexec_b64 s[2:3], vcc
	s_cbranch_execz .LBB111_12
; %bb.11:                               ;   in Loop: Header=BB111_10 Depth=1
	ds_bpermute_b32 v9, v17, v0
	; wave barrier
	ds_read_u16 v33, v19
	ds_read_u16 v34, v24
	;; [unrolled: 1-line block ×7, first 2 shown]
	s_waitcnt lgkmcnt(6)
	v_cvt_f32_f16_e32 v33, v33
	ds_read_u16 v40, v18
	ds_bpermute_b32 v41, v17, v1
	v_cndmask_b32_e64 v9, v9, -v9, s[0:1]
	v_mul_f32_e32 v9, v9, v33
	s_waitcnt lgkmcnt(6)
	v_cvt_f32_f16_e32 v33, v35
	ds_bpermute_b32 v35, v17, v2
	s_waitcnt lgkmcnt(2)
	v_fma_mix_f32 v0, v0, v40, v9 op_sel_hi:[0,1,0]
	s_waitcnt lgkmcnt(1)
	v_cndmask_b32_e64 v9, v41, -v41, s[0:1]
	v_mul_f32_e32 v9, v9, v33
	v_fma_mix_f32 v1, v1, v34, v9 op_sel_hi:[0,1,0]
	v_cvt_f32_f16_e32 v9, v37
	ds_bpermute_b32 v33, v17, v3
	s_waitcnt lgkmcnt(1)
	v_cndmask_b32_e64 v34, v35, -v35, s[0:1]
	v_cvt_f32_f16_e32 v35, v39
	v_mul_f32_e32 v9, v34, v9
	v_fma_mix_f32 v2, v2, v36, v9 op_sel_hi:[0,1,0]
	s_waitcnt lgkmcnt(0)
	v_cndmask_b32_e64 v9, v33, -v33, s[0:1]
	v_mul_f32_e32 v9, v9, v35
	v_fma_mix_f32 v3, v3, v38, v9 op_sel_hi:[0,1,0]
	; wave barrier
.LBB111_12:                             ;   in Loop: Header=BB111_10 Depth=1
	s_or_b64 exec, exec, s[2:3]
	v_and_b32_e32 v9, 0x7f800000, v0
	v_cmp_ne_u32_e64 s[2:3], s11, v9
                                        ; implicit-def: $vgpr9
	s_and_saveexec_b64 s[6:7], s[2:3]
	s_xor_b64 s[2:3], exec, s[6:7]
; %bb.13:                               ;   in Loop: Header=BB111_10 Depth=1
	v_bfe_u32 v9, v0, 16, 1
	v_add3_u32 v9, v0, v9, s13
; %bb.14:                               ;   in Loop: Header=BB111_10 Depth=1
	s_andn2_saveexec_b64 s[6:7], s[2:3]
; %bb.15:                               ;   in Loop: Header=BB111_10 Depth=1
	v_or_b32_e32 v9, 0x10000, v0
	v_cmp_eq_u32_sdwa s[2:3], v0, v32 src0_sel:WORD_0 src1_sel:DWORD
	v_cndmask_b32_e64 v9, v9, v0, s[2:3]
; %bb.16:                               ;   in Loop: Header=BB111_10 Depth=1
	s_or_b64 exec, exec, s[6:7]
	v_and_b32_e32 v0, 0x7f800000, v1
	v_cmp_ne_u32_e64 s[2:3], s11, v0
                                        ; implicit-def: $vgpr33
	s_and_saveexec_b64 s[6:7], s[2:3]
	s_xor_b64 s[2:3], exec, s[6:7]
; %bb.17:                               ;   in Loop: Header=BB111_10 Depth=1
	v_bfe_u32 v0, v1, 16, 1
	v_add3_u32 v33, v1, v0, s13
; %bb.18:                               ;   in Loop: Header=BB111_10 Depth=1
	s_andn2_saveexec_b64 s[6:7], s[2:3]
; %bb.19:                               ;   in Loop: Header=BB111_10 Depth=1
	v_or_b32_e32 v0, 0x10000, v1
	v_cmp_eq_u32_sdwa s[2:3], v1, v32 src0_sel:WORD_0 src1_sel:DWORD
	v_cndmask_b32_e64 v33, v0, v1, s[2:3]
; %bb.20:                               ;   in Loop: Header=BB111_10 Depth=1
	s_or_b64 exec, exec, s[6:7]
	v_and_b32_e32 v0, 0x7f800000, v2
	v_cmp_ne_u32_e64 s[2:3], s11, v0
                                        ; implicit-def: $vgpr34
	s_and_saveexec_b64 s[6:7], s[2:3]
	s_xor_b64 s[2:3], exec, s[6:7]
; %bb.21:                               ;   in Loop: Header=BB111_10 Depth=1
	v_bfe_u32 v0, v2, 16, 1
	v_add3_u32 v34, v2, v0, s13
; %bb.22:                               ;   in Loop: Header=BB111_10 Depth=1
	s_andn2_saveexec_b64 s[6:7], s[2:3]
; %bb.23:                               ;   in Loop: Header=BB111_10 Depth=1
	v_or_b32_e32 v0, 0x10000, v2
	v_cmp_eq_u32_sdwa s[2:3], v2, v32 src0_sel:WORD_0 src1_sel:DWORD
	v_cndmask_b32_e64 v34, v0, v2, s[2:3]
; %bb.24:                               ;   in Loop: Header=BB111_10 Depth=1
	s_or_b64 exec, exec, s[6:7]
	v_and_b32_e32 v0, 0x7f800000, v3
	v_cmp_ne_u32_e64 s[2:3], s11, v0
                                        ; implicit-def: $vgpr35
	s_and_saveexec_b64 s[6:7], s[2:3]
	s_xor_b64 s[2:3], exec, s[6:7]
; %bb.25:                               ;   in Loop: Header=BB111_10 Depth=1
	v_bfe_u32 v0, v3, 16, 1
	v_add3_u32 v35, v3, v0, s13
                                        ; implicit-def: $vgpr0_vgpr1_vgpr2_vgpr3
; %bb.26:                               ;   in Loop: Header=BB111_10 Depth=1
	s_andn2_saveexec_b64 s[6:7], s[2:3]
	s_cbranch_execz .LBB111_9
; %bb.27:                               ;   in Loop: Header=BB111_10 Depth=1
	v_or_b32_e32 v0, 0x10000, v3
	v_cmp_eq_u32_sdwa s[2:3], v3, v32 src0_sel:WORD_0 src1_sel:DWORD
	v_cndmask_b32_e64 v35, v0, v3, s[2:3]
	s_branch .LBB111_9
.LBB111_28:
	s_endpgm
	.section	.rodata,"a",@progbits
	.p2align	6, 0x0
	.amdhsa_kernel _ZN12tensorrt_llm7kernels32fusedQKNormRopeKernelNTokenHeadsIN3c108BFloat16ENS2_4HalfELi128ELb0ELi4EEEvPviiifPKvS7_S7_PKlii
		.amdhsa_group_segment_fixed_size 0
		.amdhsa_private_segment_fixed_size 0
		.amdhsa_kernarg_size 320
		.amdhsa_user_sgpr_count 6
		.amdhsa_user_sgpr_private_segment_buffer 1
		.amdhsa_user_sgpr_dispatch_ptr 0
		.amdhsa_user_sgpr_queue_ptr 0
		.amdhsa_user_sgpr_kernarg_segment_ptr 1
		.amdhsa_user_sgpr_dispatch_id 0
		.amdhsa_user_sgpr_flat_scratch_init 0
		.amdhsa_user_sgpr_kernarg_preload_length 0
		.amdhsa_user_sgpr_kernarg_preload_offset 0
		.amdhsa_user_sgpr_private_segment_size 0
		.amdhsa_uses_dynamic_stack 0
		.amdhsa_system_sgpr_private_segment_wavefront_offset 0
		.amdhsa_system_sgpr_workgroup_id_x 1
		.amdhsa_system_sgpr_workgroup_id_y 0
		.amdhsa_system_sgpr_workgroup_id_z 0
		.amdhsa_system_sgpr_workgroup_info 0
		.amdhsa_system_vgpr_workitem_id 0
		.amdhsa_next_free_vgpr 42
		.amdhsa_next_free_sgpr 24
		.amdhsa_accum_offset 44
		.amdhsa_reserve_vcc 1
		.amdhsa_reserve_flat_scratch 0
		.amdhsa_float_round_mode_32 0
		.amdhsa_float_round_mode_16_64 0
		.amdhsa_float_denorm_mode_32 3
		.amdhsa_float_denorm_mode_16_64 3
		.amdhsa_dx10_clamp 1
		.amdhsa_ieee_mode 1
		.amdhsa_fp16_overflow 0
		.amdhsa_tg_split 0
		.amdhsa_exception_fp_ieee_invalid_op 0
		.amdhsa_exception_fp_denorm_src 0
		.amdhsa_exception_fp_ieee_div_zero 0
		.amdhsa_exception_fp_ieee_overflow 0
		.amdhsa_exception_fp_ieee_underflow 0
		.amdhsa_exception_fp_ieee_inexact 0
		.amdhsa_exception_int_div_zero 0
	.end_amdhsa_kernel
	.section	.text._ZN12tensorrt_llm7kernels32fusedQKNormRopeKernelNTokenHeadsIN3c108BFloat16ENS2_4HalfELi128ELb0ELi4EEEvPviiifPKvS7_S7_PKlii,"axG",@progbits,_ZN12tensorrt_llm7kernels32fusedQKNormRopeKernelNTokenHeadsIN3c108BFloat16ENS2_4HalfELi128ELb0ELi4EEEvPviiifPKvS7_S7_PKlii,comdat
.Lfunc_end111:
	.size	_ZN12tensorrt_llm7kernels32fusedQKNormRopeKernelNTokenHeadsIN3c108BFloat16ENS2_4HalfELi128ELb0ELi4EEEvPviiifPKvS7_S7_PKlii, .Lfunc_end111-_ZN12tensorrt_llm7kernels32fusedQKNormRopeKernelNTokenHeadsIN3c108BFloat16ENS2_4HalfELi128ELb0ELi4EEEvPviiifPKvS7_S7_PKlii
                                        ; -- End function
	.section	.AMDGPU.csdata,"",@progbits
; Kernel info:
; codeLenInByte = 2308
; NumSgprs: 28
; NumVgprs: 42
; NumAgprs: 0
; TotalNumVgprs: 42
; ScratchSize: 0
; MemoryBound: 0
; FloatMode: 240
; IeeeMode: 1
; LDSByteSize: 0 bytes/workgroup (compile time only)
; SGPRBlocks: 3
; VGPRBlocks: 5
; NumSGPRsForWavesPerEU: 28
; NumVGPRsForWavesPerEU: 42
; AccumOffset: 44
; Occupancy: 8
; WaveLimiterHint : 0
; COMPUTE_PGM_RSRC2:SCRATCH_EN: 0
; COMPUTE_PGM_RSRC2:USER_SGPR: 6
; COMPUTE_PGM_RSRC2:TRAP_HANDLER: 0
; COMPUTE_PGM_RSRC2:TGID_X_EN: 1
; COMPUTE_PGM_RSRC2:TGID_Y_EN: 0
; COMPUTE_PGM_RSRC2:TGID_Z_EN: 0
; COMPUTE_PGM_RSRC2:TIDIG_COMP_CNT: 0
; COMPUTE_PGM_RSRC3_GFX90A:ACCUM_OFFSET: 10
; COMPUTE_PGM_RSRC3_GFX90A:TG_SPLIT: 0
	.section	.text._ZN12tensorrt_llm7kernels32fusedQKNormRopeKernelNTokenHeadsIN3c108BFloat16ENS2_4HalfELi256ELb1ELi4EEEvPviiifPKvS7_S7_PKlii,"axG",@progbits,_ZN12tensorrt_llm7kernels32fusedQKNormRopeKernelNTokenHeadsIN3c108BFloat16ENS2_4HalfELi256ELb1ELi4EEEvPviiifPKvS7_S7_PKlii,comdat
	.protected	_ZN12tensorrt_llm7kernels32fusedQKNormRopeKernelNTokenHeadsIN3c108BFloat16ENS2_4HalfELi256ELb1ELi4EEEvPviiifPKvS7_S7_PKlii ; -- Begin function _ZN12tensorrt_llm7kernels32fusedQKNormRopeKernelNTokenHeadsIN3c108BFloat16ENS2_4HalfELi256ELb1ELi4EEEvPviiifPKvS7_S7_PKlii
	.globl	_ZN12tensorrt_llm7kernels32fusedQKNormRopeKernelNTokenHeadsIN3c108BFloat16ENS2_4HalfELi256ELb1ELi4EEEvPviiifPKvS7_S7_PKlii
	.p2align	8
	.type	_ZN12tensorrt_llm7kernels32fusedQKNormRopeKernelNTokenHeadsIN3c108BFloat16ENS2_4HalfELi256ELb1ELi4EEEvPviiifPKvS7_S7_PKlii,@function
_ZN12tensorrt_llm7kernels32fusedQKNormRopeKernelNTokenHeadsIN3c108BFloat16ENS2_4HalfELi256ELb1ELi4EEEvPviiifPKvS7_S7_PKlii: ; @_ZN12tensorrt_llm7kernels32fusedQKNormRopeKernelNTokenHeadsIN3c108BFloat16ENS2_4HalfELi256ELb1ELi4EEEvPviiifPKvS7_S7_PKlii
; %bb.0:
	s_load_dwordx4 s[12:15], s[4:5], 0x8
	s_load_dwordx2 s[2:3], s[4:5], 0x38
	s_load_dword s1, s[4:5], 0x4c
	v_lshrrev_b32_e32 v1, 5, v0
	s_waitcnt lgkmcnt(0)
	s_add_i32 s0, s13, s12
	s_add_i32 s7, s0, 3
	s_ashr_i32 s8, s7, 31
	s_lshr_b32 s8, s8, 30
	s_add_i32 s7, s7, s8
	s_ashr_i32 s20, s7, 2
	s_abs_i32 s7, s20
	v_cvt_f32_u32_e32 v2, s7
	s_bfe_u32 s1, s1, 0xb0005
	s_mul_i32 s6, s6, s1
	v_rcp_iflag_f32_e32 v3, v2
	v_add_u32_e32 v2, s6, v1
	s_sub_i32 s6, 0, s7
	v_sub_u32_e32 v4, 0, v2
	v_mul_f32_e32 v3, 0x4f7ffffe, v3
	v_cvt_u32_f32_e32 v3, v3
	v_max_i32_e32 v4, v2, v4
	v_xor_b32_e32 v5, s20, v2
	v_ashrrev_i32_e32 v5, 31, v5
	v_mul_lo_u32 v6, s6, v3
	v_mul_hi_u32 v6, v3, v6
	v_add_u32_e32 v3, v3, v6
	v_mul_hi_u32 v3, v4, v3
	v_mul_lo_u32 v6, v3, s7
	v_sub_u32_e32 v4, v4, v6
	v_add_u32_e32 v6, 1, v3
	v_cmp_le_u32_e32 vcc, s7, v4
	v_cndmask_b32_e32 v3, v3, v6, vcc
	v_subrev_u32_e32 v6, s7, v4
	v_cndmask_b32_e32 v4, v4, v6, vcc
	v_add_u32_e32 v6, 1, v3
	v_cmp_le_u32_e32 vcc, s7, v4
	v_cndmask_b32_e32 v3, v3, v6, vcc
	v_xor_b32_e32 v3, v3, v5
	v_sub_u32_e32 v8, v3, v5
	v_cmp_gt_i32_e32 vcc, s2, v8
	s_and_saveexec_b64 s[6:7], vcc
	s_cbranch_execz .LBB112_44
; %bb.1:
	v_mul_lo_u32 v3, v8, s20
	v_sub_u32_e32 v3, v2, v3
	s_load_dwordx2 s[16:17], s[4:5], 0x0
	v_lshlrev_b32_e32 v18, 2, v3
	v_add_u32_e32 v3, 4, v18
	v_sub_u32_e32 v4, s0, v18
	v_cmp_lt_i32_e32 vcc, s0, v3
	v_and_b32_e32 v10, 31, v0
	v_cndmask_b32_e32 v19, 4, v4, vcc
	s_lshl_b32 s18, s3, 1
	s_mul_i32 s2, s18, s1
	v_lshlrev_b32_e32 v13, 11, v1
	v_cmp_lt_i32_e64 s[0:1], 0, v19
	v_lshlrev_b32_e32 v12, 4, v10
	v_lshlrev_b32_e32 v11, 10, v2
	s_and_saveexec_b64 s[6:7], s[0:1]
	s_cbranch_execz .LBB112_4
; %bb.2:
	s_add_i32 s8, s2, 0
	v_add3_u32 v4, s8, v13, v12
	s_add_i32 s8, s14, s13
	s_add_i32 s8, s8, s12
	s_lshl_b32 s9, s20, 2
	s_sub_i32 s8, s8, s9
	v_mul_lo_u32 v2, s8, v8
	v_lshl_add_u32 v2, v2, 8, v11
	s_mov_b32 s10, 0
	v_lshl_or_b32 v2, v10, 3, v2
	s_mov_b64 s[8:9], 0
	s_waitcnt lgkmcnt(0)
	v_mov_b32_e32 v5, s17
.LBB112_3:                              ; =>This Inner Loop Header: Depth=1
	v_ashrrev_i32_e32 v3, 31, v2
	v_lshlrev_b64 v[6:7], 1, v[2:3]
	v_add_co_u32_e32 v6, vcc, s16, v6
	v_addc_co_u32_e32 v7, vcc, v5, v7, vcc
	global_load_dwordx4 v[14:17], v[6:7], off
	s_add_i32 s10, s10, 1
	v_cmp_ge_i32_e32 vcc, s10, v19
	v_add_u32_e32 v2, 0x100, v2
	s_or_b64 s[8:9], vcc, s[8:9]
	s_waitcnt vmcnt(0)
	ds_write_b128 v4, v[14:17]
	v_add_u32_e32 v4, 0x200, v4
	s_andn2_b64 exec, exec, s[8:9]
	s_cbranch_execnz .LBB112_3
.LBB112_4:
	s_or_b64 exec, exec, s[6:7]
	s_add_i32 s18, s18, 15
	s_load_dwordx8 s[4:11], s[4:5], 0x18
	s_ashr_i32 s19, s18, 31
	s_lshr_b32 s19, s19, 28
	s_add_i32 s18, s18, s19
	s_ashr_i32 s21, s18, 4
	v_mul_lo_u32 v1, v1, s3
	v_cmp_gt_i32_e32 vcc, s21, v10
	v_lshlrev_b32_e32 v14, 1, v1
	s_and_saveexec_b64 s[18:19], vcc
	s_cbranch_execz .LBB112_7
; %bb.5:
	v_ashrrev_i32_e32 v9, 31, v8
	v_lshlrev_b64 v[2:3], 3, v[8:9]
	s_waitcnt lgkmcnt(0)
	v_mov_b32_e32 v1, s11
	v_add_co_u32_e32 v2, vcc, s10, v2
	v_addc_co_u32_e32 v3, vcc, v1, v3, vcc
	global_load_dwordx2 v[4:5], v[2:3], off
	s_ashr_i32 s22, s3, 31
	v_and_b32_e32 v0, 31, v0
	v_lshlrev_b32_e32 v6, 4, v0
	v_mov_b32_e32 v3, s9
	v_add3_u32 v2, v14, v12, 0
	s_mov_b64 s[10:11], 0
	s_waitcnt vmcnt(0)
	v_mul_lo_u32 v5, v5, s3
	v_mul_lo_u32 v7, v4, s22
	v_mad_u64_u32 v[0:1], s[22:23], v4, s3, 0
	v_add3_u32 v1, v1, v7, v5
	v_lshlrev_b64 v[0:1], 1, v[0:1]
	v_add_co_u32_e32 v0, vcc, v0, v6
	v_addc_co_u32_e32 v1, vcc, 0, v1, vcc
	v_add_co_u32_e32 v0, vcc, s8, v0
	v_addc_co_u32_e32 v1, vcc, v3, v1, vcc
	v_mov_b32_e32 v3, v10
.LBB112_6:                              ; =>This Inner Loop Header: Depth=1
	global_load_dwordx4 v[4:7], v[0:1], off
	v_add_co_u32_e32 v0, vcc, 0x200, v0
	v_add_u32_e32 v3, 32, v3
	v_addc_co_u32_e32 v1, vcc, 0, v1, vcc
	v_cmp_le_i32_e32 vcc, s21, v3
	s_or_b64 s[10:11], vcc, s[10:11]
	s_waitcnt vmcnt(0)
	ds_write_b128 v2, v[4:7]
	v_add_u32_e32 v2, 0x200, v2
	s_andn2_b64 exec, exec, s[10:11]
	s_cbranch_execnz .LBB112_6
.LBB112_7:
	s_or_b64 exec, exec, s[18:19]
	s_and_b64 exec, exec, s[0:1]
	s_cbranch_execz .LBB112_44
; %bb.8:
	s_waitcnt lgkmcnt(0)
	global_load_dwordx4 v[0:3], v12, s[4:5]
	global_load_dwordx4 v[4:7], v12, s[6:7]
	v_mbcnt_lo_u32_b32 v15, -1, 0
	v_add_u32_e32 v13, s2, v13
	v_mbcnt_hi_u32_b32 v15, -1, v15
	v_add3_u32 v22, v13, v12, 0
	v_and_b32_e32 v12, 0x60, v15
	v_lshlrev_b32_e32 v9, 3, v10
	v_xor_b32_e32 v13, 16, v15
	v_add_u32_e32 v12, 32, v12
	v_add3_u32 v21, 0, v14, v9
	v_xor_b32_e32 v14, 8, v15
	v_cmp_lt_i32_e32 vcc, v13, v12
	s_add_i32 s11, s14, s13
	v_xor_b32_e32 v16, 4, v15
	v_cndmask_b32_e32 v13, v15, v13, vcc
	v_cmp_lt_i32_e32 vcc, v14, v12
	s_ashr_i32 s1, s3, 31
	s_lshl_b32 s13, s20, 2
	s_add_i32 s11, s11, s12
	v_xor_b32_e32 v17, 2, v15
	v_cndmask_b32_e32 v14, v15, v14, vcc
	v_cmp_lt_i32_e32 vcc, v16, v12
	s_lshr_b32 s0, s3, 31
	s_lshr_b32 s1, s1, 29
	v_xor_b32_e32 v24, 1, v15
	s_sub_i32 s2, s11, s13
	v_cndmask_b32_e32 v16, v15, v16, vcc
	v_cmp_lt_i32_e32 vcc, v17, v12
	s_add_i32 s0, s3, s0
	s_add_i32 s1, s3, s1
	v_mul_lo_u32 v8, s2, v8
	v_cndmask_b32_e32 v17, v15, v17, vcc
	v_cmp_lt_i32_e32 vcc, v24, v12
	s_and_b32 s0, s0, -2
	s_ashr_i32 s1, s1, 3
	v_cndmask_b32_e32 v12, v15, v24, vcc
	v_lshl_add_u32 v8, v8, 8, v11
	s_mov_b32 s6, 0
	s_mov_b64 s[4:5], 0
	v_mov_b32_e32 v20, s15
	s_mov_b32 s7, 0x800000
	s_mov_b32 s8, 0x7f800000
	s_movk_i32 s9, 0x7fff
	s_mov_b32 s10, 0x7060302
	v_add_u32_e32 v23, s0, v21
	v_cmp_gt_i32_e32 vcc, s1, v10
	v_lshlrev_b32_e32 v24, 2, v13
	v_lshlrev_b32_e32 v25, 2, v14
	;; [unrolled: 1-line block ×5, first 2 shown]
	v_or_b32_e32 v8, v8, v9
	v_mov_b32_e32 v37, 0
	s_waitcnt vmcnt(1)
	v_lshrrev_b32_e32 v29, 16, v0
	s_waitcnt vmcnt(0)
	v_lshrrev_b32_e32 v30, 16, v4
	v_lshrrev_b32_e32 v31, 16, v1
	;; [unrolled: 1-line block ×7, first 2 shown]
	s_branch .LBB112_10
.LBB112_9:                              ;   in Loop: Header=BB112_10 Depth=1
	s_or_b64 exec, exec, s[2:3]
	v_ashrrev_i32_e32 v9, 31, v8
	v_lshlrev_b64 v[40:41], 1, v[8:9]
	v_mov_b32_e32 v9, s17
	v_add_co_u32_e64 v40, s[0:1], s16, v40
	v_addc_co_u32_e64 v41, s[0:1], v9, v41, s[0:1]
	s_add_i32 s6, s6, 1
	v_cmp_ge_i32_e64 s[0:1], s6, v19
	v_perm_b32 v13, v10, v13, s10
	v_perm_b32 v12, v12, v15, s10
	v_perm_b32 v11, v14, v17, s10
	v_perm_b32 v10, v16, v38, s10
	v_add_u32_e32 v8, 0x100, v8
	s_or_b64 s[4:5], s[0:1], s[4:5]
	v_add_u32_e32 v22, 0x200, v22
	global_store_dwordx4 v[40:41], v[10:13], off
	s_andn2_b64 exec, exec, s[4:5]
	s_cbranch_execz .LBB112_44
.LBB112_10:                             ; =>This Inner Loop Header: Depth=1
	ds_read_b128 v[10:13], v22
	s_waitcnt lgkmcnt(0)
	v_and_b32_e32 v15, 0xffff0000, v10
	v_lshlrev_b32_e32 v14, 16, v10
	v_pk_mul_f32 v[40:41], v[14:15], v[14:15]
	v_and_b32_e32 v43, 0xffff0000, v11
	v_lshlrev_b32_e32 v42, 16, v11
	v_pk_mul_f32 v[10:11], v[42:43], v[42:43]
	v_add_f32_e32 v9, v40, v41
	v_and_b32_e32 v39, 0xffff0000, v13
	v_lshlrev_b32_e32 v38, 16, v13
	v_and_b32_e32 v13, 0xffff0000, v12
	v_lshlrev_b32_e32 v12, 16, v12
	v_add_f32_e32 v9, v9, v10
	v_pk_mul_f32 v[44:45], v[12:13], v[12:13]
	v_add_f32_e32 v9, v9, v11
	v_add_f32_e32 v9, v9, v44
	v_pk_mul_f32 v[16:17], v[38:39], v[38:39]
	v_add_f32_e32 v9, v9, v45
	v_add_f32_e32 v9, v9, v16
	;; [unrolled: 1-line block ×3, first 2 shown]
	ds_bpermute_b32 v10, v24, v9
	v_mov_b32_e32 v16, v20
	v_add_u32_e32 v11, s6, v18
	v_cmp_gt_i32_e64 s[0:1], s12, v11
	v_cndmask_b32_e64 v11, v30, v29, s[0:1]
	s_waitcnt lgkmcnt(0)
	v_add_f32_e32 v9, v9, v10
	ds_bpermute_b32 v10, v25, v9
	v_cndmask_b32_e64 v17, v4, v0, s[0:1]
	v_lshlrev_b32_e32 v11, 16, v11
	v_cndmask_b32_e64 v40, v32, v31, s[0:1]
	v_cndmask_b32_e64 v41, v5, v1, s[0:1]
	s_waitcnt lgkmcnt(0)
	v_add_f32_e32 v9, v9, v10
	ds_bpermute_b32 v10, v26, v9
	v_cndmask_b32_e64 v45, v34, v33, s[0:1]
	v_cndmask_b32_e64 v46, v6, v2, s[0:1]
	s_waitcnt lgkmcnt(0)
	v_add_f32_e32 v9, v9, v10
	ds_bpermute_b32 v10, v27, v9
	s_waitcnt lgkmcnt(0)
	v_add_f32_e32 v9, v9, v10
	ds_bpermute_b32 v44, v28, v9
	v_lshlrev_b32_e32 v10, 16, v17
	v_lshlrev_b32_e32 v17, 16, v40
	;; [unrolled: 1-line block ×3, first 2 shown]
	s_waitcnt lgkmcnt(0)
	v_add_f32_e32 v9, v9, v44
	v_fmac_f32_e32 v16, 0x3b800000, v9
	v_mul_f32_e32 v9, 0x4b800000, v16
	v_cmp_gt_f32_e64 s[2:3], s7, v16
	v_cndmask_b32_e64 v9, v16, v9, s[2:3]
	v_rsq_f32_e32 v9, v9
	v_lshlrev_b32_e32 v16, 16, v41
	v_lshlrev_b32_e32 v41, 16, v45
	v_mul_f32_e32 v44, 0x45800000, v9
	v_cndmask_b32_e64 v44, v9, v44, s[2:3]
	v_pk_mul_f32 v[10:11], v[44:45], v[10:11] op_sel_hi:[0,1]
	v_pk_mul_f32 v[46:47], v[44:45], v[16:17] op_sel_hi:[0,1]
	v_pk_mul_f32 v[16:17], v[10:11], v[14:15]
	v_pk_mul_f32 v[10:11], v[44:45], v[40:41] op_sel_hi:[0,1]
	v_pk_mul_f32 v[12:13], v[10:11], v[12:13]
	v_cndmask_b32_e64 v9, v36, v35, s[0:1]
	v_cndmask_b32_e64 v10, v7, v3, s[0:1]
	v_lshlrev_b32_e32 v11, 16, v9
	v_lshlrev_b32_e32 v10, 16, v10
	v_pk_mul_f32 v[10:11], v[44:45], v[10:11] op_sel_hi:[0,1]
	v_pk_mul_f32 v[14:15], v[46:47], v[42:43]
	v_pk_mul_f32 v[10:11], v[10:11], v[38:39]
	s_and_saveexec_b64 s[0:1], vcc
	s_cbranch_execz .LBB112_12
; %bb.11:                               ;   in Loop: Header=BB112_10 Depth=1
	ds_read_b64 v[38:39], v21
	ds_read_b64 v[40:41], v23
	s_waitcnt lgkmcnt(1)
	v_cvt_f32_f16_e32 v42, v38
	s_waitcnt lgkmcnt(0)
	v_cvt_f32_f16_e32 v44, v40
	v_cvt_f32_f16_sdwa v40, v40 dst_sel:DWORD dst_unused:UNUSED_PAD src0_sel:WORD_1
	v_cvt_f32_f16_sdwa v38, v38 dst_sel:DWORD dst_unused:UNUSED_PAD src0_sel:WORD_1
	v_cvt_f32_f16_e32 v46, v41
	v_pk_mul_f32 v[44:45], v[16:17], v[44:45] op_sel_hi:[1,0]
	v_pk_mul_f32 v[48:49], v[16:17], v[42:43] op_sel_hi:[1,0]
	v_pk_fma_f32 v[16:17], v[16:17], v[42:43], v[44:45] op_sel:[0,0,1] op_sel_hi:[1,0,0]
	v_pk_mul_f32 v[50:51], v[14:15], v[40:41] op_sel_hi:[1,0]
	v_cvt_f32_f16_e32 v16, v39
	v_pk_fma_f32 v[42:43], v[14:15], v[38:39], v[50:51] op_sel:[0,0,1] op_sel_hi:[1,0,0] neg_lo:[0,0,1] neg_hi:[0,0,1]
	v_pk_fma_f32 v[14:15], v[14:15], v[38:39], v[50:51] op_sel:[0,0,1] op_sel_hi:[1,0,0]
	v_cvt_f32_f16_sdwa v39, v39 dst_sel:DWORD dst_unused:UNUSED_PAD src0_sel:WORD_1
	v_cvt_f32_f16_sdwa v38, v41 dst_sel:DWORD dst_unused:UNUSED_PAD src0_sel:WORD_1
	v_pk_mul_f32 v[46:47], v[12:13], v[46:47] op_sel_hi:[1,0]
	v_pk_fma_f32 v[50:51], v[12:13], v[16:17], v[46:47] op_sel:[0,0,1] op_sel_hi:[1,0,0] neg_lo:[0,0,1] neg_hi:[0,0,1]
	v_pk_fma_f32 v[12:13], v[12:13], v[16:17], v[46:47] op_sel:[0,0,1] op_sel_hi:[1,0,0]
	v_mov_b32_e32 v14, v11
	v_mov_b32_e32 v12, v39
	v_pk_mul_f32 v[40:41], v[14:15], v[38:39]
	v_pk_mul_f32 v[46:47], v[10:11], v[38:39]
	v_pk_fma_f32 v[40:41], v[10:11], v[12:13], v[40:41] op_sel_hi:[1,0,1] neg_lo:[0,0,1] neg_hi:[0,0,1]
	v_mov_b32_e32 v12, v47
	v_pk_fma_f32 v[38:39], v[10:11], v[38:39], v[12:13]
	v_sub_f32_e32 v16, v48, v45
	v_mov_b32_e32 v14, v42
	v_mov_b32_e32 v12, v50
	;; [unrolled: 1-line block ×4, first 2 shown]
.LBB112_12:                             ;   in Loop: Header=BB112_10 Depth=1
	s_or_b64 exec, exec, s[0:1]
	v_and_b32_e32 v9, 0x7f800000, v16
	v_cmp_ne_u32_e64 s[0:1], s8, v9
                                        ; implicit-def: $vgpr38
	s_and_saveexec_b64 s[2:3], s[0:1]
	s_xor_b64 s[0:1], exec, s[2:3]
; %bb.13:                               ;   in Loop: Header=BB112_10 Depth=1
	v_bfe_u32 v9, v16, 16, 1
	v_add3_u32 v38, v16, v9, s9
; %bb.14:                               ;   in Loop: Header=BB112_10 Depth=1
	s_andn2_saveexec_b64 s[2:3], s[0:1]
; %bb.15:                               ;   in Loop: Header=BB112_10 Depth=1
	v_or_b32_e32 v9, 0x10000, v16
	v_cmp_eq_u32_sdwa s[0:1], v16, v37 src0_sel:WORD_0 src1_sel:DWORD
	v_cndmask_b32_e64 v38, v9, v16, s[0:1]
; %bb.16:                               ;   in Loop: Header=BB112_10 Depth=1
	s_or_b64 exec, exec, s[2:3]
	v_and_b32_e32 v9, 0x7f800000, v17
	v_cmp_ne_u32_e64 s[0:1], s8, v9
                                        ; implicit-def: $vgpr16
	s_and_saveexec_b64 s[2:3], s[0:1]
	s_xor_b64 s[0:1], exec, s[2:3]
; %bb.17:                               ;   in Loop: Header=BB112_10 Depth=1
	v_bfe_u32 v9, v17, 16, 1
	v_add3_u32 v16, v17, v9, s9
                                        ; implicit-def: $vgpr17
; %bb.18:                               ;   in Loop: Header=BB112_10 Depth=1
	s_andn2_saveexec_b64 s[2:3], s[0:1]
; %bb.19:                               ;   in Loop: Header=BB112_10 Depth=1
	v_or_b32_e32 v9, 0x10000, v17
	v_cmp_eq_u32_sdwa s[0:1], v17, v37 src0_sel:WORD_0 src1_sel:DWORD
	v_cndmask_b32_e64 v16, v9, v17, s[0:1]
; %bb.20:                               ;   in Loop: Header=BB112_10 Depth=1
	s_or_b64 exec, exec, s[2:3]
	v_and_b32_e32 v9, 0x7f800000, v14
	v_cmp_ne_u32_e64 s[0:1], s8, v9
                                        ; implicit-def: $vgpr17
	s_and_saveexec_b64 s[2:3], s[0:1]
	s_xor_b64 s[0:1], exec, s[2:3]
; %bb.21:                               ;   in Loop: Header=BB112_10 Depth=1
	v_bfe_u32 v9, v14, 16, 1
	v_add3_u32 v17, v14, v9, s9
; %bb.22:                               ;   in Loop: Header=BB112_10 Depth=1
	s_andn2_saveexec_b64 s[2:3], s[0:1]
; %bb.23:                               ;   in Loop: Header=BB112_10 Depth=1
	v_or_b32_e32 v9, 0x10000, v14
	v_cmp_eq_u32_sdwa s[0:1], v14, v37 src0_sel:WORD_0 src1_sel:DWORD
	v_cndmask_b32_e64 v17, v9, v14, s[0:1]
; %bb.24:                               ;   in Loop: Header=BB112_10 Depth=1
	s_or_b64 exec, exec, s[2:3]
	v_and_b32_e32 v9, 0x7f800000, v15
	v_cmp_ne_u32_e64 s[0:1], s8, v9
                                        ; implicit-def: $vgpr14
	s_and_saveexec_b64 s[2:3], s[0:1]
	s_xor_b64 s[0:1], exec, s[2:3]
; %bb.25:                               ;   in Loop: Header=BB112_10 Depth=1
	v_bfe_u32 v9, v15, 16, 1
	v_add3_u32 v14, v15, v9, s9
                                        ; implicit-def: $vgpr15
; %bb.26:                               ;   in Loop: Header=BB112_10 Depth=1
	s_andn2_saveexec_b64 s[2:3], s[0:1]
; %bb.27:                               ;   in Loop: Header=BB112_10 Depth=1
	v_or_b32_e32 v9, 0x10000, v15
	v_cmp_eq_u32_sdwa s[0:1], v15, v37 src0_sel:WORD_0 src1_sel:DWORD
	v_cndmask_b32_e64 v14, v9, v15, s[0:1]
; %bb.28:                               ;   in Loop: Header=BB112_10 Depth=1
	s_or_b64 exec, exec, s[2:3]
	v_and_b32_e32 v9, 0x7f800000, v12
	v_cmp_ne_u32_e64 s[0:1], s8, v9
                                        ; implicit-def: $vgpr15
	s_and_saveexec_b64 s[2:3], s[0:1]
	s_xor_b64 s[0:1], exec, s[2:3]
; %bb.29:                               ;   in Loop: Header=BB112_10 Depth=1
	v_bfe_u32 v9, v12, 16, 1
	v_add3_u32 v15, v12, v9, s9
; %bb.30:                               ;   in Loop: Header=BB112_10 Depth=1
	s_andn2_saveexec_b64 s[2:3], s[0:1]
; %bb.31:                               ;   in Loop: Header=BB112_10 Depth=1
	v_or_b32_e32 v9, 0x10000, v12
	v_cmp_eq_u32_sdwa s[0:1], v12, v37 src0_sel:WORD_0 src1_sel:DWORD
	v_cndmask_b32_e64 v15, v9, v12, s[0:1]
; %bb.32:                               ;   in Loop: Header=BB112_10 Depth=1
	s_or_b64 exec, exec, s[2:3]
	v_and_b32_e32 v9, 0x7f800000, v13
	v_cmp_ne_u32_e64 s[0:1], s8, v9
                                        ; implicit-def: $vgpr12
	s_and_saveexec_b64 s[2:3], s[0:1]
	s_xor_b64 s[0:1], exec, s[2:3]
; %bb.33:                               ;   in Loop: Header=BB112_10 Depth=1
	v_bfe_u32 v9, v13, 16, 1
	v_add3_u32 v12, v13, v9, s9
                                        ; implicit-def: $vgpr13
; %bb.34:                               ;   in Loop: Header=BB112_10 Depth=1
	s_andn2_saveexec_b64 s[2:3], s[0:1]
; %bb.35:                               ;   in Loop: Header=BB112_10 Depth=1
	v_or_b32_e32 v9, 0x10000, v13
	v_cmp_eq_u32_sdwa s[0:1], v13, v37 src0_sel:WORD_0 src1_sel:DWORD
	v_cndmask_b32_e64 v12, v9, v13, s[0:1]
; %bb.36:                               ;   in Loop: Header=BB112_10 Depth=1
	s_or_b64 exec, exec, s[2:3]
	v_and_b32_e32 v9, 0x7f800000, v10
	v_cmp_ne_u32_e64 s[0:1], s8, v9
                                        ; implicit-def: $vgpr13
	s_and_saveexec_b64 s[2:3], s[0:1]
	s_xor_b64 s[0:1], exec, s[2:3]
; %bb.37:                               ;   in Loop: Header=BB112_10 Depth=1
	v_bfe_u32 v9, v10, 16, 1
	v_add3_u32 v13, v10, v9, s9
; %bb.38:                               ;   in Loop: Header=BB112_10 Depth=1
	s_andn2_saveexec_b64 s[2:3], s[0:1]
; %bb.39:                               ;   in Loop: Header=BB112_10 Depth=1
	v_or_b32_e32 v9, 0x10000, v10
	v_cmp_eq_u32_sdwa s[0:1], v10, v37 src0_sel:WORD_0 src1_sel:DWORD
	v_cndmask_b32_e64 v13, v9, v10, s[0:1]
; %bb.40:                               ;   in Loop: Header=BB112_10 Depth=1
	s_or_b64 exec, exec, s[2:3]
	v_and_b32_e32 v9, 0x7f800000, v11
	v_cmp_ne_u32_e64 s[0:1], s8, v9
                                        ; implicit-def: $vgpr10
	s_and_saveexec_b64 s[2:3], s[0:1]
	s_xor_b64 s[0:1], exec, s[2:3]
; %bb.41:                               ;   in Loop: Header=BB112_10 Depth=1
	v_bfe_u32 v9, v11, 16, 1
	v_add3_u32 v10, v11, v9, s9
                                        ; implicit-def: $vgpr11
; %bb.42:                               ;   in Loop: Header=BB112_10 Depth=1
	s_andn2_saveexec_b64 s[2:3], s[0:1]
	s_cbranch_execz .LBB112_9
; %bb.43:                               ;   in Loop: Header=BB112_10 Depth=1
	v_or_b32_e32 v9, 0x10000, v11
	v_cmp_eq_u32_sdwa s[0:1], v11, v37 src0_sel:WORD_0 src1_sel:DWORD
	v_cndmask_b32_e64 v10, v9, v11, s[0:1]
	s_branch .LBB112_9
.LBB112_44:
	s_endpgm
	.section	.rodata,"a",@progbits
	.p2align	6, 0x0
	.amdhsa_kernel _ZN12tensorrt_llm7kernels32fusedQKNormRopeKernelNTokenHeadsIN3c108BFloat16ENS2_4HalfELi256ELb1ELi4EEEvPviiifPKvS7_S7_PKlii
		.amdhsa_group_segment_fixed_size 0
		.amdhsa_private_segment_fixed_size 0
		.amdhsa_kernarg_size 320
		.amdhsa_user_sgpr_count 6
		.amdhsa_user_sgpr_private_segment_buffer 1
		.amdhsa_user_sgpr_dispatch_ptr 0
		.amdhsa_user_sgpr_queue_ptr 0
		.amdhsa_user_sgpr_kernarg_segment_ptr 1
		.amdhsa_user_sgpr_dispatch_id 0
		.amdhsa_user_sgpr_flat_scratch_init 0
		.amdhsa_user_sgpr_kernarg_preload_length 0
		.amdhsa_user_sgpr_kernarg_preload_offset 0
		.amdhsa_user_sgpr_private_segment_size 0
		.amdhsa_uses_dynamic_stack 0
		.amdhsa_system_sgpr_private_segment_wavefront_offset 0
		.amdhsa_system_sgpr_workgroup_id_x 1
		.amdhsa_system_sgpr_workgroup_id_y 0
		.amdhsa_system_sgpr_workgroup_id_z 0
		.amdhsa_system_sgpr_workgroup_info 0
		.amdhsa_system_vgpr_workitem_id 0
		.amdhsa_next_free_vgpr 52
		.amdhsa_next_free_sgpr 24
		.amdhsa_accum_offset 52
		.amdhsa_reserve_vcc 1
		.amdhsa_reserve_flat_scratch 0
		.amdhsa_float_round_mode_32 0
		.amdhsa_float_round_mode_16_64 0
		.amdhsa_float_denorm_mode_32 3
		.amdhsa_float_denorm_mode_16_64 3
		.amdhsa_dx10_clamp 1
		.amdhsa_ieee_mode 1
		.amdhsa_fp16_overflow 0
		.amdhsa_tg_split 0
		.amdhsa_exception_fp_ieee_invalid_op 0
		.amdhsa_exception_fp_denorm_src 0
		.amdhsa_exception_fp_ieee_div_zero 0
		.amdhsa_exception_fp_ieee_overflow 0
		.amdhsa_exception_fp_ieee_underflow 0
		.amdhsa_exception_fp_ieee_inexact 0
		.amdhsa_exception_int_div_zero 0
	.end_amdhsa_kernel
	.section	.text._ZN12tensorrt_llm7kernels32fusedQKNormRopeKernelNTokenHeadsIN3c108BFloat16ENS2_4HalfELi256ELb1ELi4EEEvPviiifPKvS7_S7_PKlii,"axG",@progbits,_ZN12tensorrt_llm7kernels32fusedQKNormRopeKernelNTokenHeadsIN3c108BFloat16ENS2_4HalfELi256ELb1ELi4EEEvPviiifPKvS7_S7_PKlii,comdat
.Lfunc_end112:
	.size	_ZN12tensorrt_llm7kernels32fusedQKNormRopeKernelNTokenHeadsIN3c108BFloat16ENS2_4HalfELi256ELb1ELi4EEEvPviiifPKvS7_S7_PKlii, .Lfunc_end112-_ZN12tensorrt_llm7kernels32fusedQKNormRopeKernelNTokenHeadsIN3c108BFloat16ENS2_4HalfELi256ELb1ELi4EEEvPviiifPKvS7_S7_PKlii
                                        ; -- End function
	.section	.AMDGPU.csdata,"",@progbits
; Kernel info:
; codeLenInByte = 2348
; NumSgprs: 28
; NumVgprs: 52
; NumAgprs: 0
; TotalNumVgprs: 52
; ScratchSize: 0
; MemoryBound: 0
; FloatMode: 240
; IeeeMode: 1
; LDSByteSize: 0 bytes/workgroup (compile time only)
; SGPRBlocks: 3
; VGPRBlocks: 6
; NumSGPRsForWavesPerEU: 28
; NumVGPRsForWavesPerEU: 52
; AccumOffset: 52
; Occupancy: 8
; WaveLimiterHint : 0
; COMPUTE_PGM_RSRC2:SCRATCH_EN: 0
; COMPUTE_PGM_RSRC2:USER_SGPR: 6
; COMPUTE_PGM_RSRC2:TRAP_HANDLER: 0
; COMPUTE_PGM_RSRC2:TGID_X_EN: 1
; COMPUTE_PGM_RSRC2:TGID_Y_EN: 0
; COMPUTE_PGM_RSRC2:TGID_Z_EN: 0
; COMPUTE_PGM_RSRC2:TIDIG_COMP_CNT: 0
; COMPUTE_PGM_RSRC3_GFX90A:ACCUM_OFFSET: 12
; COMPUTE_PGM_RSRC3_GFX90A:TG_SPLIT: 0
	.section	.text._ZN12tensorrt_llm7kernels32fusedQKNormRopeKernelNTokenHeadsIN3c108BFloat16ENS2_4HalfELi256ELb0ELi4EEEvPviiifPKvS7_S7_PKlii,"axG",@progbits,_ZN12tensorrt_llm7kernels32fusedQKNormRopeKernelNTokenHeadsIN3c108BFloat16ENS2_4HalfELi256ELb0ELi4EEEvPviiifPKvS7_S7_PKlii,comdat
	.protected	_ZN12tensorrt_llm7kernels32fusedQKNormRopeKernelNTokenHeadsIN3c108BFloat16ENS2_4HalfELi256ELb0ELi4EEEvPviiifPKvS7_S7_PKlii ; -- Begin function _ZN12tensorrt_llm7kernels32fusedQKNormRopeKernelNTokenHeadsIN3c108BFloat16ENS2_4HalfELi256ELb0ELi4EEEvPviiifPKvS7_S7_PKlii
	.globl	_ZN12tensorrt_llm7kernels32fusedQKNormRopeKernelNTokenHeadsIN3c108BFloat16ENS2_4HalfELi256ELb0ELi4EEEvPviiifPKvS7_S7_PKlii
	.p2align	8
	.type	_ZN12tensorrt_llm7kernels32fusedQKNormRopeKernelNTokenHeadsIN3c108BFloat16ENS2_4HalfELi256ELb0ELi4EEEvPviiifPKvS7_S7_PKlii,@function
_ZN12tensorrt_llm7kernels32fusedQKNormRopeKernelNTokenHeadsIN3c108BFloat16ENS2_4HalfELi256ELb0ELi4EEEvPviiifPKvS7_S7_PKlii: ; @_ZN12tensorrt_llm7kernels32fusedQKNormRopeKernelNTokenHeadsIN3c108BFloat16ENS2_4HalfELi256ELb0ELi4EEEvPviiifPKvS7_S7_PKlii
; %bb.0:
	s_load_dwordx4 s[12:15], s[4:5], 0x8
	s_load_dwordx2 s[2:3], s[4:5], 0x38
	s_load_dword s1, s[4:5], 0x4c
	v_lshrrev_b32_e32 v1, 5, v0
	s_waitcnt lgkmcnt(0)
	s_add_i32 s0, s13, s12
	s_add_i32 s7, s0, 3
	s_ashr_i32 s8, s7, 31
	s_lshr_b32 s8, s8, 30
	s_add_i32 s7, s7, s8
	s_ashr_i32 s20, s7, 2
	s_abs_i32 s7, s20
	v_cvt_f32_u32_e32 v2, s7
	s_bfe_u32 s1, s1, 0xb0005
	s_mul_i32 s6, s6, s1
	v_add_u32_e32 v3, s6, v1
	v_rcp_iflag_f32_e32 v2, v2
	s_sub_i32 s6, 0, s7
	v_sub_u32_e32 v4, 0, v3
	v_max_i32_e32 v4, v3, v4
	v_mul_f32_e32 v2, 0x4f7ffffe, v2
	v_cvt_u32_f32_e32 v2, v2
	v_xor_b32_e32 v5, s20, v3
	v_ashrrev_i32_e32 v5, 31, v5
	v_mul_lo_u32 v6, s6, v2
	v_mul_hi_u32 v6, v2, v6
	v_add_u32_e32 v2, v2, v6
	v_mul_hi_u32 v2, v4, v2
	v_mul_lo_u32 v6, v2, s7
	v_sub_u32_e32 v4, v4, v6
	v_add_u32_e32 v6, 1, v2
	v_cmp_le_u32_e32 vcc, s7, v4
	v_cndmask_b32_e32 v2, v2, v6, vcc
	v_subrev_u32_e32 v6, s7, v4
	v_cndmask_b32_e32 v4, v4, v6, vcc
	v_add_u32_e32 v6, 1, v2
	v_cmp_le_u32_e32 vcc, s7, v4
	v_cndmask_b32_e32 v2, v2, v6, vcc
	v_xor_b32_e32 v2, v2, v5
	v_sub_u32_e32 v2, v2, v5
	v_cmp_gt_i32_e32 vcc, s2, v2
	s_and_saveexec_b64 s[6:7], vcc
	s_cbranch_execz .LBB113_44
; %bb.1:
	v_mul_lo_u32 v4, v2, s20
	v_sub_u32_e32 v4, v3, v4
	s_load_dwordx2 s[16:17], s[4:5], 0x0
	v_lshlrev_b32_e32 v18, 2, v4
	v_add_u32_e32 v4, 4, v18
	v_sub_u32_e32 v5, s0, v18
	v_cmp_lt_i32_e32 vcc, s0, v4
	v_and_b32_e32 v6, 31, v0
	v_cndmask_b32_e32 v19, 4, v5, vcc
	s_lshl_b32 s2, s3, 1
	s_mul_i32 s21, s2, s1
	v_lshlrev_b32_e32 v7, 11, v1
	v_cmp_lt_i32_e64 s[0:1], 0, v19
	v_lshlrev_b32_e32 v17, 4, v6
	v_lshlrev_b32_e32 v16, 10, v3
	s_and_saveexec_b64 s[6:7], s[0:1]
	s_cbranch_execz .LBB113_4
; %bb.2:
	s_add_i32 s8, s21, 0
	v_add3_u32 v3, s8, v7, v17
	s_add_i32 s8, s14, s13
	s_add_i32 s8, s8, s12
	s_lshl_b32 s9, s20, 2
	s_sub_i32 s8, s8, s9
	v_mul_lo_u32 v4, s8, v2
	v_lshl_add_u32 v4, v4, 8, v16
	s_mov_b32 s10, 0
	v_lshl_or_b32 v4, v6, 3, v4
	s_mov_b64 s[8:9], 0
	s_waitcnt lgkmcnt(0)
	v_mov_b32_e32 v8, s17
.LBB113_3:                              ; =>This Inner Loop Header: Depth=1
	v_ashrrev_i32_e32 v5, 31, v4
	v_lshlrev_b64 v[10:11], 1, v[4:5]
	v_add_co_u32_e32 v10, vcc, s16, v10
	v_addc_co_u32_e32 v11, vcc, v8, v11, vcc
	global_load_dwordx4 v[10:13], v[10:11], off
	s_add_i32 s10, s10, 1
	v_cmp_ge_i32_e32 vcc, s10, v19
	v_add_u32_e32 v4, 0x100, v4
	s_or_b64 s[8:9], vcc, s[8:9]
	s_waitcnt vmcnt(0)
	ds_write_b128 v3, v[10:13]
	v_add_u32_e32 v3, 0x200, v3
	s_andn2_b64 exec, exec, s[8:9]
	s_cbranch_execnz .LBB113_3
.LBB113_4:
	s_or_b64 exec, exec, s[6:7]
	s_add_i32 s2, s2, 15
	s_load_dwordx8 s[4:11], s[4:5], 0x18
	s_ashr_i32 s18, s2, 31
	s_lshr_b32 s18, s18, 28
	s_add_i32 s2, s2, s18
	s_ashr_i32 s2, s2, 4
	v_cmp_gt_i32_e32 vcc, s2, v6
	v_mul_lo_u32 v4, v1, s3
	s_and_saveexec_b64 s[18:19], vcc
	s_cbranch_execz .LBB113_7
; %bb.5:
	v_ashrrev_i32_e32 v3, 31, v2
	v_lshlrev_b64 v[8:9], 3, v[2:3]
	s_waitcnt lgkmcnt(0)
	v_mov_b32_e32 v1, s11
	v_add_co_u32_e32 v8, vcc, s10, v8
	v_addc_co_u32_e32 v9, vcc, v1, v9, vcc
	global_load_dwordx2 v[8:9], v[8:9], off
	s_ashr_i32 s22, s3, 31
	v_lshlrev_b32_e32 v1, 1, v4
	v_and_b32_e32 v0, 31, v0
	v_add3_u32 v3, v1, v17, 0
	v_lshlrev_b32_e32 v10, 4, v0
	v_mov_b32_e32 v5, s9
	s_mov_b64 s[10:11], 0
	s_waitcnt vmcnt(0)
	v_mul_lo_u32 v9, v9, s3
	v_mul_lo_u32 v11, v8, s22
	v_mad_u64_u32 v[0:1], s[22:23], v8, s3, 0
	v_add3_u32 v1, v1, v11, v9
	v_lshlrev_b64 v[0:1], 1, v[0:1]
	v_add_co_u32_e32 v0, vcc, v0, v10
	v_addc_co_u32_e32 v1, vcc, 0, v1, vcc
	v_add_co_u32_e32 v0, vcc, s8, v0
	v_addc_co_u32_e32 v1, vcc, v5, v1, vcc
	v_mov_b32_e32 v5, v6
.LBB113_6:                              ; =>This Inner Loop Header: Depth=1
	global_load_dwordx4 v[8:11], v[0:1], off
	v_add_co_u32_e32 v0, vcc, 0x200, v0
	v_add_u32_e32 v5, 32, v5
	v_addc_co_u32_e32 v1, vcc, 0, v1, vcc
	v_cmp_le_i32_e32 vcc, s2, v5
	s_or_b64 s[10:11], vcc, s[10:11]
	s_waitcnt vmcnt(0)
	ds_write_b128 v3, v[8:11]
	v_add_u32_e32 v3, 0x200, v3
	s_andn2_b64 exec, exec, s[10:11]
	s_cbranch_execnz .LBB113_6
.LBB113_7:
	s_or_b64 exec, exec, s[18:19]
	s_and_b64 exec, exec, s[0:1]
	s_cbranch_execz .LBB113_44
; %bb.8:
	s_waitcnt lgkmcnt(0)
	global_load_dwordx4 v[8:11], v17, s[4:5]
	global_load_dwordx4 v[12:15], v17, s[6:7]
	v_mbcnt_lo_u32_b32 v1, -1, 0
	s_abs_i32 s4, s3
	v_mbcnt_hi_u32_b32 v1, -1, v1
	v_cvt_f32_u32_e32 v22, s4
	v_and_b32_e32 v20, 0x60, v1
	v_xor_b32_e32 v21, 16, v1
	v_add_u32_e32 v20, 32, v20
	v_xor_b32_e32 v23, 8, v1
	v_cmp_lt_i32_e32 vcc, v21, v20
	v_xor_b32_e32 v24, 4, v1
	v_cndmask_b32_e32 v21, v1, v21, vcc
	v_cmp_lt_i32_e32 vcc, v23, v20
	v_rcp_iflag_f32_e32 v29, v22
	v_xor_b32_e32 v25, 2, v1
	v_cndmask_b32_e32 v23, v1, v23, vcc
	v_cmp_lt_i32_e32 vcc, v24, v20
	s_ashr_i32 s1, s3, 31
	v_xor_b32_e32 v26, 1, v1
	v_cndmask_b32_e32 v24, v1, v24, vcc
	v_cmp_lt_i32_e32 vcc, v25, v20
	s_lshr_b32 s2, s1, 29
	s_lshr_b32 s1, s1, 28
	v_cndmask_b32_e32 v25, v1, v25, vcc
	v_cmp_lt_i32_e32 vcc, v26, v20
	s_lshr_b32 s0, s3, 31
	s_add_i32 s1, s3, s1
	v_cndmask_b32_e32 v26, v1, v26, vcc
	v_lshlrev_b32_e32 v20, 2, v21
	v_lshlrev_b32_e32 v21, 2, v23
	v_lshlrev_b32_e32 v23, 2, v25
	v_mul_f32_e32 v25, 0x4f7ffffe, v29
	s_add_i32 s0, s3, s0
	v_and_b32_e32 v27, 64, v1
	s_ashr_i32 s1, s1, 4
	v_lshlrev_b32_e32 v22, 2, v24
	v_lshlrev_b32_e32 v24, 2, v26
	v_cvt_u32_f32_e32 v26, v25
	v_lshl_add_u32 v0, v4, 1, 0
	s_and_b32 s0, s0, -2
	s_add_i32 s2, s3, s2
	v_add_u32_e32 v27, 64, v27
	v_xor_b32_e32 v28, s1, v1
	v_add_u32_e32 v49, s0, v0
	s_ashr_i32 s0, s2, 3
	v_cmp_lt_i32_e64 s[2:3], v28, v27
	s_sub_i32 s5, 0, s4
	v_cndmask_b32_e64 v1, v1, v28, s[2:3]
	v_lshlrev_b32_e32 v25, 2, v1
	v_mul_lo_u32 v1, s5, v26
	v_mul_hi_u32 v1, v26, v1
	v_add_u32_e32 v1, v26, v1
	v_mul_hi_u32 v26, v17, v1
	v_mul_lo_u32 v26, v26, s4
	v_or_b32_e32 v3, 2, v17
	v_sub_u32_e32 v26, v17, v26
	v_subrev_u32_e32 v27, s4, v26
	v_cmp_le_u32_e64 s[2:3], s4, v26
	v_mul_hi_u32 v36, v3, v1
	v_cndmask_b32_e64 v26, v26, v27, s[2:3]
	v_mul_lo_u32 v36, v36, s4
	v_subrev_u32_e32 v27, s4, v26
	v_cmp_le_u32_e64 s[2:3], s4, v26
	v_sub_u32_e32 v3, v3, v36
	v_cndmask_b32_e64 v26, v26, v27, s[2:3]
	v_subrev_u32_e32 v36, s4, v3
	v_cmp_le_u32_e64 s[2:3], s4, v3
	v_cndmask_b32_e64 v3, v3, v36, s[2:3]
	v_subrev_u32_e32 v36, s4, v3
	v_cmp_le_u32_e64 s[2:3], s4, v3
	v_cndmask_b32_e64 v3, v3, v36, s[2:3]
	v_or_b32_e32 v4, 4, v17
	v_and_b32_e32 v3, -2, v3
	v_add_u32_e32 v36, v0, v3
	v_add_u32_e32 v37, v49, v3
	v_mul_hi_u32 v3, v4, v1
	v_mul_lo_u32 v3, v3, s4
	v_sub_u32_e32 v3, v4, v3
	v_subrev_u32_e32 v4, s4, v3
	v_cmp_le_u32_e64 s[2:3], s4, v3
	v_cndmask_b32_e64 v3, v3, v4, s[2:3]
	v_subrev_u32_e32 v4, s4, v3
	v_cmp_le_u32_e64 s[2:3], s4, v3
	v_cndmask_b32_e64 v3, v3, v4, s[2:3]
	v_or_b32_e32 v5, 6, v17
	v_and_b32_e32 v3, -2, v3
	v_add_u32_e32 v38, v0, v3
	v_add_u32_e32 v39, v49, v3
	v_mul_hi_u32 v3, v5, v1
	v_mul_lo_u32 v3, v3, s4
	v_sub_u32_e32 v3, v5, v3
	;; [unrolled: 13-line block ×5, first 2 shown]
	v_subrev_u32_e32 v4, s4, v3
	v_cmp_le_u32_e64 s[2:3], s4, v3
	v_or_b32_e32 v48, 14, v17
	v_cndmask_b32_e64 v3, v3, v4, s[2:3]
	v_subrev_u32_e32 v4, s4, v3
	v_cmp_le_u32_e64 s[2:3], s4, v3
	v_mul_hi_u32 v1, v48, v1
	v_cndmask_b32_e64 v3, v3, v4, s[2:3]
	v_mul_lo_u32 v1, v1, s4
	v_and_b32_e32 v3, -2, v3
	v_sub_u32_e32 v1, v48, v1
	v_add_u32_e32 v46, v0, v3
	v_add_u32_e32 v47, v49, v3
	v_subrev_u32_e32 v3, s4, v1
	v_cmp_le_u32_e64 s[2:3], s4, v1
	v_cndmask_b32_e64 v1, v1, v3, s[2:3]
	v_subrev_u32_e32 v3, s4, v1
	v_cmp_le_u32_e64 s[2:3], s4, v1
	v_cndmask_b32_e64 v1, v1, v3, s[2:3]
	s_add_i32 s2, s14, s13
	s_add_i32 s2, s2, s12
	s_lshl_b32 s3, s20, 2
	v_and_b32_e32 v35, -2, v26
	v_and_b32_e32 v1, -2, v1
	s_sub_i32 s2, s2, s3
	v_add_u32_e32 v34, v0, v35
	v_add_u32_e32 v48, v0, v1
	v_mul_lo_u32 v0, s2, v2
	v_lshl_add_u32 v0, v0, 8, v16
	v_lshl_or_b32 v16, v6, 3, v0
	v_add_u32_e32 v0, s21, v7
	s_mov_b32 s8, 0
	v_cmp_gt_i32_e32 vcc, s0, v6
	v_cmp_gt_i32_e64 s[0:1], s1, v6
	s_waitcnt vmcnt(1)
	v_lshrrev_b32_e32 v26, 16, v8
	v_lshrrev_b32_e32 v27, 16, v9
	;; [unrolled: 1-line block ×4, first 2 shown]
	s_waitcnt vmcnt(0)
	v_lshrrev_b32_e32 v30, 16, v12
	v_lshrrev_b32_e32 v31, 16, v13
	;; [unrolled: 1-line block ×4, first 2 shown]
	v_add_u32_e32 v35, v49, v35
	v_add_u32_e32 v49, v49, v1
	v_add3_u32 v50, v0, v17, 0
	s_mov_b64 s[6:7], 0
	s_mov_b32 s9, 0x800000
	s_mov_b32 s10, 0x7f800000
	s_movk_i32 s11, 0x7fff
	s_mov_b32 s13, 0x7060302
	v_mov_b32_e32 v51, 0
	s_branch .LBB113_10
.LBB113_9:                              ;   in Loop: Header=BB113_10 Depth=1
	s_or_b64 exec, exec, s[4:5]
	v_ashrrev_i32_e32 v17, 31, v16
	v_lshlrev_b64 v[0:1], 1, v[16:17]
	v_mov_b32_e32 v2, s17
	v_add_co_u32_e64 v4, s[2:3], s16, v0
	v_addc_co_u32_e64 v5, s[2:3], v2, v1, s[2:3]
	s_add_i32 s8, s8, 1
	v_cmp_ge_i32_e64 s[2:3], s8, v19
	v_perm_b32 v3, v59, v58, s13
	v_perm_b32 v2, v57, v56, s13
	;; [unrolled: 1-line block ×4, first 2 shown]
	v_add_u32_e32 v16, 0x100, v16
	s_or_b64 s[6:7], s[2:3], s[6:7]
	v_add_u32_e32 v50, 0x200, v50
	global_store_dwordx4 v[4:5], v[0:3], off
	s_andn2_b64 exec, exec, s[6:7]
	s_cbranch_execz .LBB113_44
.LBB113_10:                             ; =>This Inner Loop Header: Depth=1
	ds_read_b128 v[0:3], v50
	v_mov_b32_e32 v54, s15
	s_waitcnt lgkmcnt(0)
	v_and_b32_e32 v52, 0xffff0000, v0
	v_lshlrev_b32_e32 v17, 16, v0
	v_and_b32_e32 v5, 0xffff0000, v1
	v_lshlrev_b32_e32 v4, 16, v1
	v_mul_f32_e32 v6, v52, v52
	v_pk_mul_f32 v[0:1], v[4:5], v[4:5]
	v_fmac_f32_e32 v6, v17, v17
	v_add_f32_e32 v0, v6, v0
	v_add_f32_e32 v53, v0, v1
	v_and_b32_e32 v1, 0xffff0000, v2
	v_lshlrev_b32_e32 v0, 16, v2
	v_pk_mul_f32 v[6:7], v[0:1], v[0:1]
	v_add_f32_e32 v2, v53, v6
	v_add_f32_e32 v53, v2, v7
	v_and_b32_e32 v7, 0xffff0000, v3
	v_lshlrev_b32_e32 v6, 16, v3
	v_pk_mul_f32 v[2:3], v[6:7], v[6:7]
	v_add_f32_e32 v2, v53, v2
	v_add_f32_e32 v2, v2, v3
	ds_bpermute_b32 v3, v20, v2
	v_add_u32_e32 v53, s8, v18
	v_cmp_gt_i32_e64 s[2:3], s12, v53
	v_cndmask_b32_e64 v56, v13, v9, s[2:3]
	v_cndmask_b32_e64 v55, v30, v26, s[2:3]
	s_waitcnt lgkmcnt(0)
	v_add_f32_e32 v2, v2, v3
	ds_bpermute_b32 v3, v21, v2
	v_cndmask_b32_e64 v57, v31, v27, s[2:3]
	v_cndmask_b32_e64 v58, v14, v10, s[2:3]
	;; [unrolled: 1-line block ×3, first 2 shown]
	v_lshlrev_b32_e32 v53, 16, v53
	s_waitcnt lgkmcnt(0)
	v_add_f32_e32 v2, v2, v3
	ds_bpermute_b32 v3, v22, v2
	s_waitcnt lgkmcnt(0)
	v_add_f32_e32 v2, v2, v3
	ds_bpermute_b32 v3, v23, v2
	;; [unrolled: 3-line block ×3, first 2 shown]
	s_waitcnt lgkmcnt(0)
	v_add_f32_e32 v2, v2, v3
	v_fmac_f32_e32 v54, 0x3b800000, v2
	v_mul_f32_e32 v2, 0x4b800000, v54
	v_cmp_gt_f32_e64 s[4:5], s9, v54
	v_cndmask_b32_e64 v2, v54, v2, s[4:5]
	v_rsq_f32_e32 v2, v2
	v_lshlrev_b32_e32 v54, 16, v56
	v_lshlrev_b32_e32 v3, 16, v55
	v_lshlrev_b32_e32 v55, 16, v57
	v_mul_f32_e32 v56, 0x45800000, v2
	v_cndmask_b32_e64 v56, v2, v56, s[4:5]
	v_mul_f32_e32 v57, v56, v3
	v_mul_f32_e32 v2, v56, v54
	;; [unrolled: 1-line block ×5, first 2 shown]
	v_lshlrev_b32_e32 v4, 16, v58
	v_cndmask_b32_e64 v5, v15, v11, s[2:3]
	v_mul_f32_e32 v4, v56, v4
	v_lshlrev_b32_e32 v5, 16, v5
	v_mul_f32_e32 v4, v4, v0
	v_cndmask_b32_e64 v0, v32, v28, s[2:3]
	v_mul_f32_e32 v54, v56, v5
	v_cndmask_b32_e64 v5, v33, v29, s[2:3]
	v_lshlrev_b32_e32 v0, 16, v0
	v_lshlrev_b32_e32 v5, 16, v5
	v_mul_f32_e32 v53, v56, v53
	v_mul_f32_e32 v0, v56, v0
	;; [unrolled: 1-line block ×8, first 2 shown]
	s_and_saveexec_b64 s[2:3], vcc
	s_cbranch_execz .LBB113_12
; %bb.11:                               ;   in Loop: Header=BB113_10 Depth=1
	ds_bpermute_b32 v58, v25, v0
	; wave barrier
	ds_read_u16 v17, v35
	ds_read_u16 v52, v36
	ds_read_u16 v53, v37
	ds_read_u16 v54, v38
	ds_read_u16 v55, v39
	ds_read_u16 v56, v40
	ds_read_u16 v57, v41
	s_waitcnt lgkmcnt(6)
	v_cvt_f32_f16_e32 v17, v17
	v_cndmask_b32_e64 v58, v58, -v58, s[0:1]
	v_mul_f32_e32 v17, v58, v17
	ds_read_u16 v58, v34
	s_waitcnt lgkmcnt(0)
	v_fma_mix_f32 v0, v0, v58, v17 op_sel_hi:[0,1,0]
	v_cvt_f32_f16_e32 v17, v53
	ds_bpermute_b32 v53, v25, v1
	ds_bpermute_b32 v58, v25, v4
	s_waitcnt lgkmcnt(1)
	v_cndmask_b32_e64 v53, v53, -v53, s[0:1]
	v_mul_f32_e32 v17, v53, v17
	v_fma_mix_f32 v1, v1, v52, v17 op_sel_hi:[0,1,0]
	ds_bpermute_b32 v52, v25, v2
	v_cvt_f32_f16_e32 v17, v55
	s_waitcnt lgkmcnt(1)
	v_cndmask_b32_e64 v58, v58, -v58, s[0:1]
	s_waitcnt lgkmcnt(0)
	v_cndmask_b32_e64 v52, v52, -v52, s[0:1]
	v_mul_f32_e32 v17, v52, v17
	ds_bpermute_b32 v52, v25, v3
	v_fma_mix_f32 v2, v2, v54, v17 op_sel_hi:[0,1,0]
	v_cvt_f32_f16_e32 v17, v57
	s_waitcnt lgkmcnt(0)
	v_cndmask_b32_e64 v52, v52, -v52, s[0:1]
	v_mul_f32_e32 v17, v52, v17
	v_fma_mix_f32 v3, v3, v56, v17 op_sel_hi:[0,1,0]
	ds_read_u16 v17, v43
	ds_read_u16 v52, v44
	;; [unrolled: 1-line block ×7, first 2 shown]
	s_waitcnt lgkmcnt(6)
	v_cvt_f32_f16_e32 v17, v17
	v_mul_f32_e32 v17, v58, v17
	ds_read_u16 v58, v42
	; wave barrier
	s_waitcnt lgkmcnt(0)
	v_fma_mix_f32 v4, v4, v58, v17 op_sel_hi:[0,1,0]
	v_cvt_f32_f16_e32 v17, v53
	ds_bpermute_b32 v53, v25, v5
	s_waitcnt lgkmcnt(0)
	v_cndmask_b32_e64 v53, v53, -v53, s[0:1]
	v_mul_f32_e32 v17, v53, v17
	v_fma_mix_f32 v5, v5, v52, v17 op_sel_hi:[0,1,0]
	ds_bpermute_b32 v52, v25, v6
	v_cvt_f32_f16_e32 v17, v55
	s_waitcnt lgkmcnt(0)
	v_cndmask_b32_e64 v52, v52, -v52, s[0:1]
	v_mul_f32_e32 v17, v52, v17
	ds_bpermute_b32 v52, v25, v7
	v_fma_mix_f32 v6, v6, v54, v17 op_sel_hi:[0,1,0]
	v_cvt_f32_f16_e32 v17, v57
	s_waitcnt lgkmcnt(0)
	v_cndmask_b32_e64 v52, v52, -v52, s[0:1]
	v_mul_f32_e32 v17, v52, v17
	v_fma_mix_f32 v7, v7, v56, v17 op_sel_hi:[0,1,0]
.LBB113_12:                             ;   in Loop: Header=BB113_10 Depth=1
	s_or_b64 exec, exec, s[2:3]
	v_and_b32_e32 v17, 0x7f800000, v0
	v_cmp_ne_u32_e64 s[2:3], s10, v17
                                        ; implicit-def: $vgpr52
	s_and_saveexec_b64 s[4:5], s[2:3]
	s_xor_b64 s[2:3], exec, s[4:5]
; %bb.13:                               ;   in Loop: Header=BB113_10 Depth=1
	v_bfe_u32 v17, v0, 16, 1
	v_add3_u32 v52, v0, v17, s11
; %bb.14:                               ;   in Loop: Header=BB113_10 Depth=1
	s_andn2_saveexec_b64 s[4:5], s[2:3]
; %bb.15:                               ;   in Loop: Header=BB113_10 Depth=1
	v_or_b32_e32 v17, 0x10000, v0
	v_cmp_eq_u32_sdwa s[2:3], v0, v51 src0_sel:WORD_0 src1_sel:DWORD
	v_cndmask_b32_e64 v52, v17, v0, s[2:3]
; %bb.16:                               ;   in Loop: Header=BB113_10 Depth=1
	s_or_b64 exec, exec, s[4:5]
	v_and_b32_e32 v0, 0x7f800000, v1
	v_cmp_ne_u32_e64 s[2:3], s10, v0
                                        ; implicit-def: $vgpr53
	s_and_saveexec_b64 s[4:5], s[2:3]
	s_xor_b64 s[2:3], exec, s[4:5]
; %bb.17:                               ;   in Loop: Header=BB113_10 Depth=1
	v_bfe_u32 v0, v1, 16, 1
	v_add3_u32 v53, v1, v0, s11
; %bb.18:                               ;   in Loop: Header=BB113_10 Depth=1
	s_andn2_saveexec_b64 s[4:5], s[2:3]
; %bb.19:                               ;   in Loop: Header=BB113_10 Depth=1
	v_or_b32_e32 v0, 0x10000, v1
	v_cmp_eq_u32_sdwa s[2:3], v1, v51 src0_sel:WORD_0 src1_sel:DWORD
	v_cndmask_b32_e64 v53, v0, v1, s[2:3]
; %bb.20:                               ;   in Loop: Header=BB113_10 Depth=1
	s_or_b64 exec, exec, s[4:5]
	v_and_b32_e32 v0, 0x7f800000, v2
	v_cmp_ne_u32_e64 s[2:3], s10, v0
                                        ; implicit-def: $vgpr54
	s_and_saveexec_b64 s[4:5], s[2:3]
	s_xor_b64 s[2:3], exec, s[4:5]
; %bb.21:                               ;   in Loop: Header=BB113_10 Depth=1
	v_bfe_u32 v0, v2, 16, 1
	v_add3_u32 v54, v2, v0, s11
; %bb.22:                               ;   in Loop: Header=BB113_10 Depth=1
	s_andn2_saveexec_b64 s[4:5], s[2:3]
; %bb.23:                               ;   in Loop: Header=BB113_10 Depth=1
	v_or_b32_e32 v0, 0x10000, v2
	v_cmp_eq_u32_sdwa s[2:3], v2, v51 src0_sel:WORD_0 src1_sel:DWORD
	v_cndmask_b32_e64 v54, v0, v2, s[2:3]
; %bb.24:                               ;   in Loop: Header=BB113_10 Depth=1
	s_or_b64 exec, exec, s[4:5]
	v_and_b32_e32 v0, 0x7f800000, v3
	v_cmp_ne_u32_e64 s[2:3], s10, v0
                                        ; implicit-def: $vgpr55
	s_and_saveexec_b64 s[4:5], s[2:3]
	s_xor_b64 s[2:3], exec, s[4:5]
; %bb.25:                               ;   in Loop: Header=BB113_10 Depth=1
	v_bfe_u32 v0, v3, 16, 1
	v_add3_u32 v55, v3, v0, s11
; %bb.26:                               ;   in Loop: Header=BB113_10 Depth=1
	s_andn2_saveexec_b64 s[4:5], s[2:3]
; %bb.27:                               ;   in Loop: Header=BB113_10 Depth=1
	v_or_b32_e32 v0, 0x10000, v3
	v_cmp_eq_u32_sdwa s[2:3], v3, v51 src0_sel:WORD_0 src1_sel:DWORD
	v_cndmask_b32_e64 v55, v0, v3, s[2:3]
; %bb.28:                               ;   in Loop: Header=BB113_10 Depth=1
	s_or_b64 exec, exec, s[4:5]
	v_and_b32_e32 v0, 0x7f800000, v4
	v_cmp_ne_u32_e64 s[2:3], s10, v0
                                        ; implicit-def: $vgpr56
	s_and_saveexec_b64 s[4:5], s[2:3]
	s_xor_b64 s[2:3], exec, s[4:5]
; %bb.29:                               ;   in Loop: Header=BB113_10 Depth=1
	v_bfe_u32 v0, v4, 16, 1
	v_add3_u32 v56, v4, v0, s11
; %bb.30:                               ;   in Loop: Header=BB113_10 Depth=1
	s_andn2_saveexec_b64 s[4:5], s[2:3]
; %bb.31:                               ;   in Loop: Header=BB113_10 Depth=1
	v_or_b32_e32 v0, 0x10000, v4
	v_cmp_eq_u32_sdwa s[2:3], v4, v51 src0_sel:WORD_0 src1_sel:DWORD
	v_cndmask_b32_e64 v56, v0, v4, s[2:3]
; %bb.32:                               ;   in Loop: Header=BB113_10 Depth=1
	s_or_b64 exec, exec, s[4:5]
	v_and_b32_e32 v0, 0x7f800000, v5
	v_cmp_ne_u32_e64 s[2:3], s10, v0
                                        ; implicit-def: $vgpr57
	s_and_saveexec_b64 s[4:5], s[2:3]
	s_xor_b64 s[2:3], exec, s[4:5]
; %bb.33:                               ;   in Loop: Header=BB113_10 Depth=1
	v_bfe_u32 v0, v5, 16, 1
	v_add3_u32 v57, v5, v0, s11
; %bb.34:                               ;   in Loop: Header=BB113_10 Depth=1
	s_andn2_saveexec_b64 s[4:5], s[2:3]
; %bb.35:                               ;   in Loop: Header=BB113_10 Depth=1
	v_or_b32_e32 v0, 0x10000, v5
	v_cmp_eq_u32_sdwa s[2:3], v5, v51 src0_sel:WORD_0 src1_sel:DWORD
	v_cndmask_b32_e64 v57, v0, v5, s[2:3]
; %bb.36:                               ;   in Loop: Header=BB113_10 Depth=1
	s_or_b64 exec, exec, s[4:5]
	v_and_b32_e32 v0, 0x7f800000, v6
	v_cmp_ne_u32_e64 s[2:3], s10, v0
                                        ; implicit-def: $vgpr58
	s_and_saveexec_b64 s[4:5], s[2:3]
	s_xor_b64 s[2:3], exec, s[4:5]
; %bb.37:                               ;   in Loop: Header=BB113_10 Depth=1
	v_bfe_u32 v0, v6, 16, 1
	v_add3_u32 v58, v6, v0, s11
; %bb.38:                               ;   in Loop: Header=BB113_10 Depth=1
	s_andn2_saveexec_b64 s[4:5], s[2:3]
; %bb.39:                               ;   in Loop: Header=BB113_10 Depth=1
	v_or_b32_e32 v0, 0x10000, v6
	v_cmp_eq_u32_sdwa s[2:3], v6, v51 src0_sel:WORD_0 src1_sel:DWORD
	v_cndmask_b32_e64 v58, v0, v6, s[2:3]
; %bb.40:                               ;   in Loop: Header=BB113_10 Depth=1
	s_or_b64 exec, exec, s[4:5]
	v_and_b32_e32 v0, 0x7f800000, v7
	v_cmp_ne_u32_e64 s[2:3], s10, v0
                                        ; implicit-def: $vgpr59
	s_and_saveexec_b64 s[4:5], s[2:3]
	s_xor_b64 s[2:3], exec, s[4:5]
; %bb.41:                               ;   in Loop: Header=BB113_10 Depth=1
	v_bfe_u32 v0, v7, 16, 1
	v_add3_u32 v59, v7, v0, s11
                                        ; implicit-def: $vgpr0_vgpr1_vgpr2_vgpr3_vgpr4_vgpr5_vgpr6_vgpr7
; %bb.42:                               ;   in Loop: Header=BB113_10 Depth=1
	s_andn2_saveexec_b64 s[4:5], s[2:3]
	s_cbranch_execz .LBB113_9
; %bb.43:                               ;   in Loop: Header=BB113_10 Depth=1
	v_or_b32_e32 v0, 0x10000, v7
	v_cmp_eq_u32_sdwa s[2:3], v7, v51 src0_sel:WORD_0 src1_sel:DWORD
	v_cndmask_b32_e64 v59, v0, v7, s[2:3]
	s_branch .LBB113_9
.LBB113_44:
	s_endpgm
	.section	.rodata,"a",@progbits
	.p2align	6, 0x0
	.amdhsa_kernel _ZN12tensorrt_llm7kernels32fusedQKNormRopeKernelNTokenHeadsIN3c108BFloat16ENS2_4HalfELi256ELb0ELi4EEEvPviiifPKvS7_S7_PKlii
		.amdhsa_group_segment_fixed_size 0
		.amdhsa_private_segment_fixed_size 0
		.amdhsa_kernarg_size 320
		.amdhsa_user_sgpr_count 6
		.amdhsa_user_sgpr_private_segment_buffer 1
		.amdhsa_user_sgpr_dispatch_ptr 0
		.amdhsa_user_sgpr_queue_ptr 0
		.amdhsa_user_sgpr_kernarg_segment_ptr 1
		.amdhsa_user_sgpr_dispatch_id 0
		.amdhsa_user_sgpr_flat_scratch_init 0
		.amdhsa_user_sgpr_kernarg_preload_length 0
		.amdhsa_user_sgpr_kernarg_preload_offset 0
		.amdhsa_user_sgpr_private_segment_size 0
		.amdhsa_uses_dynamic_stack 0
		.amdhsa_system_sgpr_private_segment_wavefront_offset 0
		.amdhsa_system_sgpr_workgroup_id_x 1
		.amdhsa_system_sgpr_workgroup_id_y 0
		.amdhsa_system_sgpr_workgroup_id_z 0
		.amdhsa_system_sgpr_workgroup_info 0
		.amdhsa_system_vgpr_workitem_id 0
		.amdhsa_next_free_vgpr 60
		.amdhsa_next_free_sgpr 24
		.amdhsa_accum_offset 60
		.amdhsa_reserve_vcc 1
		.amdhsa_reserve_flat_scratch 0
		.amdhsa_float_round_mode_32 0
		.amdhsa_float_round_mode_16_64 0
		.amdhsa_float_denorm_mode_32 3
		.amdhsa_float_denorm_mode_16_64 3
		.amdhsa_dx10_clamp 1
		.amdhsa_ieee_mode 1
		.amdhsa_fp16_overflow 0
		.amdhsa_tg_split 0
		.amdhsa_exception_fp_ieee_invalid_op 0
		.amdhsa_exception_fp_denorm_src 0
		.amdhsa_exception_fp_ieee_div_zero 0
		.amdhsa_exception_fp_ieee_overflow 0
		.amdhsa_exception_fp_ieee_underflow 0
		.amdhsa_exception_fp_ieee_inexact 0
		.amdhsa_exception_int_div_zero 0
	.end_amdhsa_kernel
	.section	.text._ZN12tensorrt_llm7kernels32fusedQKNormRopeKernelNTokenHeadsIN3c108BFloat16ENS2_4HalfELi256ELb0ELi4EEEvPviiifPKvS7_S7_PKlii,"axG",@progbits,_ZN12tensorrt_llm7kernels32fusedQKNormRopeKernelNTokenHeadsIN3c108BFloat16ENS2_4HalfELi256ELb0ELi4EEEvPviiifPKvS7_S7_PKlii,comdat
.Lfunc_end113:
	.size	_ZN12tensorrt_llm7kernels32fusedQKNormRopeKernelNTokenHeadsIN3c108BFloat16ENS2_4HalfELi256ELb0ELi4EEEvPviiifPKvS7_S7_PKlii, .Lfunc_end113-_ZN12tensorrt_llm7kernels32fusedQKNormRopeKernelNTokenHeadsIN3c108BFloat16ENS2_4HalfELi256ELb0ELi4EEEvPviiifPKvS7_S7_PKlii
                                        ; -- End function
	.section	.AMDGPU.csdata,"",@progbits
; Kernel info:
; codeLenInByte = 3264
; NumSgprs: 28
; NumVgprs: 60
; NumAgprs: 0
; TotalNumVgprs: 60
; ScratchSize: 0
; MemoryBound: 0
; FloatMode: 240
; IeeeMode: 1
; LDSByteSize: 0 bytes/workgroup (compile time only)
; SGPRBlocks: 3
; VGPRBlocks: 7
; NumSGPRsForWavesPerEU: 28
; NumVGPRsForWavesPerEU: 60
; AccumOffset: 60
; Occupancy: 8
; WaveLimiterHint : 0
; COMPUTE_PGM_RSRC2:SCRATCH_EN: 0
; COMPUTE_PGM_RSRC2:USER_SGPR: 6
; COMPUTE_PGM_RSRC2:TRAP_HANDLER: 0
; COMPUTE_PGM_RSRC2:TGID_X_EN: 1
; COMPUTE_PGM_RSRC2:TGID_Y_EN: 0
; COMPUTE_PGM_RSRC2:TGID_Z_EN: 0
; COMPUTE_PGM_RSRC2:TIDIG_COMP_CNT: 0
; COMPUTE_PGM_RSRC3_GFX90A:ACCUM_OFFSET: 14
; COMPUTE_PGM_RSRC3_GFX90A:TG_SPLIT: 0
	.section	.text._ZN12tensorrt_llm7kernels32fusedQKNormRopeKernelNTokenHeadsIN3c108BFloat16ENS2_4HalfELi64ELb1ELi8EEEvPviiifPKvS7_S7_PKlii,"axG",@progbits,_ZN12tensorrt_llm7kernels32fusedQKNormRopeKernelNTokenHeadsIN3c108BFloat16ENS2_4HalfELi64ELb1ELi8EEEvPviiifPKvS7_S7_PKlii,comdat
	.protected	_ZN12tensorrt_llm7kernels32fusedQKNormRopeKernelNTokenHeadsIN3c108BFloat16ENS2_4HalfELi64ELb1ELi8EEEvPviiifPKvS7_S7_PKlii ; -- Begin function _ZN12tensorrt_llm7kernels32fusedQKNormRopeKernelNTokenHeadsIN3c108BFloat16ENS2_4HalfELi64ELb1ELi8EEEvPviiifPKvS7_S7_PKlii
	.globl	_ZN12tensorrt_llm7kernels32fusedQKNormRopeKernelNTokenHeadsIN3c108BFloat16ENS2_4HalfELi64ELb1ELi8EEEvPviiifPKvS7_S7_PKlii
	.p2align	8
	.type	_ZN12tensorrt_llm7kernels32fusedQKNormRopeKernelNTokenHeadsIN3c108BFloat16ENS2_4HalfELi64ELb1ELi8EEEvPviiifPKvS7_S7_PKlii,@function
_ZN12tensorrt_llm7kernels32fusedQKNormRopeKernelNTokenHeadsIN3c108BFloat16ENS2_4HalfELi64ELb1ELi8EEEvPviiifPKvS7_S7_PKlii: ; @_ZN12tensorrt_llm7kernels32fusedQKNormRopeKernelNTokenHeadsIN3c108BFloat16ENS2_4HalfELi64ELb1ELi8EEEvPviiifPKvS7_S7_PKlii
; %bb.0:
	s_load_dwordx4 s[12:15], s[4:5], 0x8
	s_load_dwordx2 s[2:3], s[4:5], 0x38
	s_load_dword s0, s[4:5], 0x4c
	v_lshrrev_b32_e32 v13, 5, v0
	s_waitcnt lgkmcnt(0)
	s_add_i32 s21, s13, s12
	s_add_i32 s1, s21, 7
	s_ashr_i32 s7, s1, 31
	s_lshr_b32 s7, s7, 29
	s_add_i32 s1, s1, s7
	s_ashr_i32 s20, s1, 3
	s_abs_i32 s1, s20
	v_cvt_f32_u32_e32 v1, s1
	s_bfe_u32 s0, s0, 0xb0005
	s_mul_i32 s6, s6, s0
	v_add_u32_e32 v9, s6, v13
	v_rcp_iflag_f32_e32 v1, v1
	s_sub_i32 s6, 0, s1
	v_sub_u32_e32 v2, 0, v9
	v_max_i32_e32 v2, v9, v2
	v_mul_f32_e32 v1, 0x4f7ffffe, v1
	v_cvt_u32_f32_e32 v1, v1
	v_xor_b32_e32 v3, s20, v9
	v_ashrrev_i32_e32 v3, 31, v3
	v_mul_lo_u32 v4, s6, v1
	v_mul_hi_u32 v4, v1, v4
	v_add_u32_e32 v1, v1, v4
	v_mul_hi_u32 v1, v2, v1
	v_mul_lo_u32 v4, v1, s1
	v_sub_u32_e32 v2, v2, v4
	v_add_u32_e32 v4, 1, v1
	v_cmp_le_u32_e32 vcc, s1, v2
	v_cndmask_b32_e32 v1, v1, v4, vcc
	v_subrev_u32_e32 v4, s1, v2
	v_cndmask_b32_e32 v2, v2, v4, vcc
	v_add_u32_e32 v4, 1, v1
	v_cmp_le_u32_e32 vcc, s1, v2
	v_cndmask_b32_e32 v1, v1, v4, vcc
	v_xor_b32_e32 v1, v1, v3
	v_sub_u32_e32 v2, v1, v3
	v_cmp_gt_i32_e32 vcc, s2, v2
	s_and_saveexec_b64 s[6:7], vcc
	s_cbranch_execz .LBB114_25
; %bb.1:
	v_and_b32_e32 v10, 31, v0
	v_mul_lo_u32 v0, v2, s20
	v_sub_u32_e32 v0, v9, v0
	s_load_dwordx2 s[16:17], s[4:5], 0x0
	v_lshlrev_b32_e32 v0, 3, v0
	v_add_u32_e32 v1, 8, v0
	v_sub_u32_e32 v3, s21, v0
	v_cmp_lt_i32_e32 vcc, s21, v1
	v_cndmask_b32_e32 v8, 8, v3, vcc
	s_lshl_b32 s18, s3, 1
	s_mul_i32 s2, s18, s0
	v_lshlrev_b32_e32 v12, 10, v13
	v_cmp_lt_i32_e64 s[0:1], 0, v8
	v_lshlrev_b32_e32 v4, 1, v10
	v_lshlrev_b32_e32 v11, 2, v10
	s_and_saveexec_b64 s[6:7], s[0:1]
	s_cbranch_execz .LBB114_9
; %bb.2:
	s_mov_b32 s19, 1
	v_cmp_ne_u32_e32 vcc, 1, v8
	s_mov_b64 s[10:11], -1
	v_mov_b32_e32 v1, 0
	s_and_saveexec_b64 s[8:9], vcc
	s_cbranch_execz .LBB114_6
; %bb.3:
	s_add_i32 s21, s21, s14
	s_add_i32 s10, s2, 0
	v_mul_lo_u32 v6, v2, s21
	s_mov_b32 s22, 0
	v_add3_u32 v7, s10, v12, v11
	v_mov_b32_e32 v1, v0
	s_mov_b32 s21, s12
	s_mov_b32 s23, s12
	v_mov_b32_e32 v3, v6
	v_mov_b32_e32 v5, v4
	v_and_b32_e32 v14, 0x7ffffffe, v8
	s_mov_b64 s[10:11], 0
	v_mov_b32_e32 v15, s12
	v_mov_b32_e32 v16, s12
	s_waitcnt lgkmcnt(0)
	v_mov_b32_e32 v17, s17
.LBB114_4:                              ; =>This Inner Loop Header: Depth=1
	v_add_u32_e32 v19, s19, v1
	v_add_u32_e32 v18, s22, v0
	v_cmp_le_i32_e32 vcc, s23, v19
	v_cndmask_b32_e32 v20, 0, v15, vcc
	v_cmp_le_i32_e32 vcc, s21, v18
	v_cndmask_b32_e32 v21, 0, v16, vcc
	v_sub_u32_e32 v18, v18, v21
	v_sub_u32_e32 v19, v19, v20
	v_add3_u32 v18, v6, v21, v18
	v_add3_u32 v19, v3, v20, v19
	v_lshl_or_b32 v18, v18, 6, v4
	v_lshl_or_b32 v20, v19, 6, v5
	v_ashrrev_i32_e32 v19, 31, v18
	v_lshlrev_b64 v[18:19], 1, v[18:19]
	v_ashrrev_i32_e32 v21, 31, v20
	v_add_co_u32_e32 v18, vcc, s16, v18
	v_lshlrev_b64 v[20:21], 1, v[20:21]
	v_addc_co_u32_e32 v19, vcc, v17, v19, vcc
	v_add_co_u32_e32 v20, vcc, s16, v20
	v_addc_co_u32_e32 v21, vcc, v17, v21, vcc
	global_load_dword v22, v[18:19], off
	global_load_dword v23, v[20:21], off
	v_add_u32_e32 v14, -2, v14
	v_lshl_add_u32 v18, s22, 7, v7
	v_lshl_add_u32 v19, s19, 7, v7
	s_add_i32 s22, s22, 2
	s_add_i32 s19, s19, 2
	v_cmp_eq_u32_e32 vcc, 0, v14
	s_or_b64 s[10:11], vcc, s[10:11]
	s_waitcnt vmcnt(1)
	ds_write_b32 v18, v22
	s_waitcnt vmcnt(0)
	ds_write_b32 v19, v23
	s_andn2_b64 exec, exec, s[10:11]
	s_cbranch_execnz .LBB114_4
; %bb.5:
	s_or_b64 exec, exec, s[10:11]
	v_and_b32_e32 v1, 0x7ffffffe, v8
	v_cmp_ne_u32_e32 vcc, v8, v1
	s_orn2_b64 s[10:11], vcc, exec
.LBB114_6:
	s_or_b64 exec, exec, s[8:9]
	s_and_b64 exec, exec, s[10:11]
	s_cbranch_execz .LBB114_9
; %bb.7:
	s_add_i32 s8, s14, s13
	s_add_i32 s8, s8, s12
	s_lshl_b32 s9, s20, 3
	s_sub_i32 s8, s8, s9
	v_mul_lo_u32 v3, s8, v2
	v_lshlrev_b32_e32 v5, 3, v9
	v_add3_u32 v3, v1, v3, v5
	v_lshl_or_b32 v6, v3, 6, v4
	v_lshlrev_b32_e32 v3, 7, v1
	v_add3_u32 v3, s2, v12, v3
	v_add3_u32 v3, v3, v11, 0
	s_mov_b64 s[8:9], 0
	s_waitcnt lgkmcnt(0)
	v_mov_b32_e32 v5, s17
.LBB114_8:                              ; =>This Inner Loop Header: Depth=1
	v_ashrrev_i32_e32 v7, 31, v6
	v_lshlrev_b64 v[14:15], 1, v[6:7]
	v_add_co_u32_e32 v14, vcc, s16, v14
	v_addc_co_u32_e32 v15, vcc, v5, v15, vcc
	global_load_dword v7, v[14:15], off
	v_add_u32_e32 v1, 1, v1
	v_cmp_ge_i32_e32 vcc, v1, v8
	v_add_u32_e32 v6, 64, v6
	s_or_b64 s[8:9], vcc, s[8:9]
	s_waitcnt vmcnt(0)
	ds_write_b32 v3, v7
	v_add_u32_e32 v3, 0x80, v3
	s_andn2_b64 exec, exec, s[8:9]
	s_cbranch_execnz .LBB114_8
.LBB114_9:
	s_or_b64 exec, exec, s[6:7]
	s_add_i32 s18, s18, 15
	s_load_dwordx8 s[4:11], s[4:5], 0x18
	s_ashr_i32 s19, s18, 31
	s_lshr_b32 s19, s19, 28
	s_add_i32 s18, s18, s19
	s_ashr_i32 s21, s18, 4
	v_mul_lo_u32 v1, v13, s3
	v_cmp_gt_i32_e32 vcc, s21, v10
	v_lshlrev_b32_e32 v5, 1, v1
	s_and_saveexec_b64 s[18:19], vcc
	s_cbranch_execz .LBB114_12
; %bb.10:
	v_ashrrev_i32_e32 v3, 31, v2
	v_lshlrev_b64 v[6:7], 3, v[2:3]
	s_waitcnt lgkmcnt(0)
	v_mov_b32_e32 v1, s11
	v_add_co_u32_e32 v6, vcc, s10, v6
	v_addc_co_u32_e32 v7, vcc, v1, v7, vcc
	global_load_dwordx2 v[6:7], v[6:7], off
	s_ashr_i32 s22, s3, 31
	v_lshlrev_b32_e32 v3, 4, v10
	v_add3_u32 v1, v5, v3, 0
	v_mov_b32_e32 v13, s9
	s_mov_b64 s[10:11], 0
	s_waitcnt vmcnt(0)
	v_mul_lo_u32 v14, v7, s3
	v_mul_lo_u32 v15, v6, s22
	v_mad_u64_u32 v[6:7], s[22:23], v6, s3, 0
	v_add3_u32 v7, v7, v15, v14
	v_lshlrev_b64 v[6:7], 1, v[6:7]
	v_add_co_u32_e32 v3, vcc, v6, v3
	v_addc_co_u32_e32 v7, vcc, 0, v7, vcc
	v_add_co_u32_e32 v6, vcc, s8, v3
	v_addc_co_u32_e32 v7, vcc, v13, v7, vcc
	v_mov_b32_e32 v3, v10
.LBB114_11:                             ; =>This Inner Loop Header: Depth=1
	global_load_dwordx4 v[14:17], v[6:7], off
	v_add_co_u32_e32 v6, vcc, 0x200, v6
	v_add_u32_e32 v3, 32, v3
	v_addc_co_u32_e32 v7, vcc, 0, v7, vcc
	v_cmp_le_i32_e32 vcc, s21, v3
	s_or_b64 s[10:11], vcc, s[10:11]
	s_waitcnt vmcnt(0)
	ds_write_b128 v1, v[14:17]
	v_add_u32_e32 v1, 0x200, v1
	s_andn2_b64 exec, exec, s[10:11]
	s_cbranch_execnz .LBB114_11
.LBB114_12:
	s_or_b64 exec, exec, s[18:19]
	s_and_b64 exec, exec, s[0:1]
	s_cbranch_execz .LBB114_25
; %bb.13:
	s_waitcnt lgkmcnt(0)
	global_load_dword v1, v11, s[4:5]
	global_load_dword v6, v11, s[6:7]
	v_mbcnt_lo_u32_b32 v3, -1, 0
	s_lshr_b32 s0, s3, 31
	s_add_i32 s1, s14, s13
	v_add_u32_e32 v13, s2, v12
	v_mbcnt_hi_u32_b32 v3, -1, v3
	s_lshl_b32 s11, s20, 3
	s_add_i32 s0, s3, s0
	s_add_i32 s1, s1, s12
	v_add3_u32 v11, v13, v11, 0
	v_and_b32_e32 v13, 0x60, v3
	v_add3_u32 v7, 0, v5, v4
	s_ashr_i32 s2, s0, 1
	s_and_b32 s0, s0, -2
	v_xor_b32_e32 v14, 16, v3
	s_sub_i32 s1, s1, s11
	v_add_u32_e32 v13, 32, v13
	v_xor_b32_e32 v15, 8, v3
	v_cmp_gt_i32_e32 vcc, s2, v10
	v_add_u32_e32 v10, s0, v7
	v_mul_lo_u32 v2, s1, v2
	v_cmp_lt_i32_e64 s[0:1], v14, v13
	v_xor_b32_e32 v16, 4, v3
	v_cndmask_b32_e64 v14, v3, v14, s[0:1]
	v_cmp_lt_i32_e64 s[0:1], v15, v13
	v_xor_b32_e32 v17, 2, v3
	v_cndmask_b32_e64 v15, v3, v15, s[0:1]
	;; [unrolled: 3-line block ×3, first 2 shown]
	v_cmp_lt_i32_e64 s[0:1], v17, v13
	v_lshlrev_b32_e32 v5, 9, v9
	v_cndmask_b32_e64 v17, v3, v17, s[0:1]
	v_cmp_lt_i32_e64 s[0:1], v18, v13
	v_cndmask_b32_e64 v3, v3, v18, s[0:1]
	v_lshl_add_u32 v2, v2, 6, v5
	s_mov_b32 s6, 0
	s_mov_b64 s[4:5], 0
	s_mov_b32 s7, 0xffff0000
	v_mov_b32_e32 v9, s15
	s_mov_b32 s8, 0x800000
	s_mov_b32 s9, 0x7f800000
	s_movk_i32 s10, 0x7fff
	v_mov_b32_e32 v12, s17
	v_lshlrev_b32_e32 v13, 2, v14
	v_lshlrev_b32_e32 v14, 2, v15
	;; [unrolled: 1-line block ×5, first 2 shown]
	v_or_b32_e32 v2, v2, v4
	v_mov_b32_e32 v20, 0
	s_waitcnt vmcnt(1)
	v_lshrrev_b32_e32 v18, 16, v1
	s_waitcnt vmcnt(0)
	v_lshrrev_b32_e32 v19, 16, v6
	s_branch .LBB114_15
.LBB114_14:                             ;   in Loop: Header=BB114_15 Depth=1
	s_or_b64 exec, exec, s[2:3]
	v_lshrrev_b32_e32 v3, 16, v3
	v_and_or_b32 v21, v4, s7, v3
	v_ashrrev_i32_e32 v3, 31, v2
	v_lshlrev_b64 v[4:5], 1, v[2:3]
	v_add_co_u32_e64 v4, s[0:1], s16, v4
	v_addc_co_u32_e64 v5, s[0:1], v12, v5, s[0:1]
	s_add_i32 s6, s6, 1
	v_cmp_ge_i32_e64 s[0:1], s6, v8
	v_add_u32_e32 v2, 64, v2
	s_or_b64 s[4:5], s[0:1], s[4:5]
	v_add_u32_e32 v11, 0x80, v11
	global_store_dword v[4:5], v21, off
	s_andn2_b64 exec, exec, s[4:5]
	s_cbranch_execz .LBB114_25
.LBB114_15:                             ; =>This Inner Loop Header: Depth=1
	ds_read_b32 v3, v11
	s_waitcnt lgkmcnt(0)
	v_and_b32_e32 v5, 0xffff0000, v3
	v_lshlrev_b32_e32 v4, 16, v3
	v_pk_mul_f32 v[22:23], v[4:5], v[4:5]
	v_add_f32_e32 v3, v23, v22
	ds_bpermute_b32 v21, v13, v3
	v_mov_b32_e32 v23, v9
	v_add_u32_e32 v22, s6, v0
	v_cmp_gt_i32_e64 s[2:3], s12, v22
	v_cndmask_b32_e64 v22, v6, v1, s[2:3]
	s_waitcnt lgkmcnt(0)
	v_add_f32_e32 v3, v3, v21
	ds_bpermute_b32 v21, v14, v3
	v_lshlrev_b32_e32 v22, 16, v22
	s_waitcnt lgkmcnt(0)
	v_add_f32_e32 v3, v3, v21
	ds_bpermute_b32 v21, v15, v3
	s_waitcnt lgkmcnt(0)
	v_add_f32_e32 v3, v3, v21
	ds_bpermute_b32 v21, v16, v3
	;; [unrolled: 3-line block ×3, first 2 shown]
	s_waitcnt lgkmcnt(0)
	v_add_f32_e32 v3, v3, v21
	v_fmac_f32_e32 v23, 0x3c800000, v3
	v_mul_f32_e32 v3, 0x4b800000, v23
	v_cmp_gt_f32_e64 s[0:1], s8, v23
	v_cndmask_b32_e64 v3, v23, v3, s[0:1]
	v_rsq_f32_e32 v3, v3
	v_cndmask_b32_e64 v21, v19, v18, s[2:3]
	v_lshlrev_b32_e32 v23, 16, v21
	v_mul_f32_e32 v21, 0x45800000, v3
	v_cndmask_b32_e64 v24, v3, v21, s[0:1]
	v_pk_mul_f32 v[22:23], v[24:25], v[22:23] op_sel_hi:[0,1]
	v_pk_mul_f32 v[4:5], v[22:23], v[4:5]
	s_and_saveexec_b64 s[0:1], vcc
	s_cbranch_execz .LBB114_17
; %bb.16:                               ;   in Loop: Header=BB114_15 Depth=1
	ds_read_u16 v3, v7
	ds_read_u16 v21, v10
	s_waitcnt lgkmcnt(1)
	v_cvt_f32_f16_e32 v23, v3
	s_waitcnt lgkmcnt(0)
	v_cvt_f32_f16_e32 v22, v21
	v_pk_mul_f32 v[24:25], v[4:5], v[22:23]
	v_mov_b32_e32 v3, v24
	v_mul_f32_e32 v25, v4, v23
	v_pk_fma_f32 v[22:23], v[4:5], v[22:23], v[2:3]
	v_fma_mix_f32 v4, -v5, v21, v25 op_sel_hi:[0,1,0]
	v_mov_b32_e32 v5, v23
.LBB114_17:                             ;   in Loop: Header=BB114_15 Depth=1
	s_or_b64 exec, exec, s[0:1]
	v_and_b32_e32 v3, 0x7f800000, v4
	v_cmp_ne_u32_e64 s[0:1], s9, v3
                                        ; implicit-def: $vgpr3
	s_and_saveexec_b64 s[2:3], s[0:1]
	s_xor_b64 s[0:1], exec, s[2:3]
; %bb.18:                               ;   in Loop: Header=BB114_15 Depth=1
	v_bfe_u32 v3, v4, 16, 1
	v_add3_u32 v3, v4, v3, s10
; %bb.19:                               ;   in Loop: Header=BB114_15 Depth=1
	s_andn2_saveexec_b64 s[2:3], s[0:1]
; %bb.20:                               ;   in Loop: Header=BB114_15 Depth=1
	v_or_b32_e32 v3, 0x10000, v4
	v_cmp_eq_u32_sdwa s[0:1], v4, v20 src0_sel:WORD_0 src1_sel:DWORD
	v_cndmask_b32_e64 v3, v3, v4, s[0:1]
; %bb.21:                               ;   in Loop: Header=BB114_15 Depth=1
	s_or_b64 exec, exec, s[2:3]
	v_and_b32_e32 v4, 0x7f800000, v5
	v_cmp_ne_u32_e64 s[0:1], s9, v4
                                        ; implicit-def: $vgpr4
	s_and_saveexec_b64 s[2:3], s[0:1]
	s_xor_b64 s[0:1], exec, s[2:3]
; %bb.22:                               ;   in Loop: Header=BB114_15 Depth=1
	v_bfe_u32 v4, v5, 16, 1
	v_add3_u32 v4, v5, v4, s10
                                        ; implicit-def: $vgpr5
; %bb.23:                               ;   in Loop: Header=BB114_15 Depth=1
	s_andn2_saveexec_b64 s[2:3], s[0:1]
	s_cbranch_execz .LBB114_14
; %bb.24:                               ;   in Loop: Header=BB114_15 Depth=1
	v_or_b32_e32 v4, 0x10000, v5
	v_cmp_eq_u32_sdwa s[0:1], v5, v20 src0_sel:WORD_0 src1_sel:DWORD
	v_cndmask_b32_e64 v4, v4, v5, s[0:1]
	s_branch .LBB114_14
.LBB114_25:
	s_endpgm
	.section	.rodata,"a",@progbits
	.p2align	6, 0x0
	.amdhsa_kernel _ZN12tensorrt_llm7kernels32fusedQKNormRopeKernelNTokenHeadsIN3c108BFloat16ENS2_4HalfELi64ELb1ELi8EEEvPviiifPKvS7_S7_PKlii
		.amdhsa_group_segment_fixed_size 0
		.amdhsa_private_segment_fixed_size 0
		.amdhsa_kernarg_size 320
		.amdhsa_user_sgpr_count 6
		.amdhsa_user_sgpr_private_segment_buffer 1
		.amdhsa_user_sgpr_dispatch_ptr 0
		.amdhsa_user_sgpr_queue_ptr 0
		.amdhsa_user_sgpr_kernarg_segment_ptr 1
		.amdhsa_user_sgpr_dispatch_id 0
		.amdhsa_user_sgpr_flat_scratch_init 0
		.amdhsa_user_sgpr_kernarg_preload_length 0
		.amdhsa_user_sgpr_kernarg_preload_offset 0
		.amdhsa_user_sgpr_private_segment_size 0
		.amdhsa_uses_dynamic_stack 0
		.amdhsa_system_sgpr_private_segment_wavefront_offset 0
		.amdhsa_system_sgpr_workgroup_id_x 1
		.amdhsa_system_sgpr_workgroup_id_y 0
		.amdhsa_system_sgpr_workgroup_id_z 0
		.amdhsa_system_sgpr_workgroup_info 0
		.amdhsa_system_vgpr_workitem_id 0
		.amdhsa_next_free_vgpr 26
		.amdhsa_next_free_sgpr 24
		.amdhsa_accum_offset 28
		.amdhsa_reserve_vcc 1
		.amdhsa_reserve_flat_scratch 0
		.amdhsa_float_round_mode_32 0
		.amdhsa_float_round_mode_16_64 0
		.amdhsa_float_denorm_mode_32 3
		.amdhsa_float_denorm_mode_16_64 3
		.amdhsa_dx10_clamp 1
		.amdhsa_ieee_mode 1
		.amdhsa_fp16_overflow 0
		.amdhsa_tg_split 0
		.amdhsa_exception_fp_ieee_invalid_op 0
		.amdhsa_exception_fp_denorm_src 0
		.amdhsa_exception_fp_ieee_div_zero 0
		.amdhsa_exception_fp_ieee_overflow 0
		.amdhsa_exception_fp_ieee_underflow 0
		.amdhsa_exception_fp_ieee_inexact 0
		.amdhsa_exception_int_div_zero 0
	.end_amdhsa_kernel
	.section	.text._ZN12tensorrt_llm7kernels32fusedQKNormRopeKernelNTokenHeadsIN3c108BFloat16ENS2_4HalfELi64ELb1ELi8EEEvPviiifPKvS7_S7_PKlii,"axG",@progbits,_ZN12tensorrt_llm7kernels32fusedQKNormRopeKernelNTokenHeadsIN3c108BFloat16ENS2_4HalfELi64ELb1ELi8EEEvPviiifPKvS7_S7_PKlii,comdat
.Lfunc_end114:
	.size	_ZN12tensorrt_llm7kernels32fusedQKNormRopeKernelNTokenHeadsIN3c108BFloat16ENS2_4HalfELi64ELb1ELi8EEEvPviiifPKvS7_S7_PKlii, .Lfunc_end114-_ZN12tensorrt_llm7kernels32fusedQKNormRopeKernelNTokenHeadsIN3c108BFloat16ENS2_4HalfELi64ELb1ELi8EEEvPviiifPKvS7_S7_PKlii
                                        ; -- End function
	.section	.AMDGPU.csdata,"",@progbits
; Kernel info:
; codeLenInByte = 1872
; NumSgprs: 28
; NumVgprs: 26
; NumAgprs: 0
; TotalNumVgprs: 26
; ScratchSize: 0
; MemoryBound: 0
; FloatMode: 240
; IeeeMode: 1
; LDSByteSize: 0 bytes/workgroup (compile time only)
; SGPRBlocks: 3
; VGPRBlocks: 3
; NumSGPRsForWavesPerEU: 28
; NumVGPRsForWavesPerEU: 26
; AccumOffset: 28
; Occupancy: 8
; WaveLimiterHint : 0
; COMPUTE_PGM_RSRC2:SCRATCH_EN: 0
; COMPUTE_PGM_RSRC2:USER_SGPR: 6
; COMPUTE_PGM_RSRC2:TRAP_HANDLER: 0
; COMPUTE_PGM_RSRC2:TGID_X_EN: 1
; COMPUTE_PGM_RSRC2:TGID_Y_EN: 0
; COMPUTE_PGM_RSRC2:TGID_Z_EN: 0
; COMPUTE_PGM_RSRC2:TIDIG_COMP_CNT: 0
; COMPUTE_PGM_RSRC3_GFX90A:ACCUM_OFFSET: 6
; COMPUTE_PGM_RSRC3_GFX90A:TG_SPLIT: 0
	.section	.text._ZN12tensorrt_llm7kernels32fusedQKNormRopeKernelNTokenHeadsIN3c108BFloat16ENS2_4HalfELi64ELb0ELi8EEEvPviiifPKvS7_S7_PKlii,"axG",@progbits,_ZN12tensorrt_llm7kernels32fusedQKNormRopeKernelNTokenHeadsIN3c108BFloat16ENS2_4HalfELi64ELb0ELi8EEEvPviiifPKvS7_S7_PKlii,comdat
	.protected	_ZN12tensorrt_llm7kernels32fusedQKNormRopeKernelNTokenHeadsIN3c108BFloat16ENS2_4HalfELi64ELb0ELi8EEEvPviiifPKvS7_S7_PKlii ; -- Begin function _ZN12tensorrt_llm7kernels32fusedQKNormRopeKernelNTokenHeadsIN3c108BFloat16ENS2_4HalfELi64ELb0ELi8EEEvPviiifPKvS7_S7_PKlii
	.globl	_ZN12tensorrt_llm7kernels32fusedQKNormRopeKernelNTokenHeadsIN3c108BFloat16ENS2_4HalfELi64ELb0ELi8EEEvPviiifPKvS7_S7_PKlii
	.p2align	8
	.type	_ZN12tensorrt_llm7kernels32fusedQKNormRopeKernelNTokenHeadsIN3c108BFloat16ENS2_4HalfELi64ELb0ELi8EEEvPviiifPKvS7_S7_PKlii,@function
_ZN12tensorrt_llm7kernels32fusedQKNormRopeKernelNTokenHeadsIN3c108BFloat16ENS2_4HalfELi64ELb0ELi8EEEvPviiifPKvS7_S7_PKlii: ; @_ZN12tensorrt_llm7kernels32fusedQKNormRopeKernelNTokenHeadsIN3c108BFloat16ENS2_4HalfELi64ELb0ELi8EEEvPviiifPKvS7_S7_PKlii
; %bb.0:
	s_load_dwordx4 s[12:15], s[4:5], 0x8
	s_load_dwordx2 s[2:3], s[4:5], 0x38
	s_load_dword s0, s[4:5], 0x4c
	v_lshrrev_b32_e32 v12, 5, v0
	s_waitcnt lgkmcnt(0)
	s_add_i32 s19, s13, s12
	s_add_i32 s1, s19, 7
	s_ashr_i32 s7, s1, 31
	s_lshr_b32 s7, s7, 29
	s_add_i32 s1, s1, s7
	s_ashr_i32 s21, s1, 3
	s_abs_i32 s1, s21
	v_cvt_f32_u32_e32 v1, s1
	s_bfe_u32 s0, s0, 0xb0005
	s_mul_i32 s6, s6, s0
	v_add_u32_e32 v8, s6, v12
	v_rcp_iflag_f32_e32 v1, v1
	s_sub_i32 s6, 0, s1
	v_sub_u32_e32 v2, 0, v8
	v_max_i32_e32 v2, v8, v2
	v_mul_f32_e32 v1, 0x4f7ffffe, v1
	v_cvt_u32_f32_e32 v1, v1
	v_xor_b32_e32 v3, s21, v8
	v_ashrrev_i32_e32 v3, 31, v3
	v_mul_lo_u32 v4, s6, v1
	v_mul_hi_u32 v4, v1, v4
	v_add_u32_e32 v1, v1, v4
	v_mul_hi_u32 v1, v2, v1
	v_mul_lo_u32 v4, v1, s1
	v_sub_u32_e32 v2, v2, v4
	v_add_u32_e32 v4, 1, v1
	v_cmp_le_u32_e32 vcc, s1, v2
	v_cndmask_b32_e32 v1, v1, v4, vcc
	v_subrev_u32_e32 v4, s1, v2
	v_cndmask_b32_e32 v2, v2, v4, vcc
	v_add_u32_e32 v4, 1, v1
	v_cmp_le_u32_e32 vcc, s1, v2
	v_cndmask_b32_e32 v1, v1, v4, vcc
	v_xor_b32_e32 v1, v1, v3
	v_sub_u32_e32 v2, v1, v3
	v_cmp_gt_i32_e32 vcc, s2, v2
	s_and_saveexec_b64 s[6:7], vcc
	s_cbranch_execz .LBB115_25
; %bb.1:
	v_and_b32_e32 v9, 31, v0
	v_mul_lo_u32 v0, v2, s21
	v_sub_u32_e32 v0, v8, v0
	s_load_dwordx2 s[16:17], s[4:5], 0x0
	v_lshlrev_b32_e32 v0, 3, v0
	v_add_u32_e32 v1, 8, v0
	v_sub_u32_e32 v3, s19, v0
	v_cmp_lt_i32_e32 vcc, s19, v1
	v_cndmask_b32_e32 v7, 8, v3, vcc
	s_lshl_b32 s2, s3, 1
	s_mul_i32 s20, s2, s0
	v_lshlrev_b32_e32 v10, 10, v12
	v_cmp_lt_i32_e64 s[0:1], 0, v7
	v_lshlrev_b32_e32 v11, 2, v9
	s_and_saveexec_b64 s[6:7], s[0:1]
	s_cbranch_execz .LBB115_9
; %bb.2:
	s_mov_b32 s18, 1
	v_lshlrev_b32_e32 v4, 1, v9
	v_cmp_ne_u32_e32 vcc, 1, v7
	s_mov_b64 s[10:11], -1
	v_mov_b32_e32 v1, 0
	s_and_saveexec_b64 s[8:9], vcc
	s_cbranch_execz .LBB115_6
; %bb.3:
	s_add_i32 s19, s19, s14
	s_add_i32 s10, s20, 0
	v_mul_lo_u32 v6, v2, s19
	s_mov_b32 s22, 0
	v_add3_u32 v13, s10, v10, v11
	v_mov_b32_e32 v1, v0
	s_mov_b32 s19, s12
	s_mov_b32 s23, s12
	v_mov_b32_e32 v3, v6
	v_mov_b32_e32 v5, v4
	v_and_b32_e32 v14, 0x7ffffffe, v7
	s_mov_b64 s[10:11], 0
	v_mov_b32_e32 v15, s12
	v_mov_b32_e32 v16, s12
	s_waitcnt lgkmcnt(0)
	v_mov_b32_e32 v17, s17
.LBB115_4:                              ; =>This Inner Loop Header: Depth=1
	v_add_u32_e32 v19, s18, v1
	v_add_u32_e32 v18, s22, v0
	v_cmp_le_i32_e32 vcc, s23, v19
	v_cndmask_b32_e32 v20, 0, v15, vcc
	v_cmp_le_i32_e32 vcc, s19, v18
	v_cndmask_b32_e32 v21, 0, v16, vcc
	v_sub_u32_e32 v18, v18, v21
	v_sub_u32_e32 v19, v19, v20
	v_add3_u32 v18, v6, v21, v18
	v_add3_u32 v19, v3, v20, v19
	v_lshl_or_b32 v18, v18, 6, v4
	v_lshl_or_b32 v20, v19, 6, v5
	v_ashrrev_i32_e32 v19, 31, v18
	v_lshlrev_b64 v[18:19], 1, v[18:19]
	v_ashrrev_i32_e32 v21, 31, v20
	v_add_co_u32_e32 v18, vcc, s16, v18
	v_lshlrev_b64 v[20:21], 1, v[20:21]
	v_addc_co_u32_e32 v19, vcc, v17, v19, vcc
	v_add_co_u32_e32 v20, vcc, s16, v20
	v_addc_co_u32_e32 v21, vcc, v17, v21, vcc
	global_load_dword v22, v[18:19], off
	global_load_dword v23, v[20:21], off
	v_add_u32_e32 v14, -2, v14
	v_lshl_add_u32 v18, s22, 7, v13
	v_lshl_add_u32 v19, s18, 7, v13
	s_add_i32 s22, s22, 2
	s_add_i32 s18, s18, 2
	v_cmp_eq_u32_e32 vcc, 0, v14
	s_or_b64 s[10:11], vcc, s[10:11]
	s_waitcnt vmcnt(1)
	ds_write_b32 v18, v22
	s_waitcnt vmcnt(0)
	ds_write_b32 v19, v23
	s_andn2_b64 exec, exec, s[10:11]
	s_cbranch_execnz .LBB115_4
; %bb.5:
	s_or_b64 exec, exec, s[10:11]
	v_and_b32_e32 v1, 0x7ffffffe, v7
	v_cmp_ne_u32_e32 vcc, v7, v1
	s_orn2_b64 s[10:11], vcc, exec
.LBB115_6:
	s_or_b64 exec, exec, s[8:9]
	s_and_b64 exec, exec, s[10:11]
	s_cbranch_execz .LBB115_9
; %bb.7:
	s_add_i32 s8, s14, s13
	s_add_i32 s8, s8, s12
	s_lshl_b32 s9, s21, 3
	s_sub_i32 s8, s8, s9
	v_mul_lo_u32 v3, s8, v2
	v_lshlrev_b32_e32 v5, 3, v8
	v_add3_u32 v3, v1, v3, v5
	v_lshl_or_b32 v4, v3, 6, v4
	v_lshlrev_b32_e32 v3, 7, v1
	v_add3_u32 v3, s20, v10, v3
	v_add3_u32 v3, v3, v11, 0
	s_mov_b64 s[8:9], 0
	s_waitcnt lgkmcnt(0)
	v_mov_b32_e32 v6, s17
.LBB115_8:                              ; =>This Inner Loop Header: Depth=1
	v_ashrrev_i32_e32 v5, 31, v4
	v_lshlrev_b64 v[14:15], 1, v[4:5]
	v_add_co_u32_e32 v14, vcc, s16, v14
	v_addc_co_u32_e32 v15, vcc, v6, v15, vcc
	global_load_dword v5, v[14:15], off
	v_add_u32_e32 v1, 1, v1
	v_cmp_ge_i32_e32 vcc, v1, v7
	v_add_u32_e32 v4, 64, v4
	s_or_b64 s[8:9], vcc, s[8:9]
	s_waitcnt vmcnt(0)
	ds_write_b32 v3, v5
	v_add_u32_e32 v3, 0x80, v3
	s_andn2_b64 exec, exec, s[8:9]
	s_cbranch_execnz .LBB115_8
.LBB115_9:
	s_or_b64 exec, exec, s[6:7]
	s_add_i32 s2, s2, 15
	s_load_dwordx8 s[4:11], s[4:5], 0x18
	s_ashr_i32 s18, s2, 31
	s_lshr_b32 s18, s18, 28
	s_add_i32 s2, s2, s18
	s_ashr_i32 s2, s2, 4
	v_cmp_gt_i32_e32 vcc, s2, v9
	v_mul_lo_u32 v12, v12, s3
	s_and_saveexec_b64 s[18:19], vcc
	s_cbranch_execz .LBB115_12
; %bb.10:
	v_ashrrev_i32_e32 v3, 31, v2
	v_lshlrev_b64 v[4:5], 3, v[2:3]
	s_waitcnt lgkmcnt(0)
	v_mov_b32_e32 v1, s11
	v_add_co_u32_e32 v4, vcc, s10, v4
	v_addc_co_u32_e32 v5, vcc, v1, v5, vcc
	global_load_dwordx2 v[4:5], v[4:5], off
	s_ashr_i32 s22, s3, 31
	v_lshlrev_b32_e32 v1, 1, v12
	v_lshlrev_b32_e32 v3, 4, v9
	v_add3_u32 v1, v1, v3, 0
	v_mov_b32_e32 v6, s9
	s_mov_b64 s[10:11], 0
	s_waitcnt vmcnt(0)
	v_mul_lo_u32 v13, v5, s3
	v_mul_lo_u32 v14, v4, s22
	v_mad_u64_u32 v[4:5], s[22:23], v4, s3, 0
	v_add3_u32 v5, v5, v14, v13
	v_lshlrev_b64 v[4:5], 1, v[4:5]
	v_add_co_u32_e32 v3, vcc, v4, v3
	v_addc_co_u32_e32 v5, vcc, 0, v5, vcc
	v_add_co_u32_e32 v4, vcc, s8, v3
	v_addc_co_u32_e32 v5, vcc, v6, v5, vcc
	v_mov_b32_e32 v3, v9
.LBB115_11:                             ; =>This Inner Loop Header: Depth=1
	global_load_dwordx4 v[14:17], v[4:5], off
	v_add_co_u32_e32 v4, vcc, 0x200, v4
	v_add_u32_e32 v3, 32, v3
	v_addc_co_u32_e32 v5, vcc, 0, v5, vcc
	v_cmp_le_i32_e32 vcc, s2, v3
	s_or_b64 s[10:11], vcc, s[10:11]
	s_waitcnt vmcnt(0)
	ds_write_b128 v1, v[14:17]
	v_add_u32_e32 v1, 0x200, v1
	s_andn2_b64 exec, exec, s[10:11]
	s_cbranch_execnz .LBB115_11
.LBB115_12:
	s_or_b64 exec, exec, s[18:19]
	s_and_b64 exec, exec, s[0:1]
	s_cbranch_execz .LBB115_25
; %bb.13:
	s_waitcnt lgkmcnt(0)
	global_load_dword v1, v11, s[4:5]
	global_load_dword v6, v11, s[6:7]
	v_mbcnt_lo_u32_b32 v4, -1, 0
	s_abs_i32 s4, s3
	s_lshr_b32 s0, s3, 31
	v_mbcnt_hi_u32_b32 v4, -1, v4
	v_cvt_f32_u32_e32 v14, s4
	v_lshl_add_u32 v3, v12, 1, 0
	s_add_i32 s1, s14, s13
	s_add_i32 s0, s3, s0
	v_and_b32_e32 v12, 0x60, v4
	s_add_i32 s7, s1, s12
	s_ashr_i32 s1, s0, 1
	s_and_b32 s0, s0, -2
	v_xor_b32_e32 v13, 16, v4
	v_add_u32_e32 v12, 32, v12
	v_xor_b32_e32 v15, 8, v4
	v_add_u32_e32 v21, s0, v3
	v_cmp_gt_i32_e32 vcc, s1, v9
	s_lshr_b32 s2, s1, 1
	v_cmp_lt_i32_e64 s[0:1], v13, v12
	v_xor_b32_e32 v16, 4, v4
	v_cndmask_b32_e64 v13, v4, v13, s[0:1]
	v_cmp_lt_i32_e64 s[0:1], v15, v12
	v_rcp_iflag_f32_e32 v22, v14
	v_xor_b32_e32 v17, 2, v4
	v_cndmask_b32_e64 v15, v4, v15, s[0:1]
	v_cmp_lt_i32_e64 s[0:1], v16, v12
	v_xor_b32_e32 v18, 1, v4
	v_cndmask_b32_e64 v16, v4, v16, s[0:1]
	v_cmp_lt_i32_e64 s[0:1], v17, v12
	v_cndmask_b32_e64 v17, v4, v17, s[0:1]
	v_cmp_lt_i32_e64 s[0:1], v18, v12
	v_cndmask_b32_e64 v18, v4, v18, s[0:1]
	v_lshlrev_b32_e32 v12, 2, v13
	v_lshlrev_b32_e32 v13, 2, v15
	;; [unrolled: 1-line block ×3, first 2 shown]
	v_mul_f32_e32 v17, 0x4f7ffffe, v22
	v_and_b32_e32 v19, 64, v4
	v_lshlrev_b32_e32 v14, 2, v16
	v_lshlrev_b32_e32 v16, 2, v18
	v_cvt_u32_f32_e32 v18, v17
	v_add_u32_e32 v19, 64, v19
	v_xor_b32_e32 v20, s2, v4
	v_cmp_gt_u32_e64 s[0:1], s2, v9
	v_cmp_lt_i32_e64 s[2:3], v20, v19
	s_sub_i32 s6, 0, s4
	v_cndmask_b32_e64 v4, v4, v20, s[2:3]
	v_lshlrev_b32_e32 v17, 2, v4
	v_mul_lo_u32 v4, s6, v18
	v_mul_hi_u32 v4, v18, v4
	v_add_u32_e32 v4, v18, v4
	v_or_b32_e32 v5, 2, v11
	v_mul_hi_u32 v18, v11, v4
	v_mul_hi_u32 v4, v5, v4
	v_mul_lo_u32 v18, v18, s4
	v_mul_lo_u32 v4, v4, s4
	v_sub_u32_e32 v18, v11, v18
	v_sub_u32_e32 v4, v5, v4
	v_subrev_u32_e32 v5, s4, v18
	v_cmp_le_u32_e64 s[2:3], s4, v18
	v_subrev_u32_e32 v19, s4, v4
	v_cndmask_b32_e64 v5, v18, v5, s[2:3]
	v_cmp_le_u32_e64 s[2:3], s4, v4
	v_cndmask_b32_e64 v4, v4, v19, s[2:3]
	v_subrev_u32_e32 v18, s4, v5
	v_cmp_le_u32_e64 s[2:3], s4, v5
	v_subrev_u32_e32 v19, s4, v4
	v_cndmask_b32_e64 v5, v5, v18, s[2:3]
	v_cmp_le_u32_e64 s[2:3], s4, v4
	s_lshl_b32 s5, s21, 3
	v_cndmask_b32_e64 v4, v4, v19, s[2:3]
	v_and_b32_e32 v5, -2, v5
	v_and_b32_e32 v4, -2, v4
	s_sub_i32 s2, s7, s5
	v_add_u32_e32 v18, v3, v5
	v_add_u32_e32 v20, v3, v4
	v_mul_lo_u32 v2, s2, v2
	v_lshlrev_b32_e32 v3, 9, v8
	v_lshl_add_u32 v2, v2, 6, v3
	v_add_u32_e32 v3, s20, v10
	s_mov_b32 s8, 0
	v_add_u32_e32 v19, v21, v5
	v_add_u32_e32 v21, v21, v4
	s_waitcnt vmcnt(1)
	v_lshrrev_b32_e32 v22, 16, v1
	s_waitcnt vmcnt(0)
	v_lshrrev_b32_e32 v23, 16, v6
	v_lshl_or_b32 v2, v9, 1, v2
	v_add3_u32 v8, v3, v11, 0
	s_mov_b64 s[6:7], 0
	s_mov_b32 s9, 0xffff0000
	v_mov_b32_e32 v9, s15
	s_mov_b32 s10, 0x800000
	s_mov_b32 s11, 0x7f800000
	s_movk_i32 s13, 0x7fff
	v_mov_b32_e32 v10, 0
	s_branch .LBB115_15
.LBB115_14:                             ;   in Loop: Header=BB115_15 Depth=1
	s_or_b64 exec, exec, s[4:5]
	v_lshrrev_b32_e32 v3, 16, v3
	v_and_or_b32 v11, v11, s9, v3
	v_ashrrev_i32_e32 v3, 31, v2
	v_lshlrev_b64 v[4:5], 1, v[2:3]
	v_mov_b32_e32 v3, s17
	v_add_co_u32_e64 v4, s[2:3], s16, v4
	v_addc_co_u32_e64 v5, s[2:3], v3, v5, s[2:3]
	s_add_i32 s8, s8, 1
	v_cmp_ge_i32_e64 s[2:3], s8, v7
	v_add_u32_e32 v2, 64, v2
	s_or_b64 s[6:7], s[2:3], s[6:7]
	v_add_u32_e32 v8, 0x80, v8
	global_store_dword v[4:5], v11, off
	s_andn2_b64 exec, exec, s[6:7]
	s_cbranch_execz .LBB115_25
.LBB115_15:                             ; =>This Inner Loop Header: Depth=1
	ds_read_b32 v3, v8
	v_mov_b32_e32 v11, v9
	s_waitcnt lgkmcnt(0)
	v_and_b32_e32 v24, 0xffff0000, v3
	v_lshlrev_b32_e32 v25, 16, v3
	v_pk_mul_f32 v[4:5], v[24:25], v[24:25]
	v_add_f32_e32 v3, v4, v5
	ds_bpermute_b32 v4, v12, v3
	v_add_u32_e32 v5, s8, v0
	v_cmp_gt_i32_e64 s[2:3], s12, v5
	v_cndmask_b32_e64 v5, v6, v1, s[2:3]
	s_waitcnt lgkmcnt(0)
	v_add_f32_e32 v3, v3, v4
	ds_bpermute_b32 v4, v13, v3
	s_waitcnt lgkmcnt(0)
	v_add_f32_e32 v3, v3, v4
	ds_bpermute_b32 v4, v14, v3
	;; [unrolled: 3-line block ×4, first 2 shown]
	s_waitcnt lgkmcnt(0)
	v_add_f32_e32 v3, v3, v4
	v_fmac_f32_e32 v11, 0x3c800000, v3
	v_mul_f32_e32 v3, 0x4b800000, v11
	v_cmp_gt_f32_e64 s[4:5], s10, v11
	v_cndmask_b32_e64 v3, v11, v3, s[4:5]
	v_rsq_f32_e32 v3, v3
	v_lshlrev_b32_e32 v4, 16, v5
	v_cndmask_b32_e64 v5, v23, v22, s[2:3]
	v_lshlrev_b32_e32 v5, 16, v5
	v_mul_f32_e32 v11, 0x45800000, v3
	v_cndmask_b32_e64 v3, v3, v11, s[4:5]
	v_mul_f32_e32 v4, v3, v4
	v_mul_f32_e32 v3, v3, v5
	;; [unrolled: 1-line block ×4, first 2 shown]
	s_and_saveexec_b64 s[2:3], vcc
	s_cbranch_execz .LBB115_17
; %bb.16:                               ;   in Loop: Header=BB115_15 Depth=1
	; wave barrier
	ds_read_u16 v3, v19
	ds_read_u16 v11, v18
	ds_bpermute_b32 v24, v17, v4
	ds_read_u16 v25, v21
	ds_read_u16 v26, v20
	ds_bpermute_b32 v27, v17, v5
	s_waitcnt lgkmcnt(5)
	v_cvt_f32_f16_e32 v3, v3
	s_waitcnt lgkmcnt(2)
	v_cvt_f32_f16_e32 v25, v25
	v_cndmask_b32_e64 v24, v24, -v24, s[0:1]
	v_mul_f32_e32 v3, v24, v3
	v_fma_mix_f32 v4, v4, v11, v3 op_sel_hi:[0,1,0]
	s_waitcnt lgkmcnt(0)
	v_cndmask_b32_e64 v3, v27, -v27, s[0:1]
	v_mul_f32_e32 v3, v3, v25
	v_fma_mix_f32 v5, v5, v26, v3 op_sel_hi:[0,1,0]
	; wave barrier
.LBB115_17:                             ;   in Loop: Header=BB115_15 Depth=1
	s_or_b64 exec, exec, s[2:3]
	v_and_b32_e32 v3, 0x7f800000, v4
	v_cmp_ne_u32_e64 s[2:3], s11, v3
                                        ; implicit-def: $vgpr3
	s_and_saveexec_b64 s[4:5], s[2:3]
	s_xor_b64 s[2:3], exec, s[4:5]
; %bb.18:                               ;   in Loop: Header=BB115_15 Depth=1
	v_bfe_u32 v3, v4, 16, 1
	v_add3_u32 v3, v4, v3, s13
; %bb.19:                               ;   in Loop: Header=BB115_15 Depth=1
	s_andn2_saveexec_b64 s[4:5], s[2:3]
; %bb.20:                               ;   in Loop: Header=BB115_15 Depth=1
	v_or_b32_e32 v3, 0x10000, v4
	v_cmp_eq_u32_sdwa s[2:3], v4, v10 src0_sel:WORD_0 src1_sel:DWORD
	v_cndmask_b32_e64 v3, v3, v4, s[2:3]
; %bb.21:                               ;   in Loop: Header=BB115_15 Depth=1
	s_or_b64 exec, exec, s[4:5]
	v_and_b32_e32 v4, 0x7f800000, v5
	v_cmp_ne_u32_e64 s[2:3], s11, v4
                                        ; implicit-def: $vgpr11
	s_and_saveexec_b64 s[4:5], s[2:3]
	s_xor_b64 s[2:3], exec, s[4:5]
; %bb.22:                               ;   in Loop: Header=BB115_15 Depth=1
	v_bfe_u32 v4, v5, 16, 1
	v_add3_u32 v11, v5, v4, s13
                                        ; implicit-def: $vgpr4_vgpr5
; %bb.23:                               ;   in Loop: Header=BB115_15 Depth=1
	s_andn2_saveexec_b64 s[4:5], s[2:3]
	s_cbranch_execz .LBB115_14
; %bb.24:                               ;   in Loop: Header=BB115_15 Depth=1
	v_or_b32_e32 v4, 0x10000, v5
	v_cmp_eq_u32_sdwa s[2:3], v5, v10 src0_sel:WORD_0 src1_sel:DWORD
	v_cndmask_b32_e64 v11, v4, v5, s[2:3]
	s_branch .LBB115_14
.LBB115_25:
	s_endpgm
	.section	.rodata,"a",@progbits
	.p2align	6, 0x0
	.amdhsa_kernel _ZN12tensorrt_llm7kernels32fusedQKNormRopeKernelNTokenHeadsIN3c108BFloat16ENS2_4HalfELi64ELb0ELi8EEEvPviiifPKvS7_S7_PKlii
		.amdhsa_group_segment_fixed_size 0
		.amdhsa_private_segment_fixed_size 0
		.amdhsa_kernarg_size 320
		.amdhsa_user_sgpr_count 6
		.amdhsa_user_sgpr_private_segment_buffer 1
		.amdhsa_user_sgpr_dispatch_ptr 0
		.amdhsa_user_sgpr_queue_ptr 0
		.amdhsa_user_sgpr_kernarg_segment_ptr 1
		.amdhsa_user_sgpr_dispatch_id 0
		.amdhsa_user_sgpr_flat_scratch_init 0
		.amdhsa_user_sgpr_kernarg_preload_length 0
		.amdhsa_user_sgpr_kernarg_preload_offset 0
		.amdhsa_user_sgpr_private_segment_size 0
		.amdhsa_uses_dynamic_stack 0
		.amdhsa_system_sgpr_private_segment_wavefront_offset 0
		.amdhsa_system_sgpr_workgroup_id_x 1
		.amdhsa_system_sgpr_workgroup_id_y 0
		.amdhsa_system_sgpr_workgroup_id_z 0
		.amdhsa_system_sgpr_workgroup_info 0
		.amdhsa_system_vgpr_workitem_id 0
		.amdhsa_next_free_vgpr 28
		.amdhsa_next_free_sgpr 24
		.amdhsa_accum_offset 28
		.amdhsa_reserve_vcc 1
		.amdhsa_reserve_flat_scratch 0
		.amdhsa_float_round_mode_32 0
		.amdhsa_float_round_mode_16_64 0
		.amdhsa_float_denorm_mode_32 3
		.amdhsa_float_denorm_mode_16_64 3
		.amdhsa_dx10_clamp 1
		.amdhsa_ieee_mode 1
		.amdhsa_fp16_overflow 0
		.amdhsa_tg_split 0
		.amdhsa_exception_fp_ieee_invalid_op 0
		.amdhsa_exception_fp_denorm_src 0
		.amdhsa_exception_fp_ieee_div_zero 0
		.amdhsa_exception_fp_ieee_overflow 0
		.amdhsa_exception_fp_ieee_underflow 0
		.amdhsa_exception_fp_ieee_inexact 0
		.amdhsa_exception_int_div_zero 0
	.end_amdhsa_kernel
	.section	.text._ZN12tensorrt_llm7kernels32fusedQKNormRopeKernelNTokenHeadsIN3c108BFloat16ENS2_4HalfELi64ELb0ELi8EEEvPviiifPKvS7_S7_PKlii,"axG",@progbits,_ZN12tensorrt_llm7kernels32fusedQKNormRopeKernelNTokenHeadsIN3c108BFloat16ENS2_4HalfELi64ELb0ELi8EEEvPviiifPKvS7_S7_PKlii,comdat
.Lfunc_end115:
	.size	_ZN12tensorrt_llm7kernels32fusedQKNormRopeKernelNTokenHeadsIN3c108BFloat16ENS2_4HalfELi64ELb0ELi8EEEvPviiifPKvS7_S7_PKlii, .Lfunc_end115-_ZN12tensorrt_llm7kernels32fusedQKNormRopeKernelNTokenHeadsIN3c108BFloat16ENS2_4HalfELi64ELb0ELi8EEEvPviiifPKvS7_S7_PKlii
                                        ; -- End function
	.section	.AMDGPU.csdata,"",@progbits
; Kernel info:
; codeLenInByte = 2156
; NumSgprs: 28
; NumVgprs: 28
; NumAgprs: 0
; TotalNumVgprs: 28
; ScratchSize: 0
; MemoryBound: 0
; FloatMode: 240
; IeeeMode: 1
; LDSByteSize: 0 bytes/workgroup (compile time only)
; SGPRBlocks: 3
; VGPRBlocks: 3
; NumSGPRsForWavesPerEU: 28
; NumVGPRsForWavesPerEU: 28
; AccumOffset: 28
; Occupancy: 8
; WaveLimiterHint : 0
; COMPUTE_PGM_RSRC2:SCRATCH_EN: 0
; COMPUTE_PGM_RSRC2:USER_SGPR: 6
; COMPUTE_PGM_RSRC2:TRAP_HANDLER: 0
; COMPUTE_PGM_RSRC2:TGID_X_EN: 1
; COMPUTE_PGM_RSRC2:TGID_Y_EN: 0
; COMPUTE_PGM_RSRC2:TGID_Z_EN: 0
; COMPUTE_PGM_RSRC2:TIDIG_COMP_CNT: 0
; COMPUTE_PGM_RSRC3_GFX90A:ACCUM_OFFSET: 6
; COMPUTE_PGM_RSRC3_GFX90A:TG_SPLIT: 0
	.section	.text._ZN12tensorrt_llm7kernels32fusedQKNormRopeKernelNTokenHeadsIN3c108BFloat16ENS2_4HalfELi128ELb1ELi8EEEvPviiifPKvS7_S7_PKlii,"axG",@progbits,_ZN12tensorrt_llm7kernels32fusedQKNormRopeKernelNTokenHeadsIN3c108BFloat16ENS2_4HalfELi128ELb1ELi8EEEvPviiifPKvS7_S7_PKlii,comdat
	.protected	_ZN12tensorrt_llm7kernels32fusedQKNormRopeKernelNTokenHeadsIN3c108BFloat16ENS2_4HalfELi128ELb1ELi8EEEvPviiifPKvS7_S7_PKlii ; -- Begin function _ZN12tensorrt_llm7kernels32fusedQKNormRopeKernelNTokenHeadsIN3c108BFloat16ENS2_4HalfELi128ELb1ELi8EEEvPviiifPKvS7_S7_PKlii
	.globl	_ZN12tensorrt_llm7kernels32fusedQKNormRopeKernelNTokenHeadsIN3c108BFloat16ENS2_4HalfELi128ELb1ELi8EEEvPviiifPKvS7_S7_PKlii
	.p2align	8
	.type	_ZN12tensorrt_llm7kernels32fusedQKNormRopeKernelNTokenHeadsIN3c108BFloat16ENS2_4HalfELi128ELb1ELi8EEEvPviiifPKvS7_S7_PKlii,@function
_ZN12tensorrt_llm7kernels32fusedQKNormRopeKernelNTokenHeadsIN3c108BFloat16ENS2_4HalfELi128ELb1ELi8EEEvPviiifPKvS7_S7_PKlii: ; @_ZN12tensorrt_llm7kernels32fusedQKNormRopeKernelNTokenHeadsIN3c108BFloat16ENS2_4HalfELi128ELb1ELi8EEEvPviiifPKvS7_S7_PKlii
; %bb.0:
	s_load_dwordx4 s[12:15], s[4:5], 0x8
	s_load_dwordx2 s[16:17], s[4:5], 0x38
	s_load_dword s1, s[4:5], 0x4c
	v_lshrrev_b32_e32 v2, 5, v0
	s_waitcnt lgkmcnt(0)
	s_add_i32 s0, s13, s12
	s_add_i32 s2, s0, 7
	s_ashr_i32 s3, s2, 31
	s_lshr_b32 s3, s3, 29
	s_add_i32 s2, s2, s3
	s_ashr_i32 s20, s2, 3
	s_abs_i32 s2, s20
	v_cvt_f32_u32_e32 v1, s2
	s_bfe_u32 s1, s1, 0xb0005
	s_mul_i32 s6, s6, s1
	s_sub_i32 s3, 0, s2
	v_rcp_iflag_f32_e32 v3, v1
	v_add_u32_e32 v1, s6, v2
	v_sub_u32_e32 v4, 0, v1
	v_max_i32_e32 v4, v1, v4
	v_mul_f32_e32 v3, 0x4f7ffffe, v3
	v_cvt_u32_f32_e32 v3, v3
	v_xor_b32_e32 v5, s20, v1
	v_ashrrev_i32_e32 v5, 31, v5
	v_mul_lo_u32 v6, s3, v3
	v_mul_hi_u32 v6, v3, v6
	v_add_u32_e32 v3, v3, v6
	v_mul_hi_u32 v3, v4, v3
	v_mul_lo_u32 v6, v3, s2
	v_sub_u32_e32 v4, v4, v6
	v_add_u32_e32 v6, 1, v3
	v_cmp_le_u32_e32 vcc, s2, v4
	v_cndmask_b32_e32 v3, v3, v6, vcc
	v_subrev_u32_e32 v6, s2, v4
	v_cndmask_b32_e32 v4, v4, v6, vcc
	v_add_u32_e32 v6, 1, v3
	v_cmp_le_u32_e32 vcc, s2, v4
	v_cndmask_b32_e32 v3, v3, v6, vcc
	v_xor_b32_e32 v3, v3, v5
	v_sub_u32_e32 v4, v3, v5
	v_cmp_gt_i32_e32 vcc, s16, v4
	s_and_saveexec_b64 s[2:3], vcc
	s_cbranch_execz .LBB116_28
; %bb.1:
	v_and_b32_e32 v6, 31, v0
	v_mul_lo_u32 v0, v4, s20
	v_sub_u32_e32 v0, v1, v0
	s_load_dwordx2 s[2:3], s[4:5], 0x0
	v_lshlrev_b32_e32 v10, 3, v0
	v_add_u32_e32 v0, 8, v10
	v_sub_u32_e32 v3, s0, v10
	v_cmp_lt_i32_e32 vcc, s0, v0
	v_cndmask_b32_e32 v11, 8, v3, vcc
	s_lshl_b32 s18, s17, 1
	s_mul_i32 s16, s18, s1
	v_lshlrev_b32_e32 v9, 11, v2
	v_cmp_lt_i32_e64 s[0:1], 0, v11
	v_lshlrev_b32_e32 v8, 3, v6
	v_lshlrev_b32_e32 v7, 10, v1
	s_and_saveexec_b64 s[6:7], s[0:1]
	s_cbranch_execz .LBB116_4
; %bb.2:
	s_add_i32 s8, s16, 0
	v_add3_u32 v3, s8, v9, v8
	s_add_i32 s8, s14, s13
	s_add_i32 s8, s8, s12
	s_lshl_b32 s9, s20, 3
	s_sub_i32 s8, s8, s9
	v_mul_lo_u32 v0, s8, v4
	v_lshl_add_u32 v0, v0, 7, v7
	s_mov_b32 s10, 0
	v_lshl_or_b32 v0, v6, 2, v0
	s_mov_b64 s[8:9], 0
	s_waitcnt lgkmcnt(0)
	v_mov_b32_e32 v5, s3
.LBB116_3:                              ; =>This Inner Loop Header: Depth=1
	v_ashrrev_i32_e32 v1, 31, v0
	v_lshlrev_b64 v[12:13], 1, v[0:1]
	v_add_co_u32_e32 v12, vcc, s2, v12
	v_addc_co_u32_e32 v13, vcc, v5, v13, vcc
	global_load_dwordx2 v[12:13], v[12:13], off
	s_add_i32 s10, s10, 1
	v_cmp_ge_i32_e32 vcc, s10, v11
	v_add_u32_e32 v0, 0x80, v0
	s_or_b64 s[8:9], vcc, s[8:9]
	s_waitcnt vmcnt(0)
	ds_write_b64 v3, v[12:13]
	v_add_u32_e32 v3, 0x100, v3
	s_andn2_b64 exec, exec, s[8:9]
	s_cbranch_execnz .LBB116_3
.LBB116_4:
	s_or_b64 exec, exec, s[6:7]
	s_add_i32 s18, s18, 15
	s_load_dwordx8 s[4:11], s[4:5], 0x18
	s_ashr_i32 s19, s18, 31
	s_lshr_b32 s19, s19, 28
	s_add_i32 s18, s18, s19
	s_ashr_i32 s21, s18, 4
	v_mul_lo_u32 v0, v2, s17
	v_cmp_gt_i32_e32 vcc, s21, v6
	v_lshlrev_b32_e32 v13, 1, v0
	s_and_saveexec_b64 s[18:19], vcc
	s_cbranch_execz .LBB116_7
; %bb.5:
	v_ashrrev_i32_e32 v5, 31, v4
	v_lshlrev_b64 v[0:1], 3, v[4:5]
	s_waitcnt lgkmcnt(0)
	v_mov_b32_e32 v2, s11
	v_add_co_u32_e32 v0, vcc, s10, v0
	v_addc_co_u32_e32 v1, vcc, v2, v1, vcc
	global_load_dwordx2 v[0:1], v[0:1], off
	s_ashr_i32 s22, s17, 31
	v_lshlrev_b32_e32 v3, 4, v6
	v_mov_b32_e32 v5, s9
	s_mov_b64 s[10:11], 0
	v_add3_u32 v2, v13, v3, 0
	s_waitcnt vmcnt(0)
	v_mul_lo_u32 v12, v1, s17
	v_mul_lo_u32 v14, v0, s22
	v_mad_u64_u32 v[0:1], s[22:23], v0, s17, 0
	v_add3_u32 v1, v1, v14, v12
	v_lshlrev_b64 v[0:1], 1, v[0:1]
	v_add_co_u32_e32 v0, vcc, v0, v3
	v_addc_co_u32_e32 v1, vcc, 0, v1, vcc
	v_add_co_u32_e32 v0, vcc, s8, v0
	v_addc_co_u32_e32 v1, vcc, v5, v1, vcc
	v_mov_b32_e32 v3, v6
.LBB116_6:                              ; =>This Inner Loop Header: Depth=1
	global_load_dwordx4 v[14:17], v[0:1], off
	v_add_co_u32_e32 v0, vcc, 0x200, v0
	v_add_u32_e32 v3, 32, v3
	v_addc_co_u32_e32 v1, vcc, 0, v1, vcc
	v_cmp_le_i32_e32 vcc, s21, v3
	s_or_b64 s[10:11], vcc, s[10:11]
	s_waitcnt vmcnt(0)
	ds_write_b128 v2, v[14:17]
	v_add_u32_e32 v2, 0x200, v2
	s_andn2_b64 exec, exec, s[10:11]
	s_cbranch_execnz .LBB116_6
.LBB116_7:
	s_or_b64 exec, exec, s[18:19]
	s_and_b64 exec, exec, s[0:1]
	s_cbranch_execz .LBB116_28
; %bb.8:
	s_waitcnt lgkmcnt(0)
	global_load_dwordx2 v[0:1], v8, s[4:5]
	global_load_dwordx2 v[2:3], v8, s[6:7]
	v_mbcnt_lo_u32_b32 v14, -1, 0
	v_add_u32_e32 v9, s16, v9
	v_mbcnt_hi_u32_b32 v16, -1, v14
	v_add3_u32 v14, v9, v8, 0
	v_and_b32_e32 v8, 0x60, v16
	v_xor_b32_e32 v9, 16, v16
	v_add_u32_e32 v8, 32, v8
	v_xor_b32_e32 v17, 8, v16
	v_cmp_lt_i32_e32 vcc, v9, v8
	s_add_i32 s6, s14, s13
	v_xor_b32_e32 v18, 4, v16
	v_cndmask_b32_e32 v9, v16, v9, vcc
	v_cmp_lt_i32_e32 vcc, v17, v8
	s_ashr_i32 s1, s17, 31
	s_lshl_b32 s7, s20, 3
	s_add_i32 s6, s6, s12
	v_xor_b32_e32 v19, 2, v16
	v_cndmask_b32_e32 v17, v16, v17, vcc
	v_cmp_lt_i32_e32 vcc, v18, v8
	s_lshr_b32 s0, s17, 31
	s_lshr_b32 s1, s1, 30
	v_xor_b32_e32 v20, 1, v16
	s_sub_i32 s6, s6, s7
	v_cndmask_b32_e32 v18, v16, v18, vcc
	v_cmp_lt_i32_e32 vcc, v19, v8
	v_lshlrev_b32_e32 v5, 2, v6
	s_add_i32 s0, s17, s0
	s_add_i32 s1, s17, s1
	v_mul_lo_u32 v4, s6, v4
	v_cndmask_b32_e32 v19, v16, v19, vcc
	v_cmp_lt_i32_e32 vcc, v20, v8
	v_add3_u32 v13, 0, v13, v5
	s_and_b32 s0, s0, -2
	s_ashr_i32 s1, s1, 2
	v_cndmask_b32_e32 v8, v16, v20, vcc
	v_lshl_add_u32 v4, v4, 7, v7
	s_mov_b32 s8, 0
	s_mov_b64 s[4:5], 0
	s_mov_b32 s9, 0xffff0000
	v_mov_b32_e32 v12, s15
	s_mov_b32 s10, 0x800000
	s_mov_b32 s11, 0x7f800000
	s_movk_i32 s13, 0x7fff
	v_add_u32_e32 v15, s0, v13
	v_cmp_gt_i32_e32 vcc, s1, v6
	v_lshlrev_b32_e32 v16, 2, v9
	v_lshlrev_b32_e32 v17, 2, v17
	;; [unrolled: 1-line block ×5, first 2 shown]
	v_or_b32_e32 v4, v4, v5
	v_mov_b32_e32 v25, 0
	s_waitcnt vmcnt(1)
	v_lshrrev_b32_e32 v21, 16, v0
	s_waitcnt vmcnt(0)
	v_lshrrev_b32_e32 v22, 16, v2
	v_lshrrev_b32_e32 v23, 16, v1
	;; [unrolled: 1-line block ×3, first 2 shown]
	s_branch .LBB116_10
.LBB116_9:                              ;   in Loop: Header=BB116_10 Depth=1
	s_or_b64 exec, exec, s[6:7]
	v_lshrrev_b32_e32 v28, 16, v5
	v_ashrrev_i32_e32 v5, 31, v4
	v_lshlrev_b64 v[26:27], 1, v[4:5]
	v_mov_b32_e32 v5, s3
	v_add_co_u32_e64 v26, s[0:1], s2, v26
	v_addc_co_u32_e64 v27, s[0:1], v5, v27, s[0:1]
	s_add_i32 s8, s8, 1
	v_and_b32_e32 v5, 0xffff0000, v6
	v_cmp_ge_i32_e64 s[0:1], s8, v11
	v_or_b32_sdwa v7, v5, v9 dst_sel:DWORD dst_unused:UNUSED_PAD src0_sel:DWORD src1_sel:WORD_1
	v_and_or_b32 v6, v8, s9, v28
	v_add_u32_e32 v4, 0x80, v4
	s_or_b64 s[4:5], s[0:1], s[4:5]
	v_add_u32_e32 v14, 0x100, v14
	global_store_dwordx2 v[26:27], v[6:7], off
	s_andn2_b64 exec, exec, s[4:5]
	s_cbranch_execz .LBB116_28
.LBB116_10:                             ; =>This Inner Loop Header: Depth=1
	ds_read_b64 v[6:7], v14
	s_waitcnt lgkmcnt(0)
	v_alignbit_b32 v5, v7, v6, 16
	v_lshlrev_b32_e32 v8, 16, v6
	v_and_b32_e32 v9, 0xffff0000, v6
	v_and_b32_e32 v7, 0xffff0000, v7
	v_and_b32_e32 v6, 0xffff0000, v5
	v_pk_mul_f32 v[26:27], v[8:9], v[8:9]
	v_pk_mul_f32 v[28:29], v[6:7], v[6:7]
	v_add_f32_e32 v5, v26, v27
	v_add_f32_e32 v5, v5, v28
	;; [unrolled: 1-line block ×3, first 2 shown]
	ds_bpermute_b32 v26, v16, v5
	v_add_u32_e32 v27, s8, v10
	v_mov_b32_e32 v28, v12
	v_cmp_gt_i32_e64 s[0:1], s12, v27
	v_cndmask_b32_e64 v27, v22, v21, s[0:1]
	s_waitcnt lgkmcnt(0)
	v_add_f32_e32 v5, v5, v26
	ds_bpermute_b32 v26, v17, v5
	v_cndmask_b32_e64 v29, v2, v0, s[0:1]
	v_cndmask_b32_e64 v30, v24, v23, s[0:1]
	;; [unrolled: 1-line block ×3, first 2 shown]
	v_lshlrev_b32_e32 v27, 16, v27
	s_waitcnt lgkmcnt(0)
	v_add_f32_e32 v5, v5, v26
	ds_bpermute_b32 v26, v18, v5
	s_waitcnt lgkmcnt(0)
	v_add_f32_e32 v5, v5, v26
	ds_bpermute_b32 v26, v19, v5
	;; [unrolled: 3-line block ×3, first 2 shown]
	s_waitcnt lgkmcnt(0)
	v_add_f32_e32 v5, v5, v26
	v_fmac_f32_e32 v28, 0x3c000000, v5
	v_mul_f32_e32 v5, 0x4b800000, v28
	v_cmp_gt_f32_e64 s[0:1], s10, v28
	v_cndmask_b32_e64 v5, v28, v5, s[0:1]
	v_rsq_f32_e32 v5, v5
	v_lshlrev_b32_e32 v26, 16, v29
	v_lshlrev_b32_e32 v29, 16, v30
	;; [unrolled: 1-line block ×3, first 2 shown]
	v_mul_f32_e32 v30, 0x45800000, v5
	v_cndmask_b32_e64 v30, v5, v30, s[0:1]
	v_pk_mul_f32 v[26:27], v[30:31], v[26:27] op_sel_hi:[0,1]
	v_pk_mul_f32 v[28:29], v[30:31], v[28:29] op_sel_hi:[0,1]
	v_pk_mul_f32 v[8:9], v[26:27], v[8:9]
	v_pk_mul_f32 v[6:7], v[28:29], v[6:7]
	s_and_saveexec_b64 s[0:1], vcc
	s_cbranch_execz .LBB116_12
; %bb.11:                               ;   in Loop: Header=BB116_10 Depth=1
	ds_read_u16 v5, v15
	ds_read_u16 v27, v13
	ds_read_u16 v29, v13 offset:2
	ds_read_u16 v30, v15 offset:2
	s_waitcnt lgkmcnt(3)
	v_cvt_f32_f16_e32 v26, v5
	s_waitcnt lgkmcnt(2)
	v_cvt_f32_f16_e32 v28, v27
	;; [unrolled: 2-line block ×4, first 2 shown]
	v_pk_mul_f32 v[26:27], v[8:9], v[26:27] op_sel_hi:[1,0]
	v_pk_mul_f32 v[32:33], v[8:9], v[28:29] op_sel_hi:[1,0]
	v_pk_fma_f32 v[8:9], v[8:9], v[28:29], v[26:27] op_sel:[0,0,1] op_sel_hi:[1,0,0]
	v_mov_b32_e32 v26, v7
	v_mov_b32_e32 v8, v31
	v_pk_mul_f32 v[28:29], v[26:27], v[30:31]
	v_pk_mul_f32 v[34:35], v[6:7], v[30:31]
	v_pk_fma_f32 v[28:29], v[6:7], v[8:9], v[28:29] op_sel_hi:[1,0,1] neg_lo:[0,0,1] neg_hi:[0,0,1]
	v_mov_b32_e32 v8, v35
	v_pk_fma_f32 v[30:31], v[6:7], v[30:31], v[8:9]
	v_sub_f32_e32 v8, v32, v27
	v_mov_b32_e32 v6, v28
	v_mov_b32_e32 v7, v30
.LBB116_12:                             ;   in Loop: Header=BB116_10 Depth=1
	s_or_b64 exec, exec, s[0:1]
	v_and_b32_e32 v5, 0x7f800000, v8
	v_cmp_ne_u32_e64 s[0:1], s11, v5
                                        ; implicit-def: $vgpr5
	s_and_saveexec_b64 s[6:7], s[0:1]
	s_xor_b64 s[0:1], exec, s[6:7]
; %bb.13:                               ;   in Loop: Header=BB116_10 Depth=1
	v_bfe_u32 v5, v8, 16, 1
	v_add3_u32 v5, v8, v5, s13
; %bb.14:                               ;   in Loop: Header=BB116_10 Depth=1
	s_andn2_saveexec_b64 s[6:7], s[0:1]
; %bb.15:                               ;   in Loop: Header=BB116_10 Depth=1
	v_or_b32_e32 v5, 0x10000, v8
	v_cmp_eq_u32_sdwa s[0:1], v8, v25 src0_sel:WORD_0 src1_sel:DWORD
	v_cndmask_b32_e64 v5, v5, v8, s[0:1]
; %bb.16:                               ;   in Loop: Header=BB116_10 Depth=1
	s_or_b64 exec, exec, s[6:7]
	v_and_b32_e32 v8, 0x7f800000, v9
	v_cmp_ne_u32_e64 s[0:1], s11, v8
                                        ; implicit-def: $vgpr8
	s_and_saveexec_b64 s[6:7], s[0:1]
	s_xor_b64 s[0:1], exec, s[6:7]
; %bb.17:                               ;   in Loop: Header=BB116_10 Depth=1
	v_bfe_u32 v8, v9, 16, 1
	v_add3_u32 v8, v9, v8, s13
                                        ; implicit-def: $vgpr9
; %bb.18:                               ;   in Loop: Header=BB116_10 Depth=1
	s_andn2_saveexec_b64 s[6:7], s[0:1]
; %bb.19:                               ;   in Loop: Header=BB116_10 Depth=1
	v_or_b32_e32 v8, 0x10000, v9
	v_cmp_eq_u32_sdwa s[0:1], v9, v25 src0_sel:WORD_0 src1_sel:DWORD
	v_cndmask_b32_e64 v8, v8, v9, s[0:1]
; %bb.20:                               ;   in Loop: Header=BB116_10 Depth=1
	s_or_b64 exec, exec, s[6:7]
	v_and_b32_e32 v9, 0x7f800000, v6
	v_cmp_ne_u32_e64 s[0:1], s11, v9
                                        ; implicit-def: $vgpr9
	s_and_saveexec_b64 s[6:7], s[0:1]
	s_xor_b64 s[0:1], exec, s[6:7]
; %bb.21:                               ;   in Loop: Header=BB116_10 Depth=1
	v_bfe_u32 v9, v6, 16, 1
	v_add3_u32 v9, v6, v9, s13
; %bb.22:                               ;   in Loop: Header=BB116_10 Depth=1
	s_andn2_saveexec_b64 s[6:7], s[0:1]
; %bb.23:                               ;   in Loop: Header=BB116_10 Depth=1
	v_or_b32_e32 v9, 0x10000, v6
	v_cmp_eq_u32_sdwa s[0:1], v6, v25 src0_sel:WORD_0 src1_sel:DWORD
	v_cndmask_b32_e64 v9, v9, v6, s[0:1]
; %bb.24:                               ;   in Loop: Header=BB116_10 Depth=1
	s_or_b64 exec, exec, s[6:7]
	v_and_b32_e32 v6, 0x7f800000, v7
	v_cmp_ne_u32_e64 s[0:1], s11, v6
                                        ; implicit-def: $vgpr6
	s_and_saveexec_b64 s[6:7], s[0:1]
	s_xor_b64 s[0:1], exec, s[6:7]
; %bb.25:                               ;   in Loop: Header=BB116_10 Depth=1
	v_bfe_u32 v6, v7, 16, 1
	v_add3_u32 v6, v7, v6, s13
                                        ; implicit-def: $vgpr7
; %bb.26:                               ;   in Loop: Header=BB116_10 Depth=1
	s_andn2_saveexec_b64 s[6:7], s[0:1]
	s_cbranch_execz .LBB116_9
; %bb.27:                               ;   in Loop: Header=BB116_10 Depth=1
	v_or_b32_e32 v6, 0x10000, v7
	v_cmp_eq_u32_sdwa s[0:1], v7, v25 src0_sel:WORD_0 src1_sel:DWORD
	v_cndmask_b32_e64 v6, v6, v7, s[0:1]
	s_branch .LBB116_9
.LBB116_28:
	s_endpgm
	.section	.rodata,"a",@progbits
	.p2align	6, 0x0
	.amdhsa_kernel _ZN12tensorrt_llm7kernels32fusedQKNormRopeKernelNTokenHeadsIN3c108BFloat16ENS2_4HalfELi128ELb1ELi8EEEvPviiifPKvS7_S7_PKlii
		.amdhsa_group_segment_fixed_size 0
		.amdhsa_private_segment_fixed_size 0
		.amdhsa_kernarg_size 320
		.amdhsa_user_sgpr_count 6
		.amdhsa_user_sgpr_private_segment_buffer 1
		.amdhsa_user_sgpr_dispatch_ptr 0
		.amdhsa_user_sgpr_queue_ptr 0
		.amdhsa_user_sgpr_kernarg_segment_ptr 1
		.amdhsa_user_sgpr_dispatch_id 0
		.amdhsa_user_sgpr_flat_scratch_init 0
		.amdhsa_user_sgpr_kernarg_preload_length 0
		.amdhsa_user_sgpr_kernarg_preload_offset 0
		.amdhsa_user_sgpr_private_segment_size 0
		.amdhsa_uses_dynamic_stack 0
		.amdhsa_system_sgpr_private_segment_wavefront_offset 0
		.amdhsa_system_sgpr_workgroup_id_x 1
		.amdhsa_system_sgpr_workgroup_id_y 0
		.amdhsa_system_sgpr_workgroup_id_z 0
		.amdhsa_system_sgpr_workgroup_info 0
		.amdhsa_system_vgpr_workitem_id 0
		.amdhsa_next_free_vgpr 36
		.amdhsa_next_free_sgpr 24
		.amdhsa_accum_offset 36
		.amdhsa_reserve_vcc 1
		.amdhsa_reserve_flat_scratch 0
		.amdhsa_float_round_mode_32 0
		.amdhsa_float_round_mode_16_64 0
		.amdhsa_float_denorm_mode_32 3
		.amdhsa_float_denorm_mode_16_64 3
		.amdhsa_dx10_clamp 1
		.amdhsa_ieee_mode 1
		.amdhsa_fp16_overflow 0
		.amdhsa_tg_split 0
		.amdhsa_exception_fp_ieee_invalid_op 0
		.amdhsa_exception_fp_denorm_src 0
		.amdhsa_exception_fp_ieee_div_zero 0
		.amdhsa_exception_fp_ieee_overflow 0
		.amdhsa_exception_fp_ieee_underflow 0
		.amdhsa_exception_fp_ieee_inexact 0
		.amdhsa_exception_int_div_zero 0
	.end_amdhsa_kernel
	.section	.text._ZN12tensorrt_llm7kernels32fusedQKNormRopeKernelNTokenHeadsIN3c108BFloat16ENS2_4HalfELi128ELb1ELi8EEEvPviiifPKvS7_S7_PKlii,"axG",@progbits,_ZN12tensorrt_llm7kernels32fusedQKNormRopeKernelNTokenHeadsIN3c108BFloat16ENS2_4HalfELi128ELb1ELi8EEEvPviiifPKvS7_S7_PKlii,comdat
.Lfunc_end116:
	.size	_ZN12tensorrt_llm7kernels32fusedQKNormRopeKernelNTokenHeadsIN3c108BFloat16ENS2_4HalfELi128ELb1ELi8EEEvPviiifPKvS7_S7_PKlii, .Lfunc_end116-_ZN12tensorrt_llm7kernels32fusedQKNormRopeKernelNTokenHeadsIN3c108BFloat16ENS2_4HalfELi128ELb1ELi8EEEvPviiifPKvS7_S7_PKlii
                                        ; -- End function
	.section	.AMDGPU.csdata,"",@progbits
; Kernel info:
; codeLenInByte = 1848
; NumSgprs: 28
; NumVgprs: 36
; NumAgprs: 0
; TotalNumVgprs: 36
; ScratchSize: 0
; MemoryBound: 0
; FloatMode: 240
; IeeeMode: 1
; LDSByteSize: 0 bytes/workgroup (compile time only)
; SGPRBlocks: 3
; VGPRBlocks: 4
; NumSGPRsForWavesPerEU: 28
; NumVGPRsForWavesPerEU: 36
; AccumOffset: 36
; Occupancy: 8
; WaveLimiterHint : 0
; COMPUTE_PGM_RSRC2:SCRATCH_EN: 0
; COMPUTE_PGM_RSRC2:USER_SGPR: 6
; COMPUTE_PGM_RSRC2:TRAP_HANDLER: 0
; COMPUTE_PGM_RSRC2:TGID_X_EN: 1
; COMPUTE_PGM_RSRC2:TGID_Y_EN: 0
; COMPUTE_PGM_RSRC2:TGID_Z_EN: 0
; COMPUTE_PGM_RSRC2:TIDIG_COMP_CNT: 0
; COMPUTE_PGM_RSRC3_GFX90A:ACCUM_OFFSET: 8
; COMPUTE_PGM_RSRC3_GFX90A:TG_SPLIT: 0
	.section	.text._ZN12tensorrt_llm7kernels32fusedQKNormRopeKernelNTokenHeadsIN3c108BFloat16ENS2_4HalfELi128ELb0ELi8EEEvPviiifPKvS7_S7_PKlii,"axG",@progbits,_ZN12tensorrt_llm7kernels32fusedQKNormRopeKernelNTokenHeadsIN3c108BFloat16ENS2_4HalfELi128ELb0ELi8EEEvPviiifPKvS7_S7_PKlii,comdat
	.protected	_ZN12tensorrt_llm7kernels32fusedQKNormRopeKernelNTokenHeadsIN3c108BFloat16ENS2_4HalfELi128ELb0ELi8EEEvPviiifPKvS7_S7_PKlii ; -- Begin function _ZN12tensorrt_llm7kernels32fusedQKNormRopeKernelNTokenHeadsIN3c108BFloat16ENS2_4HalfELi128ELb0ELi8EEEvPviiifPKvS7_S7_PKlii
	.globl	_ZN12tensorrt_llm7kernels32fusedQKNormRopeKernelNTokenHeadsIN3c108BFloat16ENS2_4HalfELi128ELb0ELi8EEEvPviiifPKvS7_S7_PKlii
	.p2align	8
	.type	_ZN12tensorrt_llm7kernels32fusedQKNormRopeKernelNTokenHeadsIN3c108BFloat16ENS2_4HalfELi128ELb0ELi8EEEvPviiifPKvS7_S7_PKlii,@function
_ZN12tensorrt_llm7kernels32fusedQKNormRopeKernelNTokenHeadsIN3c108BFloat16ENS2_4HalfELi128ELb0ELi8EEEvPviiifPKvS7_S7_PKlii: ; @_ZN12tensorrt_llm7kernels32fusedQKNormRopeKernelNTokenHeadsIN3c108BFloat16ENS2_4HalfELi128ELb0ELi8EEEvPviiifPKvS7_S7_PKlii
; %bb.0:
	s_load_dwordx4 s[12:15], s[4:5], 0x8
	s_load_dwordx2 s[2:3], s[4:5], 0x38
	s_load_dword s1, s[4:5], 0x4c
	v_lshrrev_b32_e32 v3, 5, v0
	s_waitcnt lgkmcnt(0)
	s_add_i32 s0, s13, s12
	s_add_i32 s7, s0, 7
	s_ashr_i32 s8, s7, 31
	s_lshr_b32 s8, s8, 29
	s_add_i32 s7, s7, s8
	s_ashr_i32 s20, s7, 3
	s_abs_i32 s7, s20
	v_cvt_f32_u32_e32 v1, s7
	s_bfe_u32 s1, s1, 0xb0005
	s_mul_i32 s6, s6, s1
	v_rcp_iflag_f32_e32 v2, v1
	v_add_u32_e32 v1, s6, v3
	s_sub_i32 s6, 0, s7
	v_sub_u32_e32 v4, 0, v1
	v_mul_f32_e32 v2, 0x4f7ffffe, v2
	v_cvt_u32_f32_e32 v2, v2
	v_max_i32_e32 v4, v1, v4
	v_xor_b32_e32 v5, s20, v1
	v_ashrrev_i32_e32 v5, 31, v5
	v_mul_lo_u32 v6, s6, v2
	v_mul_hi_u32 v6, v2, v6
	v_add_u32_e32 v2, v2, v6
	v_mul_hi_u32 v2, v4, v2
	v_mul_lo_u32 v6, v2, s7
	v_sub_u32_e32 v4, v4, v6
	v_add_u32_e32 v6, 1, v2
	v_cmp_le_u32_e32 vcc, s7, v4
	v_cndmask_b32_e32 v2, v2, v6, vcc
	v_subrev_u32_e32 v6, s7, v4
	v_cndmask_b32_e32 v4, v4, v6, vcc
	v_add_u32_e32 v6, 1, v2
	v_cmp_le_u32_e32 vcc, s7, v4
	v_cndmask_b32_e32 v2, v2, v6, vcc
	v_xor_b32_e32 v2, v2, v5
	v_sub_u32_e32 v2, v2, v5
	v_cmp_gt_i32_e32 vcc, s2, v2
	s_and_saveexec_b64 s[6:7], vcc
	s_cbranch_execz .LBB117_28
; %bb.1:
	v_and_b32_e32 v8, 31, v0
	v_mul_lo_u32 v0, v2, s20
	v_sub_u32_e32 v0, v1, v0
	s_load_dwordx2 s[16:17], s[4:5], 0x0
	v_lshlrev_b32_e32 v10, 3, v0
	v_add_u32_e32 v0, 8, v10
	v_sub_u32_e32 v4, s0, v10
	v_cmp_lt_i32_e32 vcc, s0, v0
	v_cndmask_b32_e32 v11, 8, v4, vcc
	s_lshl_b32 s2, s3, 1
	s_mul_i32 s21, s2, s1
	v_lshlrev_b32_e32 v9, 11, v3
	v_cmp_lt_i32_e64 s[0:1], 0, v11
	v_lshlrev_b32_e32 v26, 3, v8
	v_lshlrev_b32_e32 v27, 10, v1
	s_and_saveexec_b64 s[6:7], s[0:1]
	s_cbranch_execz .LBB117_4
; %bb.2:
	s_add_i32 s8, s21, 0
	v_add3_u32 v4, s8, v9, v26
	s_add_i32 s8, s14, s13
	s_add_i32 s8, s8, s12
	s_lshl_b32 s9, s20, 3
	s_sub_i32 s8, s8, s9
	v_mul_lo_u32 v0, s8, v2
	v_lshl_add_u32 v0, v0, 7, v27
	s_mov_b32 s10, 0
	v_lshl_or_b32 v0, v8, 2, v0
	s_mov_b64 s[8:9], 0
	s_waitcnt lgkmcnt(0)
	v_mov_b32_e32 v5, s17
.LBB117_3:                              ; =>This Inner Loop Header: Depth=1
	v_ashrrev_i32_e32 v1, 31, v0
	v_lshlrev_b64 v[6:7], 1, v[0:1]
	v_add_co_u32_e32 v6, vcc, s16, v6
	v_addc_co_u32_e32 v7, vcc, v5, v7, vcc
	global_load_dwordx2 v[6:7], v[6:7], off
	s_add_i32 s10, s10, 1
	v_cmp_ge_i32_e32 vcc, s10, v11
	v_add_u32_e32 v0, 0x80, v0
	s_or_b64 s[8:9], vcc, s[8:9]
	s_waitcnt vmcnt(0)
	ds_write_b64 v4, v[6:7]
	v_add_u32_e32 v4, 0x100, v4
	s_andn2_b64 exec, exec, s[8:9]
	s_cbranch_execnz .LBB117_3
.LBB117_4:
	s_or_b64 exec, exec, s[6:7]
	s_add_i32 s2, s2, 15
	s_load_dwordx8 s[4:11], s[4:5], 0x18
	s_ashr_i32 s18, s2, 31
	s_lshr_b32 s18, s18, 28
	s_add_i32 s2, s2, s18
	s_ashr_i32 s2, s2, 4
	v_cmp_gt_i32_e32 vcc, s2, v8
	v_mul_lo_u32 v12, v3, s3
	s_and_saveexec_b64 s[18:19], vcc
	s_cbranch_execz .LBB117_7
; %bb.5:
	v_ashrrev_i32_e32 v3, 31, v2
	v_lshlrev_b64 v[0:1], 3, v[2:3]
	s_waitcnt lgkmcnt(0)
	v_mov_b32_e32 v3, s11
	v_add_co_u32_e32 v0, vcc, s10, v0
	v_addc_co_u32_e32 v1, vcc, v3, v1, vcc
	global_load_dwordx2 v[0:1], v[0:1], off
	s_ashr_i32 s22, s3, 31
	v_lshlrev_b32_e32 v4, 4, v8
	v_lshlrev_b32_e32 v3, 1, v12
	v_mov_b32_e32 v5, s9
	s_mov_b64 s[10:11], 0
	v_add3_u32 v3, v3, v4, 0
	s_waitcnt vmcnt(0)
	v_mul_lo_u32 v6, v1, s3
	v_mul_lo_u32 v7, v0, s22
	v_mad_u64_u32 v[0:1], s[22:23], v0, s3, 0
	v_add3_u32 v1, v1, v7, v6
	v_lshlrev_b64 v[0:1], 1, v[0:1]
	v_add_co_u32_e32 v0, vcc, v0, v4
	v_addc_co_u32_e32 v1, vcc, 0, v1, vcc
	v_add_co_u32_e32 v0, vcc, s8, v0
	v_addc_co_u32_e32 v1, vcc, v5, v1, vcc
	v_mov_b32_e32 v4, v8
.LBB117_6:                              ; =>This Inner Loop Header: Depth=1
	global_load_dwordx4 v[14:17], v[0:1], off
	v_add_co_u32_e32 v0, vcc, 0x200, v0
	v_add_u32_e32 v4, 32, v4
	v_addc_co_u32_e32 v1, vcc, 0, v1, vcc
	v_cmp_le_i32_e32 vcc, s2, v4
	s_or_b64 s[10:11], vcc, s[10:11]
	s_waitcnt vmcnt(0)
	ds_write_b128 v3, v[14:17]
	v_add_u32_e32 v3, 0x200, v3
	s_andn2_b64 exec, exec, s[10:11]
	s_cbranch_execnz .LBB117_6
.LBB117_7:
	s_or_b64 exec, exec, s[18:19]
	s_and_b64 exec, exec, s[0:1]
	s_cbranch_execz .LBB117_28
; %bb.8:
	s_waitcnt lgkmcnt(0)
	global_load_dwordx2 v[4:5], v26, s[4:5]
	global_load_dwordx2 v[6:7], v26, s[6:7]
	v_mbcnt_lo_u32_b32 v1, -1, 0
	s_abs_i32 s4, s3
	v_mbcnt_hi_u32_b32 v1, -1, v1
	v_cvt_f32_u32_e32 v14, s4
	v_lshl_add_u32 v0, v12, 1, 0
	v_and_b32_e32 v12, 0x60, v1
	v_xor_b32_e32 v13, 16, v1
	v_add_u32_e32 v12, 32, v12
	v_xor_b32_e32 v15, 8, v1
	v_cmp_lt_i32_e32 vcc, v13, v12
	v_xor_b32_e32 v16, 4, v1
	v_cndmask_b32_e32 v13, v1, v13, vcc
	v_cmp_lt_i32_e32 vcc, v15, v12
	v_rcp_iflag_f32_e32 v21, v14
	v_xor_b32_e32 v17, 2, v1
	v_cndmask_b32_e32 v15, v1, v15, vcc
	v_cmp_lt_i32_e32 vcc, v16, v12
	s_ashr_i32 s1, s3, 31
	v_xor_b32_e32 v18, 1, v1
	v_cndmask_b32_e32 v16, v1, v16, vcc
	v_cmp_lt_i32_e32 vcc, v17, v12
	s_lshr_b32 s2, s1, 30
	s_lshr_b32 s1, s1, 29
	v_cndmask_b32_e32 v17, v1, v17, vcc
	v_cmp_lt_i32_e32 vcc, v18, v12
	s_lshr_b32 s0, s3, 31
	s_add_i32 s1, s3, s1
	v_cndmask_b32_e32 v18, v1, v18, vcc
	v_lshlrev_b32_e32 v12, 2, v13
	v_lshlrev_b32_e32 v13, 2, v15
	v_lshlrev_b32_e32 v15, 2, v17
	v_mul_f32_e32 v17, 0x4f7ffffe, v21
	s_add_i32 s0, s3, s0
	v_and_b32_e32 v19, 64, v1
	s_ashr_i32 s1, s1, 3
	v_lshlrev_b32_e32 v14, 2, v16
	v_lshlrev_b32_e32 v16, 2, v18
	v_cvt_u32_f32_e32 v18, v17
	s_and_b32 s0, s0, -2
	s_add_i32 s2, s3, s2
	v_add_u32_e32 v19, 64, v19
	v_xor_b32_e32 v20, s1, v1
	v_add_u32_e32 v31, s0, v0
	s_ashr_i32 s0, s2, 2
	v_cmp_lt_i32_e64 s[2:3], v20, v19
	s_sub_i32 s5, 0, s4
	v_cndmask_b32_e64 v1, v1, v20, s[2:3]
	v_lshlrev_b32_e32 v17, 2, v1
	v_mul_lo_u32 v1, s5, v18
	v_mul_hi_u32 v1, v18, v1
	v_add_u32_e32 v1, v18, v1
	v_or_b32_e32 v3, 2, v26
	v_mul_hi_u32 v18, v26, v1
	v_mul_hi_u32 v19, v3, v1
	v_mul_lo_u32 v18, v18, s4
	v_mul_lo_u32 v19, v19, s4
	v_sub_u32_e32 v18, v26, v18
	v_sub_u32_e32 v3, v3, v19
	v_subrev_u32_e32 v19, s4, v18
	v_cmp_le_u32_e64 s[2:3], s4, v18
	v_subrev_u32_e32 v20, s4, v3
	v_cndmask_b32_e64 v18, v18, v19, s[2:3]
	v_cmp_le_u32_e64 s[2:3], s4, v3
	v_cndmask_b32_e64 v3, v3, v20, s[2:3]
	v_subrev_u32_e32 v19, s4, v18
	v_cmp_le_u32_e64 s[2:3], s4, v18
	v_cndmask_b32_e64 v18, v18, v19, s[2:3]
	v_subrev_u32_e32 v24, s4, v3
	v_cmp_le_u32_e64 s[2:3], s4, v3
	v_cndmask_b32_e64 v3, v3, v24, s[2:3]
	v_or_b32_e32 v28, 4, v26
	v_and_b32_e32 v3, -2, v3
	v_add_u32_e32 v24, v0, v3
	v_add_u32_e32 v25, v31, v3
	v_mul_hi_u32 v3, v28, v1
	v_mul_lo_u32 v3, v3, s4
	v_sub_u32_e32 v3, v28, v3
	v_subrev_u32_e32 v28, s4, v3
	v_cmp_le_u32_e64 s[2:3], s4, v3
	v_or_b32_e32 v30, 6, v26
	v_cndmask_b32_e64 v3, v3, v28, s[2:3]
	v_subrev_u32_e32 v28, s4, v3
	v_cmp_le_u32_e64 s[2:3], s4, v3
	v_mul_hi_u32 v1, v30, v1
	v_cndmask_b32_e64 v3, v3, v28, s[2:3]
	v_mul_lo_u32 v1, v1, s4
	v_and_b32_e32 v3, -2, v3
	v_sub_u32_e32 v1, v30, v1
	v_add_u32_e32 v28, v0, v3
	v_add_u32_e32 v29, v31, v3
	v_subrev_u32_e32 v3, s4, v1
	v_cmp_le_u32_e64 s[2:3], s4, v1
	v_cndmask_b32_e64 v1, v1, v3, s[2:3]
	v_subrev_u32_e32 v3, s4, v1
	v_cmp_le_u32_e64 s[2:3], s4, v1
	v_cndmask_b32_e64 v1, v1, v3, s[2:3]
	s_add_i32 s2, s14, s13
	s_add_i32 s2, s2, s12
	s_lshl_b32 s3, s20, 3
	v_and_b32_e32 v19, -2, v18
	v_and_b32_e32 v1, -2, v1
	s_sub_i32 s2, s2, s3
	v_add_u32_e32 v18, v0, v19
	v_add_u32_e32 v30, v0, v1
	v_mul_lo_u32 v0, s2, v2
	v_lshl_add_u32 v0, v0, 7, v27
	v_cmp_gt_i32_e32 vcc, s0, v8
	v_cmp_gt_i32_e64 s[0:1], s1, v8
	v_lshl_or_b32 v8, v8, 2, v0
	v_add_u32_e32 v0, s21, v9
	s_mov_b32 s8, 0
	v_add_u32_e32 v19, v31, v19
	s_waitcnt vmcnt(1)
	v_lshrrev_b32_e32 v20, 16, v4
	v_lshrrev_b32_e32 v21, 16, v5
	s_waitcnt vmcnt(0)
	v_lshrrev_b32_e32 v22, 16, v6
	v_lshrrev_b32_e32 v23, 16, v7
	v_add_u32_e32 v31, v31, v1
	v_add3_u32 v26, v0, v26, 0
	s_mov_b64 s[4:5], 0
	s_mov_b32 s9, 0xffff0000
	s_mov_b32 s10, 0x800000
	;; [unrolled: 1-line block ×3, first 2 shown]
	s_movk_i32 s13, 0x7fff
	v_mov_b32_e32 v27, s15
	v_mov_b32_e32 v32, 0
	s_branch .LBB117_10
.LBB117_9:                              ;   in Loop: Header=BB117_10 Depth=1
	s_or_b64 exec, exec, s[6:7]
	v_lshrrev_b32_e32 v2, 16, v9
	v_ashrrev_i32_e32 v9, 31, v8
	v_lshlrev_b64 v[0:1], 1, v[8:9]
	v_mov_b32_e32 v3, s17
	v_add_co_u32_e64 v0, s[2:3], s16, v0
	v_addc_co_u32_e64 v1, s[2:3], v3, v1, s[2:3]
	s_add_i32 s8, s8, 1
	v_and_b32_e32 v3, 0xffff0000, v35
	v_cmp_ge_i32_e64 s[2:3], s8, v11
	v_or_b32_sdwa v3, v3, v34 dst_sel:DWORD dst_unused:UNUSED_PAD src0_sel:DWORD src1_sel:WORD_1
	v_and_or_b32 v2, v33, s9, v2
	v_add_u32_e32 v8, 0x80, v8
	s_or_b64 s[4:5], s[2:3], s[4:5]
	v_add_u32_e32 v26, 0x100, v26
	global_store_dwordx2 v[0:1], v[2:3], off
	s_andn2_b64 exec, exec, s[4:5]
	s_cbranch_execz .LBB117_28
.LBB117_10:                             ; =>This Inner Loop Header: Depth=1
	ds_read_b64 v[0:1], v26
	v_add_u32_e32 v34, s8, v10
	v_mov_b32_e32 v35, v27
	v_cmp_gt_i32_e64 s[2:3], s12, v34
	v_cndmask_b32_e64 v34, v6, v4, s[2:3]
	s_waitcnt lgkmcnt(0)
	v_and_b32_e32 v2, 0xffff0000, v0
	v_lshlrev_b32_e32 v3, 16, v0
	v_alignbit_b32 v0, v1, v0, 16
	v_and_b32_e32 v9, 0xffff0000, v1
	v_mul_f32_e32 v1, v2, v2
	v_and_b32_e32 v33, 0xffff0000, v0
	v_fmac_f32_e32 v1, v3, v3
	v_fmac_f32_e32 v1, v33, v33
	;; [unrolled: 1-line block ×3, first 2 shown]
	ds_bpermute_b32 v0, v12, v1
	v_cndmask_b32_e64 v36, v22, v20, s[2:3]
	v_cndmask_b32_e64 v37, v7, v5, s[2:3]
	;; [unrolled: 1-line block ×3, first 2 shown]
	v_lshlrev_b32_e32 v34, 16, v34
	s_waitcnt lgkmcnt(0)
	v_add_f32_e32 v0, v1, v0
	ds_bpermute_b32 v1, v13, v0
	s_waitcnt lgkmcnt(0)
	v_add_f32_e32 v0, v0, v1
	ds_bpermute_b32 v1, v14, v0
	;; [unrolled: 3-line block ×4, first 2 shown]
	s_waitcnt lgkmcnt(0)
	v_add_f32_e32 v0, v0, v1
	v_fmac_f32_e32 v35, 0x3c000000, v0
	v_mul_f32_e32 v0, 0x4b800000, v35
	v_cmp_gt_f32_e64 s[2:3], s10, v35
	v_cndmask_b32_e64 v0, v35, v0, s[2:3]
	v_rsq_f32_e32 v0, v0
	v_lshlrev_b32_e32 v35, 16, v37
	v_lshlrev_b32_e32 v1, 16, v36
	v_lshlrev_b32_e32 v36, 16, v38
	v_mul_f32_e32 v37, 0x45800000, v0
	v_cndmask_b32_e64 v0, v0, v37, s[2:3]
	v_mul_f32_e32 v34, v0, v34
	v_mul_f32_e32 v1, v0, v1
	;; [unrolled: 1-line block ×8, first 2 shown]
	s_and_saveexec_b64 s[2:3], vcc
	s_cbranch_execz .LBB117_12
; %bb.11:                               ;   in Loop: Header=BB117_10 Depth=1
	ds_bpermute_b32 v9, v17, v0
	; wave barrier
	ds_read_u16 v33, v19
	ds_read_u16 v34, v24
	;; [unrolled: 1-line block ×7, first 2 shown]
	s_waitcnt lgkmcnt(6)
	v_cvt_f32_f16_e32 v33, v33
	ds_read_u16 v40, v18
	ds_bpermute_b32 v41, v17, v1
	v_cndmask_b32_e64 v9, v9, -v9, s[0:1]
	v_mul_f32_e32 v9, v9, v33
	s_waitcnt lgkmcnt(6)
	v_cvt_f32_f16_e32 v33, v35
	ds_bpermute_b32 v35, v17, v2
	s_waitcnt lgkmcnt(2)
	v_fma_mix_f32 v0, v0, v40, v9 op_sel_hi:[0,1,0]
	s_waitcnt lgkmcnt(1)
	v_cndmask_b32_e64 v9, v41, -v41, s[0:1]
	v_mul_f32_e32 v9, v9, v33
	v_fma_mix_f32 v1, v1, v34, v9 op_sel_hi:[0,1,0]
	v_cvt_f32_f16_e32 v9, v37
	ds_bpermute_b32 v33, v17, v3
	s_waitcnt lgkmcnt(1)
	v_cndmask_b32_e64 v34, v35, -v35, s[0:1]
	v_cvt_f32_f16_e32 v35, v39
	v_mul_f32_e32 v9, v34, v9
	v_fma_mix_f32 v2, v2, v36, v9 op_sel_hi:[0,1,0]
	s_waitcnt lgkmcnt(0)
	v_cndmask_b32_e64 v9, v33, -v33, s[0:1]
	v_mul_f32_e32 v9, v9, v35
	v_fma_mix_f32 v3, v3, v38, v9 op_sel_hi:[0,1,0]
	; wave barrier
.LBB117_12:                             ;   in Loop: Header=BB117_10 Depth=1
	s_or_b64 exec, exec, s[2:3]
	v_and_b32_e32 v9, 0x7f800000, v0
	v_cmp_ne_u32_e64 s[2:3], s11, v9
                                        ; implicit-def: $vgpr9
	s_and_saveexec_b64 s[6:7], s[2:3]
	s_xor_b64 s[2:3], exec, s[6:7]
; %bb.13:                               ;   in Loop: Header=BB117_10 Depth=1
	v_bfe_u32 v9, v0, 16, 1
	v_add3_u32 v9, v0, v9, s13
; %bb.14:                               ;   in Loop: Header=BB117_10 Depth=1
	s_andn2_saveexec_b64 s[6:7], s[2:3]
; %bb.15:                               ;   in Loop: Header=BB117_10 Depth=1
	v_or_b32_e32 v9, 0x10000, v0
	v_cmp_eq_u32_sdwa s[2:3], v0, v32 src0_sel:WORD_0 src1_sel:DWORD
	v_cndmask_b32_e64 v9, v9, v0, s[2:3]
; %bb.16:                               ;   in Loop: Header=BB117_10 Depth=1
	s_or_b64 exec, exec, s[6:7]
	v_and_b32_e32 v0, 0x7f800000, v1
	v_cmp_ne_u32_e64 s[2:3], s11, v0
                                        ; implicit-def: $vgpr33
	s_and_saveexec_b64 s[6:7], s[2:3]
	s_xor_b64 s[2:3], exec, s[6:7]
; %bb.17:                               ;   in Loop: Header=BB117_10 Depth=1
	v_bfe_u32 v0, v1, 16, 1
	v_add3_u32 v33, v1, v0, s13
; %bb.18:                               ;   in Loop: Header=BB117_10 Depth=1
	s_andn2_saveexec_b64 s[6:7], s[2:3]
; %bb.19:                               ;   in Loop: Header=BB117_10 Depth=1
	v_or_b32_e32 v0, 0x10000, v1
	v_cmp_eq_u32_sdwa s[2:3], v1, v32 src0_sel:WORD_0 src1_sel:DWORD
	v_cndmask_b32_e64 v33, v0, v1, s[2:3]
; %bb.20:                               ;   in Loop: Header=BB117_10 Depth=1
	s_or_b64 exec, exec, s[6:7]
	v_and_b32_e32 v0, 0x7f800000, v2
	v_cmp_ne_u32_e64 s[2:3], s11, v0
                                        ; implicit-def: $vgpr34
	s_and_saveexec_b64 s[6:7], s[2:3]
	s_xor_b64 s[2:3], exec, s[6:7]
; %bb.21:                               ;   in Loop: Header=BB117_10 Depth=1
	v_bfe_u32 v0, v2, 16, 1
	v_add3_u32 v34, v2, v0, s13
; %bb.22:                               ;   in Loop: Header=BB117_10 Depth=1
	s_andn2_saveexec_b64 s[6:7], s[2:3]
; %bb.23:                               ;   in Loop: Header=BB117_10 Depth=1
	v_or_b32_e32 v0, 0x10000, v2
	v_cmp_eq_u32_sdwa s[2:3], v2, v32 src0_sel:WORD_0 src1_sel:DWORD
	v_cndmask_b32_e64 v34, v0, v2, s[2:3]
; %bb.24:                               ;   in Loop: Header=BB117_10 Depth=1
	s_or_b64 exec, exec, s[6:7]
	v_and_b32_e32 v0, 0x7f800000, v3
	v_cmp_ne_u32_e64 s[2:3], s11, v0
                                        ; implicit-def: $vgpr35
	s_and_saveexec_b64 s[6:7], s[2:3]
	s_xor_b64 s[2:3], exec, s[6:7]
; %bb.25:                               ;   in Loop: Header=BB117_10 Depth=1
	v_bfe_u32 v0, v3, 16, 1
	v_add3_u32 v35, v3, v0, s13
                                        ; implicit-def: $vgpr0_vgpr1_vgpr2_vgpr3
; %bb.26:                               ;   in Loop: Header=BB117_10 Depth=1
	s_andn2_saveexec_b64 s[6:7], s[2:3]
	s_cbranch_execz .LBB117_9
; %bb.27:                               ;   in Loop: Header=BB117_10 Depth=1
	v_or_b32_e32 v0, 0x10000, v3
	v_cmp_eq_u32_sdwa s[2:3], v3, v32 src0_sel:WORD_0 src1_sel:DWORD
	v_cndmask_b32_e64 v35, v0, v3, s[2:3]
	s_branch .LBB117_9
.LBB117_28:
	s_endpgm
	.section	.rodata,"a",@progbits
	.p2align	6, 0x0
	.amdhsa_kernel _ZN12tensorrt_llm7kernels32fusedQKNormRopeKernelNTokenHeadsIN3c108BFloat16ENS2_4HalfELi128ELb0ELi8EEEvPviiifPKvS7_S7_PKlii
		.amdhsa_group_segment_fixed_size 0
		.amdhsa_private_segment_fixed_size 0
		.amdhsa_kernarg_size 320
		.amdhsa_user_sgpr_count 6
		.amdhsa_user_sgpr_private_segment_buffer 1
		.amdhsa_user_sgpr_dispatch_ptr 0
		.amdhsa_user_sgpr_queue_ptr 0
		.amdhsa_user_sgpr_kernarg_segment_ptr 1
		.amdhsa_user_sgpr_dispatch_id 0
		.amdhsa_user_sgpr_flat_scratch_init 0
		.amdhsa_user_sgpr_kernarg_preload_length 0
		.amdhsa_user_sgpr_kernarg_preload_offset 0
		.amdhsa_user_sgpr_private_segment_size 0
		.amdhsa_uses_dynamic_stack 0
		.amdhsa_system_sgpr_private_segment_wavefront_offset 0
		.amdhsa_system_sgpr_workgroup_id_x 1
		.amdhsa_system_sgpr_workgroup_id_y 0
		.amdhsa_system_sgpr_workgroup_id_z 0
		.amdhsa_system_sgpr_workgroup_info 0
		.amdhsa_system_vgpr_workitem_id 0
		.amdhsa_next_free_vgpr 42
		.amdhsa_next_free_sgpr 24
		.amdhsa_accum_offset 44
		.amdhsa_reserve_vcc 1
		.amdhsa_reserve_flat_scratch 0
		.amdhsa_float_round_mode_32 0
		.amdhsa_float_round_mode_16_64 0
		.amdhsa_float_denorm_mode_32 3
		.amdhsa_float_denorm_mode_16_64 3
		.amdhsa_dx10_clamp 1
		.amdhsa_ieee_mode 1
		.amdhsa_fp16_overflow 0
		.amdhsa_tg_split 0
		.amdhsa_exception_fp_ieee_invalid_op 0
		.amdhsa_exception_fp_denorm_src 0
		.amdhsa_exception_fp_ieee_div_zero 0
		.amdhsa_exception_fp_ieee_overflow 0
		.amdhsa_exception_fp_ieee_underflow 0
		.amdhsa_exception_fp_ieee_inexact 0
		.amdhsa_exception_int_div_zero 0
	.end_amdhsa_kernel
	.section	.text._ZN12tensorrt_llm7kernels32fusedQKNormRopeKernelNTokenHeadsIN3c108BFloat16ENS2_4HalfELi128ELb0ELi8EEEvPviiifPKvS7_S7_PKlii,"axG",@progbits,_ZN12tensorrt_llm7kernels32fusedQKNormRopeKernelNTokenHeadsIN3c108BFloat16ENS2_4HalfELi128ELb0ELi8EEEvPviiifPKvS7_S7_PKlii,comdat
.Lfunc_end117:
	.size	_ZN12tensorrt_llm7kernels32fusedQKNormRopeKernelNTokenHeadsIN3c108BFloat16ENS2_4HalfELi128ELb0ELi8EEEvPviiifPKvS7_S7_PKlii, .Lfunc_end117-_ZN12tensorrt_llm7kernels32fusedQKNormRopeKernelNTokenHeadsIN3c108BFloat16ENS2_4HalfELi128ELb0ELi8EEEvPviiifPKvS7_S7_PKlii
                                        ; -- End function
	.section	.AMDGPU.csdata,"",@progbits
; Kernel info:
; codeLenInByte = 2308
; NumSgprs: 28
; NumVgprs: 42
; NumAgprs: 0
; TotalNumVgprs: 42
; ScratchSize: 0
; MemoryBound: 0
; FloatMode: 240
; IeeeMode: 1
; LDSByteSize: 0 bytes/workgroup (compile time only)
; SGPRBlocks: 3
; VGPRBlocks: 5
; NumSGPRsForWavesPerEU: 28
; NumVGPRsForWavesPerEU: 42
; AccumOffset: 44
; Occupancy: 8
; WaveLimiterHint : 0
; COMPUTE_PGM_RSRC2:SCRATCH_EN: 0
; COMPUTE_PGM_RSRC2:USER_SGPR: 6
; COMPUTE_PGM_RSRC2:TRAP_HANDLER: 0
; COMPUTE_PGM_RSRC2:TGID_X_EN: 1
; COMPUTE_PGM_RSRC2:TGID_Y_EN: 0
; COMPUTE_PGM_RSRC2:TGID_Z_EN: 0
; COMPUTE_PGM_RSRC2:TIDIG_COMP_CNT: 0
; COMPUTE_PGM_RSRC3_GFX90A:ACCUM_OFFSET: 10
; COMPUTE_PGM_RSRC3_GFX90A:TG_SPLIT: 0
	.section	.text._ZN12tensorrt_llm7kernels32fusedQKNormRopeKernelNTokenHeadsIN3c108BFloat16ENS2_4HalfELi256ELb1ELi8EEEvPviiifPKvS7_S7_PKlii,"axG",@progbits,_ZN12tensorrt_llm7kernels32fusedQKNormRopeKernelNTokenHeadsIN3c108BFloat16ENS2_4HalfELi256ELb1ELi8EEEvPviiifPKvS7_S7_PKlii,comdat
	.protected	_ZN12tensorrt_llm7kernels32fusedQKNormRopeKernelNTokenHeadsIN3c108BFloat16ENS2_4HalfELi256ELb1ELi8EEEvPviiifPKvS7_S7_PKlii ; -- Begin function _ZN12tensorrt_llm7kernels32fusedQKNormRopeKernelNTokenHeadsIN3c108BFloat16ENS2_4HalfELi256ELb1ELi8EEEvPviiifPKvS7_S7_PKlii
	.globl	_ZN12tensorrt_llm7kernels32fusedQKNormRopeKernelNTokenHeadsIN3c108BFloat16ENS2_4HalfELi256ELb1ELi8EEEvPviiifPKvS7_S7_PKlii
	.p2align	8
	.type	_ZN12tensorrt_llm7kernels32fusedQKNormRopeKernelNTokenHeadsIN3c108BFloat16ENS2_4HalfELi256ELb1ELi8EEEvPviiifPKvS7_S7_PKlii,@function
_ZN12tensorrt_llm7kernels32fusedQKNormRopeKernelNTokenHeadsIN3c108BFloat16ENS2_4HalfELi256ELb1ELi8EEEvPviiifPKvS7_S7_PKlii: ; @_ZN12tensorrt_llm7kernels32fusedQKNormRopeKernelNTokenHeadsIN3c108BFloat16ENS2_4HalfELi256ELb1ELi8EEEvPviiifPKvS7_S7_PKlii
; %bb.0:
	s_load_dwordx4 s[12:15], s[4:5], 0x8
	s_load_dwordx2 s[2:3], s[4:5], 0x38
	s_load_dword s1, s[4:5], 0x4c
	v_lshrrev_b32_e32 v1, 5, v0
	s_waitcnt lgkmcnt(0)
	s_add_i32 s0, s13, s12
	s_add_i32 s7, s0, 7
	s_ashr_i32 s8, s7, 31
	s_lshr_b32 s8, s8, 29
	s_add_i32 s7, s7, s8
	s_ashr_i32 s20, s7, 3
	s_abs_i32 s7, s20
	v_cvt_f32_u32_e32 v2, s7
	s_bfe_u32 s1, s1, 0xb0005
	s_mul_i32 s6, s6, s1
	v_rcp_iflag_f32_e32 v3, v2
	v_add_u32_e32 v2, s6, v1
	s_sub_i32 s6, 0, s7
	v_sub_u32_e32 v4, 0, v2
	v_mul_f32_e32 v3, 0x4f7ffffe, v3
	v_cvt_u32_f32_e32 v3, v3
	v_max_i32_e32 v4, v2, v4
	v_xor_b32_e32 v5, s20, v2
	v_ashrrev_i32_e32 v5, 31, v5
	v_mul_lo_u32 v6, s6, v3
	v_mul_hi_u32 v6, v3, v6
	v_add_u32_e32 v3, v3, v6
	v_mul_hi_u32 v3, v4, v3
	v_mul_lo_u32 v6, v3, s7
	v_sub_u32_e32 v4, v4, v6
	v_add_u32_e32 v6, 1, v3
	v_cmp_le_u32_e32 vcc, s7, v4
	v_cndmask_b32_e32 v3, v3, v6, vcc
	v_subrev_u32_e32 v6, s7, v4
	v_cndmask_b32_e32 v4, v4, v6, vcc
	v_add_u32_e32 v6, 1, v3
	v_cmp_le_u32_e32 vcc, s7, v4
	v_cndmask_b32_e32 v3, v3, v6, vcc
	v_xor_b32_e32 v3, v3, v5
	v_sub_u32_e32 v8, v3, v5
	v_cmp_gt_i32_e32 vcc, s2, v8
	s_and_saveexec_b64 s[6:7], vcc
	s_cbranch_execz .LBB118_44
; %bb.1:
	v_mul_lo_u32 v3, v8, s20
	v_sub_u32_e32 v3, v2, v3
	s_load_dwordx2 s[16:17], s[4:5], 0x0
	v_lshlrev_b32_e32 v18, 3, v3
	v_add_u32_e32 v3, 8, v18
	v_sub_u32_e32 v4, s0, v18
	v_cmp_lt_i32_e32 vcc, s0, v3
	v_and_b32_e32 v10, 31, v0
	v_cndmask_b32_e32 v19, 8, v4, vcc
	s_lshl_b32 s18, s3, 1
	s_mul_i32 s2, s18, s1
	v_lshlrev_b32_e32 v13, 12, v1
	v_cmp_lt_i32_e64 s[0:1], 0, v19
	v_lshlrev_b32_e32 v12, 4, v10
	v_lshlrev_b32_e32 v11, 11, v2
	s_and_saveexec_b64 s[6:7], s[0:1]
	s_cbranch_execz .LBB118_4
; %bb.2:
	s_add_i32 s8, s2, 0
	v_add3_u32 v4, s8, v13, v12
	s_add_i32 s8, s14, s13
	s_add_i32 s8, s8, s12
	s_lshl_b32 s9, s20, 3
	s_sub_i32 s8, s8, s9
	v_mul_lo_u32 v2, s8, v8
	v_lshl_add_u32 v2, v2, 8, v11
	s_mov_b32 s10, 0
	v_lshl_or_b32 v2, v10, 3, v2
	s_mov_b64 s[8:9], 0
	s_waitcnt lgkmcnt(0)
	v_mov_b32_e32 v5, s17
.LBB118_3:                              ; =>This Inner Loop Header: Depth=1
	v_ashrrev_i32_e32 v3, 31, v2
	v_lshlrev_b64 v[6:7], 1, v[2:3]
	v_add_co_u32_e32 v6, vcc, s16, v6
	v_addc_co_u32_e32 v7, vcc, v5, v7, vcc
	global_load_dwordx4 v[14:17], v[6:7], off
	s_add_i32 s10, s10, 1
	v_cmp_ge_i32_e32 vcc, s10, v19
	v_add_u32_e32 v2, 0x100, v2
	s_or_b64 s[8:9], vcc, s[8:9]
	s_waitcnt vmcnt(0)
	ds_write_b128 v4, v[14:17]
	v_add_u32_e32 v4, 0x200, v4
	s_andn2_b64 exec, exec, s[8:9]
	s_cbranch_execnz .LBB118_3
.LBB118_4:
	s_or_b64 exec, exec, s[6:7]
	s_add_i32 s18, s18, 15
	s_load_dwordx8 s[4:11], s[4:5], 0x18
	s_ashr_i32 s19, s18, 31
	s_lshr_b32 s19, s19, 28
	s_add_i32 s18, s18, s19
	s_ashr_i32 s21, s18, 4
	v_mul_lo_u32 v1, v1, s3
	v_cmp_gt_i32_e32 vcc, s21, v10
	v_lshlrev_b32_e32 v14, 1, v1
	s_and_saveexec_b64 s[18:19], vcc
	s_cbranch_execz .LBB118_7
; %bb.5:
	v_ashrrev_i32_e32 v9, 31, v8
	v_lshlrev_b64 v[2:3], 3, v[8:9]
	s_waitcnt lgkmcnt(0)
	v_mov_b32_e32 v1, s11
	v_add_co_u32_e32 v2, vcc, s10, v2
	v_addc_co_u32_e32 v3, vcc, v1, v3, vcc
	global_load_dwordx2 v[4:5], v[2:3], off
	s_ashr_i32 s22, s3, 31
	v_and_b32_e32 v0, 31, v0
	v_lshlrev_b32_e32 v6, 4, v0
	v_mov_b32_e32 v3, s9
	v_add3_u32 v2, v14, v12, 0
	s_mov_b64 s[10:11], 0
	s_waitcnt vmcnt(0)
	v_mul_lo_u32 v5, v5, s3
	v_mul_lo_u32 v7, v4, s22
	v_mad_u64_u32 v[0:1], s[22:23], v4, s3, 0
	v_add3_u32 v1, v1, v7, v5
	v_lshlrev_b64 v[0:1], 1, v[0:1]
	v_add_co_u32_e32 v0, vcc, v0, v6
	v_addc_co_u32_e32 v1, vcc, 0, v1, vcc
	v_add_co_u32_e32 v0, vcc, s8, v0
	v_addc_co_u32_e32 v1, vcc, v3, v1, vcc
	v_mov_b32_e32 v3, v10
.LBB118_6:                              ; =>This Inner Loop Header: Depth=1
	global_load_dwordx4 v[4:7], v[0:1], off
	v_add_co_u32_e32 v0, vcc, 0x200, v0
	v_add_u32_e32 v3, 32, v3
	v_addc_co_u32_e32 v1, vcc, 0, v1, vcc
	v_cmp_le_i32_e32 vcc, s21, v3
	s_or_b64 s[10:11], vcc, s[10:11]
	s_waitcnt vmcnt(0)
	ds_write_b128 v2, v[4:7]
	v_add_u32_e32 v2, 0x200, v2
	s_andn2_b64 exec, exec, s[10:11]
	s_cbranch_execnz .LBB118_6
.LBB118_7:
	s_or_b64 exec, exec, s[18:19]
	s_and_b64 exec, exec, s[0:1]
	s_cbranch_execz .LBB118_44
; %bb.8:
	s_waitcnt lgkmcnt(0)
	global_load_dwordx4 v[0:3], v12, s[4:5]
	global_load_dwordx4 v[4:7], v12, s[6:7]
	v_mbcnt_lo_u32_b32 v15, -1, 0
	v_add_u32_e32 v13, s2, v13
	v_mbcnt_hi_u32_b32 v15, -1, v15
	v_add3_u32 v22, v13, v12, 0
	v_and_b32_e32 v12, 0x60, v15
	v_lshlrev_b32_e32 v9, 3, v10
	v_xor_b32_e32 v13, 16, v15
	v_add_u32_e32 v12, 32, v12
	v_add3_u32 v21, 0, v14, v9
	v_xor_b32_e32 v14, 8, v15
	v_cmp_lt_i32_e32 vcc, v13, v12
	s_add_i32 s11, s14, s13
	v_xor_b32_e32 v16, 4, v15
	v_cndmask_b32_e32 v13, v15, v13, vcc
	v_cmp_lt_i32_e32 vcc, v14, v12
	s_ashr_i32 s1, s3, 31
	s_lshl_b32 s13, s20, 3
	s_add_i32 s11, s11, s12
	v_xor_b32_e32 v17, 2, v15
	v_cndmask_b32_e32 v14, v15, v14, vcc
	v_cmp_lt_i32_e32 vcc, v16, v12
	s_lshr_b32 s0, s3, 31
	s_lshr_b32 s1, s1, 29
	v_xor_b32_e32 v24, 1, v15
	s_sub_i32 s2, s11, s13
	v_cndmask_b32_e32 v16, v15, v16, vcc
	v_cmp_lt_i32_e32 vcc, v17, v12
	s_add_i32 s0, s3, s0
	s_add_i32 s1, s3, s1
	v_mul_lo_u32 v8, s2, v8
	v_cndmask_b32_e32 v17, v15, v17, vcc
	v_cmp_lt_i32_e32 vcc, v24, v12
	s_and_b32 s0, s0, -2
	s_ashr_i32 s1, s1, 3
	v_cndmask_b32_e32 v12, v15, v24, vcc
	v_lshl_add_u32 v8, v8, 8, v11
	s_mov_b32 s6, 0
	s_mov_b64 s[4:5], 0
	v_mov_b32_e32 v20, s15
	s_mov_b32 s7, 0x800000
	s_mov_b32 s8, 0x7f800000
	s_movk_i32 s9, 0x7fff
	s_mov_b32 s10, 0x7060302
	v_add_u32_e32 v23, s0, v21
	v_cmp_gt_i32_e32 vcc, s1, v10
	v_lshlrev_b32_e32 v24, 2, v13
	v_lshlrev_b32_e32 v25, 2, v14
	;; [unrolled: 1-line block ×5, first 2 shown]
	v_or_b32_e32 v8, v8, v9
	v_mov_b32_e32 v37, 0
	s_waitcnt vmcnt(1)
	v_lshrrev_b32_e32 v29, 16, v0
	s_waitcnt vmcnt(0)
	v_lshrrev_b32_e32 v30, 16, v4
	v_lshrrev_b32_e32 v31, 16, v1
	;; [unrolled: 1-line block ×7, first 2 shown]
	s_branch .LBB118_10
.LBB118_9:                              ;   in Loop: Header=BB118_10 Depth=1
	s_or_b64 exec, exec, s[2:3]
	v_ashrrev_i32_e32 v9, 31, v8
	v_lshlrev_b64 v[40:41], 1, v[8:9]
	v_mov_b32_e32 v9, s17
	v_add_co_u32_e64 v40, s[0:1], s16, v40
	v_addc_co_u32_e64 v41, s[0:1], v9, v41, s[0:1]
	s_add_i32 s6, s6, 1
	v_cmp_ge_i32_e64 s[0:1], s6, v19
	v_perm_b32 v13, v10, v13, s10
	v_perm_b32 v12, v12, v15, s10
	;; [unrolled: 1-line block ×4, first 2 shown]
	v_add_u32_e32 v8, 0x100, v8
	s_or_b64 s[4:5], s[0:1], s[4:5]
	v_add_u32_e32 v22, 0x200, v22
	global_store_dwordx4 v[40:41], v[10:13], off
	s_andn2_b64 exec, exec, s[4:5]
	s_cbranch_execz .LBB118_44
.LBB118_10:                             ; =>This Inner Loop Header: Depth=1
	ds_read_b128 v[10:13], v22
	s_waitcnt lgkmcnt(0)
	v_and_b32_e32 v15, 0xffff0000, v10
	v_lshlrev_b32_e32 v14, 16, v10
	v_pk_mul_f32 v[40:41], v[14:15], v[14:15]
	v_and_b32_e32 v43, 0xffff0000, v11
	v_lshlrev_b32_e32 v42, 16, v11
	v_pk_mul_f32 v[10:11], v[42:43], v[42:43]
	v_add_f32_e32 v9, v40, v41
	v_and_b32_e32 v39, 0xffff0000, v13
	v_lshlrev_b32_e32 v38, 16, v13
	v_and_b32_e32 v13, 0xffff0000, v12
	v_lshlrev_b32_e32 v12, 16, v12
	v_add_f32_e32 v9, v9, v10
	v_pk_mul_f32 v[44:45], v[12:13], v[12:13]
	v_add_f32_e32 v9, v9, v11
	v_add_f32_e32 v9, v9, v44
	v_pk_mul_f32 v[16:17], v[38:39], v[38:39]
	v_add_f32_e32 v9, v9, v45
	v_add_f32_e32 v9, v9, v16
	v_add_f32_e32 v9, v9, v17
	ds_bpermute_b32 v10, v24, v9
	v_mov_b32_e32 v16, v20
	v_add_u32_e32 v11, s6, v18
	v_cmp_gt_i32_e64 s[0:1], s12, v11
	v_cndmask_b32_e64 v11, v30, v29, s[0:1]
	s_waitcnt lgkmcnt(0)
	v_add_f32_e32 v9, v9, v10
	ds_bpermute_b32 v10, v25, v9
	v_cndmask_b32_e64 v17, v4, v0, s[0:1]
	v_lshlrev_b32_e32 v11, 16, v11
	v_cndmask_b32_e64 v40, v32, v31, s[0:1]
	v_cndmask_b32_e64 v41, v5, v1, s[0:1]
	s_waitcnt lgkmcnt(0)
	v_add_f32_e32 v9, v9, v10
	ds_bpermute_b32 v10, v26, v9
	v_cndmask_b32_e64 v45, v34, v33, s[0:1]
	v_cndmask_b32_e64 v46, v6, v2, s[0:1]
	s_waitcnt lgkmcnt(0)
	v_add_f32_e32 v9, v9, v10
	ds_bpermute_b32 v10, v27, v9
	s_waitcnt lgkmcnt(0)
	v_add_f32_e32 v9, v9, v10
	ds_bpermute_b32 v44, v28, v9
	v_lshlrev_b32_e32 v10, 16, v17
	v_lshlrev_b32_e32 v17, 16, v40
	;; [unrolled: 1-line block ×3, first 2 shown]
	s_waitcnt lgkmcnt(0)
	v_add_f32_e32 v9, v9, v44
	v_fmac_f32_e32 v16, 0x3b800000, v9
	v_mul_f32_e32 v9, 0x4b800000, v16
	v_cmp_gt_f32_e64 s[2:3], s7, v16
	v_cndmask_b32_e64 v9, v16, v9, s[2:3]
	v_rsq_f32_e32 v9, v9
	v_lshlrev_b32_e32 v16, 16, v41
	v_lshlrev_b32_e32 v41, 16, v45
	v_mul_f32_e32 v44, 0x45800000, v9
	v_cndmask_b32_e64 v44, v9, v44, s[2:3]
	v_pk_mul_f32 v[10:11], v[44:45], v[10:11] op_sel_hi:[0,1]
	v_pk_mul_f32 v[46:47], v[44:45], v[16:17] op_sel_hi:[0,1]
	v_pk_mul_f32 v[16:17], v[10:11], v[14:15]
	v_pk_mul_f32 v[10:11], v[44:45], v[40:41] op_sel_hi:[0,1]
	v_pk_mul_f32 v[12:13], v[10:11], v[12:13]
	v_cndmask_b32_e64 v9, v36, v35, s[0:1]
	v_cndmask_b32_e64 v10, v7, v3, s[0:1]
	v_lshlrev_b32_e32 v11, 16, v9
	v_lshlrev_b32_e32 v10, 16, v10
	v_pk_mul_f32 v[10:11], v[44:45], v[10:11] op_sel_hi:[0,1]
	v_pk_mul_f32 v[14:15], v[46:47], v[42:43]
	v_pk_mul_f32 v[10:11], v[10:11], v[38:39]
	s_and_saveexec_b64 s[0:1], vcc
	s_cbranch_execz .LBB118_12
; %bb.11:                               ;   in Loop: Header=BB118_10 Depth=1
	ds_read_b64 v[38:39], v21
	ds_read_b64 v[40:41], v23
	s_waitcnt lgkmcnt(1)
	v_cvt_f32_f16_e32 v42, v38
	s_waitcnt lgkmcnt(0)
	v_cvt_f32_f16_e32 v44, v40
	v_cvt_f32_f16_sdwa v40, v40 dst_sel:DWORD dst_unused:UNUSED_PAD src0_sel:WORD_1
	v_cvt_f32_f16_sdwa v38, v38 dst_sel:DWORD dst_unused:UNUSED_PAD src0_sel:WORD_1
	v_cvt_f32_f16_e32 v46, v41
	v_pk_mul_f32 v[44:45], v[16:17], v[44:45] op_sel_hi:[1,0]
	v_pk_mul_f32 v[48:49], v[16:17], v[42:43] op_sel_hi:[1,0]
	v_pk_fma_f32 v[16:17], v[16:17], v[42:43], v[44:45] op_sel:[0,0,1] op_sel_hi:[1,0,0]
	v_pk_mul_f32 v[50:51], v[14:15], v[40:41] op_sel_hi:[1,0]
	v_cvt_f32_f16_e32 v16, v39
	v_pk_fma_f32 v[42:43], v[14:15], v[38:39], v[50:51] op_sel:[0,0,1] op_sel_hi:[1,0,0] neg_lo:[0,0,1] neg_hi:[0,0,1]
	v_pk_fma_f32 v[14:15], v[14:15], v[38:39], v[50:51] op_sel:[0,0,1] op_sel_hi:[1,0,0]
	v_cvt_f32_f16_sdwa v39, v39 dst_sel:DWORD dst_unused:UNUSED_PAD src0_sel:WORD_1
	v_cvt_f32_f16_sdwa v38, v41 dst_sel:DWORD dst_unused:UNUSED_PAD src0_sel:WORD_1
	v_pk_mul_f32 v[46:47], v[12:13], v[46:47] op_sel_hi:[1,0]
	v_pk_fma_f32 v[50:51], v[12:13], v[16:17], v[46:47] op_sel:[0,0,1] op_sel_hi:[1,0,0] neg_lo:[0,0,1] neg_hi:[0,0,1]
	v_pk_fma_f32 v[12:13], v[12:13], v[16:17], v[46:47] op_sel:[0,0,1] op_sel_hi:[1,0,0]
	v_mov_b32_e32 v14, v11
	v_mov_b32_e32 v12, v39
	v_pk_mul_f32 v[40:41], v[14:15], v[38:39]
	v_pk_mul_f32 v[46:47], v[10:11], v[38:39]
	v_pk_fma_f32 v[40:41], v[10:11], v[12:13], v[40:41] op_sel_hi:[1,0,1] neg_lo:[0,0,1] neg_hi:[0,0,1]
	v_mov_b32_e32 v12, v47
	v_pk_fma_f32 v[38:39], v[10:11], v[38:39], v[12:13]
	v_sub_f32_e32 v16, v48, v45
	v_mov_b32_e32 v14, v42
	v_mov_b32_e32 v12, v50
	;; [unrolled: 1-line block ×4, first 2 shown]
.LBB118_12:                             ;   in Loop: Header=BB118_10 Depth=1
	s_or_b64 exec, exec, s[0:1]
	v_and_b32_e32 v9, 0x7f800000, v16
	v_cmp_ne_u32_e64 s[0:1], s8, v9
                                        ; implicit-def: $vgpr38
	s_and_saveexec_b64 s[2:3], s[0:1]
	s_xor_b64 s[0:1], exec, s[2:3]
; %bb.13:                               ;   in Loop: Header=BB118_10 Depth=1
	v_bfe_u32 v9, v16, 16, 1
	v_add3_u32 v38, v16, v9, s9
; %bb.14:                               ;   in Loop: Header=BB118_10 Depth=1
	s_andn2_saveexec_b64 s[2:3], s[0:1]
; %bb.15:                               ;   in Loop: Header=BB118_10 Depth=1
	v_or_b32_e32 v9, 0x10000, v16
	v_cmp_eq_u32_sdwa s[0:1], v16, v37 src0_sel:WORD_0 src1_sel:DWORD
	v_cndmask_b32_e64 v38, v9, v16, s[0:1]
; %bb.16:                               ;   in Loop: Header=BB118_10 Depth=1
	s_or_b64 exec, exec, s[2:3]
	v_and_b32_e32 v9, 0x7f800000, v17
	v_cmp_ne_u32_e64 s[0:1], s8, v9
                                        ; implicit-def: $vgpr16
	s_and_saveexec_b64 s[2:3], s[0:1]
	s_xor_b64 s[0:1], exec, s[2:3]
; %bb.17:                               ;   in Loop: Header=BB118_10 Depth=1
	v_bfe_u32 v9, v17, 16, 1
	v_add3_u32 v16, v17, v9, s9
                                        ; implicit-def: $vgpr17
; %bb.18:                               ;   in Loop: Header=BB118_10 Depth=1
	s_andn2_saveexec_b64 s[2:3], s[0:1]
; %bb.19:                               ;   in Loop: Header=BB118_10 Depth=1
	v_or_b32_e32 v9, 0x10000, v17
	v_cmp_eq_u32_sdwa s[0:1], v17, v37 src0_sel:WORD_0 src1_sel:DWORD
	v_cndmask_b32_e64 v16, v9, v17, s[0:1]
; %bb.20:                               ;   in Loop: Header=BB118_10 Depth=1
	s_or_b64 exec, exec, s[2:3]
	v_and_b32_e32 v9, 0x7f800000, v14
	v_cmp_ne_u32_e64 s[0:1], s8, v9
                                        ; implicit-def: $vgpr17
	s_and_saveexec_b64 s[2:3], s[0:1]
	s_xor_b64 s[0:1], exec, s[2:3]
; %bb.21:                               ;   in Loop: Header=BB118_10 Depth=1
	v_bfe_u32 v9, v14, 16, 1
	v_add3_u32 v17, v14, v9, s9
; %bb.22:                               ;   in Loop: Header=BB118_10 Depth=1
	s_andn2_saveexec_b64 s[2:3], s[0:1]
; %bb.23:                               ;   in Loop: Header=BB118_10 Depth=1
	v_or_b32_e32 v9, 0x10000, v14
	v_cmp_eq_u32_sdwa s[0:1], v14, v37 src0_sel:WORD_0 src1_sel:DWORD
	v_cndmask_b32_e64 v17, v9, v14, s[0:1]
; %bb.24:                               ;   in Loop: Header=BB118_10 Depth=1
	s_or_b64 exec, exec, s[2:3]
	v_and_b32_e32 v9, 0x7f800000, v15
	v_cmp_ne_u32_e64 s[0:1], s8, v9
                                        ; implicit-def: $vgpr14
	s_and_saveexec_b64 s[2:3], s[0:1]
	s_xor_b64 s[0:1], exec, s[2:3]
; %bb.25:                               ;   in Loop: Header=BB118_10 Depth=1
	v_bfe_u32 v9, v15, 16, 1
	v_add3_u32 v14, v15, v9, s9
                                        ; implicit-def: $vgpr15
; %bb.26:                               ;   in Loop: Header=BB118_10 Depth=1
	s_andn2_saveexec_b64 s[2:3], s[0:1]
; %bb.27:                               ;   in Loop: Header=BB118_10 Depth=1
	v_or_b32_e32 v9, 0x10000, v15
	v_cmp_eq_u32_sdwa s[0:1], v15, v37 src0_sel:WORD_0 src1_sel:DWORD
	v_cndmask_b32_e64 v14, v9, v15, s[0:1]
; %bb.28:                               ;   in Loop: Header=BB118_10 Depth=1
	s_or_b64 exec, exec, s[2:3]
	v_and_b32_e32 v9, 0x7f800000, v12
	v_cmp_ne_u32_e64 s[0:1], s8, v9
                                        ; implicit-def: $vgpr15
	s_and_saveexec_b64 s[2:3], s[0:1]
	s_xor_b64 s[0:1], exec, s[2:3]
; %bb.29:                               ;   in Loop: Header=BB118_10 Depth=1
	v_bfe_u32 v9, v12, 16, 1
	v_add3_u32 v15, v12, v9, s9
; %bb.30:                               ;   in Loop: Header=BB118_10 Depth=1
	s_andn2_saveexec_b64 s[2:3], s[0:1]
; %bb.31:                               ;   in Loop: Header=BB118_10 Depth=1
	v_or_b32_e32 v9, 0x10000, v12
	v_cmp_eq_u32_sdwa s[0:1], v12, v37 src0_sel:WORD_0 src1_sel:DWORD
	v_cndmask_b32_e64 v15, v9, v12, s[0:1]
; %bb.32:                               ;   in Loop: Header=BB118_10 Depth=1
	s_or_b64 exec, exec, s[2:3]
	v_and_b32_e32 v9, 0x7f800000, v13
	v_cmp_ne_u32_e64 s[0:1], s8, v9
                                        ; implicit-def: $vgpr12
	s_and_saveexec_b64 s[2:3], s[0:1]
	s_xor_b64 s[0:1], exec, s[2:3]
; %bb.33:                               ;   in Loop: Header=BB118_10 Depth=1
	v_bfe_u32 v9, v13, 16, 1
	v_add3_u32 v12, v13, v9, s9
                                        ; implicit-def: $vgpr13
; %bb.34:                               ;   in Loop: Header=BB118_10 Depth=1
	s_andn2_saveexec_b64 s[2:3], s[0:1]
; %bb.35:                               ;   in Loop: Header=BB118_10 Depth=1
	v_or_b32_e32 v9, 0x10000, v13
	v_cmp_eq_u32_sdwa s[0:1], v13, v37 src0_sel:WORD_0 src1_sel:DWORD
	v_cndmask_b32_e64 v12, v9, v13, s[0:1]
; %bb.36:                               ;   in Loop: Header=BB118_10 Depth=1
	s_or_b64 exec, exec, s[2:3]
	v_and_b32_e32 v9, 0x7f800000, v10
	v_cmp_ne_u32_e64 s[0:1], s8, v9
                                        ; implicit-def: $vgpr13
	s_and_saveexec_b64 s[2:3], s[0:1]
	s_xor_b64 s[0:1], exec, s[2:3]
; %bb.37:                               ;   in Loop: Header=BB118_10 Depth=1
	v_bfe_u32 v9, v10, 16, 1
	v_add3_u32 v13, v10, v9, s9
; %bb.38:                               ;   in Loop: Header=BB118_10 Depth=1
	s_andn2_saveexec_b64 s[2:3], s[0:1]
; %bb.39:                               ;   in Loop: Header=BB118_10 Depth=1
	v_or_b32_e32 v9, 0x10000, v10
	v_cmp_eq_u32_sdwa s[0:1], v10, v37 src0_sel:WORD_0 src1_sel:DWORD
	v_cndmask_b32_e64 v13, v9, v10, s[0:1]
; %bb.40:                               ;   in Loop: Header=BB118_10 Depth=1
	s_or_b64 exec, exec, s[2:3]
	v_and_b32_e32 v9, 0x7f800000, v11
	v_cmp_ne_u32_e64 s[0:1], s8, v9
                                        ; implicit-def: $vgpr10
	s_and_saveexec_b64 s[2:3], s[0:1]
	s_xor_b64 s[0:1], exec, s[2:3]
; %bb.41:                               ;   in Loop: Header=BB118_10 Depth=1
	v_bfe_u32 v9, v11, 16, 1
	v_add3_u32 v10, v11, v9, s9
                                        ; implicit-def: $vgpr11
; %bb.42:                               ;   in Loop: Header=BB118_10 Depth=1
	s_andn2_saveexec_b64 s[2:3], s[0:1]
	s_cbranch_execz .LBB118_9
; %bb.43:                               ;   in Loop: Header=BB118_10 Depth=1
	v_or_b32_e32 v9, 0x10000, v11
	v_cmp_eq_u32_sdwa s[0:1], v11, v37 src0_sel:WORD_0 src1_sel:DWORD
	v_cndmask_b32_e64 v10, v9, v11, s[0:1]
	s_branch .LBB118_9
.LBB118_44:
	s_endpgm
	.section	.rodata,"a",@progbits
	.p2align	6, 0x0
	.amdhsa_kernel _ZN12tensorrt_llm7kernels32fusedQKNormRopeKernelNTokenHeadsIN3c108BFloat16ENS2_4HalfELi256ELb1ELi8EEEvPviiifPKvS7_S7_PKlii
		.amdhsa_group_segment_fixed_size 0
		.amdhsa_private_segment_fixed_size 0
		.amdhsa_kernarg_size 320
		.amdhsa_user_sgpr_count 6
		.amdhsa_user_sgpr_private_segment_buffer 1
		.amdhsa_user_sgpr_dispatch_ptr 0
		.amdhsa_user_sgpr_queue_ptr 0
		.amdhsa_user_sgpr_kernarg_segment_ptr 1
		.amdhsa_user_sgpr_dispatch_id 0
		.amdhsa_user_sgpr_flat_scratch_init 0
		.amdhsa_user_sgpr_kernarg_preload_length 0
		.amdhsa_user_sgpr_kernarg_preload_offset 0
		.amdhsa_user_sgpr_private_segment_size 0
		.amdhsa_uses_dynamic_stack 0
		.amdhsa_system_sgpr_private_segment_wavefront_offset 0
		.amdhsa_system_sgpr_workgroup_id_x 1
		.amdhsa_system_sgpr_workgroup_id_y 0
		.amdhsa_system_sgpr_workgroup_id_z 0
		.amdhsa_system_sgpr_workgroup_info 0
		.amdhsa_system_vgpr_workitem_id 0
		.amdhsa_next_free_vgpr 52
		.amdhsa_next_free_sgpr 24
		.amdhsa_accum_offset 52
		.amdhsa_reserve_vcc 1
		.amdhsa_reserve_flat_scratch 0
		.amdhsa_float_round_mode_32 0
		.amdhsa_float_round_mode_16_64 0
		.amdhsa_float_denorm_mode_32 3
		.amdhsa_float_denorm_mode_16_64 3
		.amdhsa_dx10_clamp 1
		.amdhsa_ieee_mode 1
		.amdhsa_fp16_overflow 0
		.amdhsa_tg_split 0
		.amdhsa_exception_fp_ieee_invalid_op 0
		.amdhsa_exception_fp_denorm_src 0
		.amdhsa_exception_fp_ieee_div_zero 0
		.amdhsa_exception_fp_ieee_overflow 0
		.amdhsa_exception_fp_ieee_underflow 0
		.amdhsa_exception_fp_ieee_inexact 0
		.amdhsa_exception_int_div_zero 0
	.end_amdhsa_kernel
	.section	.text._ZN12tensorrt_llm7kernels32fusedQKNormRopeKernelNTokenHeadsIN3c108BFloat16ENS2_4HalfELi256ELb1ELi8EEEvPviiifPKvS7_S7_PKlii,"axG",@progbits,_ZN12tensorrt_llm7kernels32fusedQKNormRopeKernelNTokenHeadsIN3c108BFloat16ENS2_4HalfELi256ELb1ELi8EEEvPviiifPKvS7_S7_PKlii,comdat
.Lfunc_end118:
	.size	_ZN12tensorrt_llm7kernels32fusedQKNormRopeKernelNTokenHeadsIN3c108BFloat16ENS2_4HalfELi256ELb1ELi8EEEvPviiifPKvS7_S7_PKlii, .Lfunc_end118-_ZN12tensorrt_llm7kernels32fusedQKNormRopeKernelNTokenHeadsIN3c108BFloat16ENS2_4HalfELi256ELb1ELi8EEEvPviiifPKvS7_S7_PKlii
                                        ; -- End function
	.section	.AMDGPU.csdata,"",@progbits
; Kernel info:
; codeLenInByte = 2348
; NumSgprs: 28
; NumVgprs: 52
; NumAgprs: 0
; TotalNumVgprs: 52
; ScratchSize: 0
; MemoryBound: 0
; FloatMode: 240
; IeeeMode: 1
; LDSByteSize: 0 bytes/workgroup (compile time only)
; SGPRBlocks: 3
; VGPRBlocks: 6
; NumSGPRsForWavesPerEU: 28
; NumVGPRsForWavesPerEU: 52
; AccumOffset: 52
; Occupancy: 8
; WaveLimiterHint : 0
; COMPUTE_PGM_RSRC2:SCRATCH_EN: 0
; COMPUTE_PGM_RSRC2:USER_SGPR: 6
; COMPUTE_PGM_RSRC2:TRAP_HANDLER: 0
; COMPUTE_PGM_RSRC2:TGID_X_EN: 1
; COMPUTE_PGM_RSRC2:TGID_Y_EN: 0
; COMPUTE_PGM_RSRC2:TGID_Z_EN: 0
; COMPUTE_PGM_RSRC2:TIDIG_COMP_CNT: 0
; COMPUTE_PGM_RSRC3_GFX90A:ACCUM_OFFSET: 12
; COMPUTE_PGM_RSRC3_GFX90A:TG_SPLIT: 0
	.section	.text._ZN12tensorrt_llm7kernels32fusedQKNormRopeKernelNTokenHeadsIN3c108BFloat16ENS2_4HalfELi256ELb0ELi8EEEvPviiifPKvS7_S7_PKlii,"axG",@progbits,_ZN12tensorrt_llm7kernels32fusedQKNormRopeKernelNTokenHeadsIN3c108BFloat16ENS2_4HalfELi256ELb0ELi8EEEvPviiifPKvS7_S7_PKlii,comdat
	.protected	_ZN12tensorrt_llm7kernels32fusedQKNormRopeKernelNTokenHeadsIN3c108BFloat16ENS2_4HalfELi256ELb0ELi8EEEvPviiifPKvS7_S7_PKlii ; -- Begin function _ZN12tensorrt_llm7kernels32fusedQKNormRopeKernelNTokenHeadsIN3c108BFloat16ENS2_4HalfELi256ELb0ELi8EEEvPviiifPKvS7_S7_PKlii
	.globl	_ZN12tensorrt_llm7kernels32fusedQKNormRopeKernelNTokenHeadsIN3c108BFloat16ENS2_4HalfELi256ELb0ELi8EEEvPviiifPKvS7_S7_PKlii
	.p2align	8
	.type	_ZN12tensorrt_llm7kernels32fusedQKNormRopeKernelNTokenHeadsIN3c108BFloat16ENS2_4HalfELi256ELb0ELi8EEEvPviiifPKvS7_S7_PKlii,@function
_ZN12tensorrt_llm7kernels32fusedQKNormRopeKernelNTokenHeadsIN3c108BFloat16ENS2_4HalfELi256ELb0ELi8EEEvPviiifPKvS7_S7_PKlii: ; @_ZN12tensorrt_llm7kernels32fusedQKNormRopeKernelNTokenHeadsIN3c108BFloat16ENS2_4HalfELi256ELb0ELi8EEEvPviiifPKvS7_S7_PKlii
; %bb.0:
	s_load_dwordx4 s[12:15], s[4:5], 0x8
	s_load_dwordx2 s[2:3], s[4:5], 0x38
	s_load_dword s1, s[4:5], 0x4c
	v_lshrrev_b32_e32 v1, 5, v0
	s_waitcnt lgkmcnt(0)
	s_add_i32 s0, s13, s12
	s_add_i32 s7, s0, 7
	s_ashr_i32 s8, s7, 31
	s_lshr_b32 s8, s8, 29
	s_add_i32 s7, s7, s8
	s_ashr_i32 s20, s7, 3
	s_abs_i32 s7, s20
	v_cvt_f32_u32_e32 v2, s7
	s_bfe_u32 s1, s1, 0xb0005
	s_mul_i32 s6, s6, s1
	v_add_u32_e32 v3, s6, v1
	v_rcp_iflag_f32_e32 v2, v2
	s_sub_i32 s6, 0, s7
	v_sub_u32_e32 v4, 0, v3
	v_max_i32_e32 v4, v3, v4
	v_mul_f32_e32 v2, 0x4f7ffffe, v2
	v_cvt_u32_f32_e32 v2, v2
	v_xor_b32_e32 v5, s20, v3
	v_ashrrev_i32_e32 v5, 31, v5
	v_mul_lo_u32 v6, s6, v2
	v_mul_hi_u32 v6, v2, v6
	v_add_u32_e32 v2, v2, v6
	v_mul_hi_u32 v2, v4, v2
	v_mul_lo_u32 v6, v2, s7
	v_sub_u32_e32 v4, v4, v6
	v_add_u32_e32 v6, 1, v2
	v_cmp_le_u32_e32 vcc, s7, v4
	v_cndmask_b32_e32 v2, v2, v6, vcc
	v_subrev_u32_e32 v6, s7, v4
	v_cndmask_b32_e32 v4, v4, v6, vcc
	v_add_u32_e32 v6, 1, v2
	v_cmp_le_u32_e32 vcc, s7, v4
	v_cndmask_b32_e32 v2, v2, v6, vcc
	v_xor_b32_e32 v2, v2, v5
	v_sub_u32_e32 v2, v2, v5
	v_cmp_gt_i32_e32 vcc, s2, v2
	s_and_saveexec_b64 s[6:7], vcc
	s_cbranch_execz .LBB119_44
; %bb.1:
	v_mul_lo_u32 v4, v2, s20
	v_sub_u32_e32 v4, v3, v4
	s_load_dwordx2 s[16:17], s[4:5], 0x0
	v_lshlrev_b32_e32 v18, 3, v4
	v_add_u32_e32 v4, 8, v18
	v_sub_u32_e32 v5, s0, v18
	v_cmp_lt_i32_e32 vcc, s0, v4
	v_and_b32_e32 v6, 31, v0
	v_cndmask_b32_e32 v19, 8, v5, vcc
	s_lshl_b32 s2, s3, 1
	s_mul_i32 s21, s2, s1
	v_lshlrev_b32_e32 v7, 12, v1
	v_cmp_lt_i32_e64 s[0:1], 0, v19
	v_lshlrev_b32_e32 v17, 4, v6
	v_lshlrev_b32_e32 v16, 11, v3
	s_and_saveexec_b64 s[6:7], s[0:1]
	s_cbranch_execz .LBB119_4
; %bb.2:
	s_add_i32 s8, s21, 0
	v_add3_u32 v3, s8, v7, v17
	s_add_i32 s8, s14, s13
	s_add_i32 s8, s8, s12
	s_lshl_b32 s9, s20, 3
	s_sub_i32 s8, s8, s9
	v_mul_lo_u32 v4, s8, v2
	v_lshl_add_u32 v4, v4, 8, v16
	s_mov_b32 s10, 0
	v_lshl_or_b32 v4, v6, 3, v4
	s_mov_b64 s[8:9], 0
	s_waitcnt lgkmcnt(0)
	v_mov_b32_e32 v8, s17
.LBB119_3:                              ; =>This Inner Loop Header: Depth=1
	v_ashrrev_i32_e32 v5, 31, v4
	v_lshlrev_b64 v[10:11], 1, v[4:5]
	v_add_co_u32_e32 v10, vcc, s16, v10
	v_addc_co_u32_e32 v11, vcc, v8, v11, vcc
	global_load_dwordx4 v[10:13], v[10:11], off
	s_add_i32 s10, s10, 1
	v_cmp_ge_i32_e32 vcc, s10, v19
	v_add_u32_e32 v4, 0x100, v4
	s_or_b64 s[8:9], vcc, s[8:9]
	s_waitcnt vmcnt(0)
	ds_write_b128 v3, v[10:13]
	v_add_u32_e32 v3, 0x200, v3
	s_andn2_b64 exec, exec, s[8:9]
	s_cbranch_execnz .LBB119_3
.LBB119_4:
	s_or_b64 exec, exec, s[6:7]
	s_add_i32 s2, s2, 15
	s_load_dwordx8 s[4:11], s[4:5], 0x18
	s_ashr_i32 s18, s2, 31
	s_lshr_b32 s18, s18, 28
	s_add_i32 s2, s2, s18
	s_ashr_i32 s2, s2, 4
	v_cmp_gt_i32_e32 vcc, s2, v6
	v_mul_lo_u32 v4, v1, s3
	s_and_saveexec_b64 s[18:19], vcc
	s_cbranch_execz .LBB119_7
; %bb.5:
	v_ashrrev_i32_e32 v3, 31, v2
	v_lshlrev_b64 v[8:9], 3, v[2:3]
	s_waitcnt lgkmcnt(0)
	v_mov_b32_e32 v1, s11
	v_add_co_u32_e32 v8, vcc, s10, v8
	v_addc_co_u32_e32 v9, vcc, v1, v9, vcc
	global_load_dwordx2 v[8:9], v[8:9], off
	s_ashr_i32 s22, s3, 31
	v_lshlrev_b32_e32 v1, 1, v4
	v_and_b32_e32 v0, 31, v0
	v_add3_u32 v3, v1, v17, 0
	v_lshlrev_b32_e32 v10, 4, v0
	v_mov_b32_e32 v5, s9
	s_mov_b64 s[10:11], 0
	s_waitcnt vmcnt(0)
	v_mul_lo_u32 v9, v9, s3
	v_mul_lo_u32 v11, v8, s22
	v_mad_u64_u32 v[0:1], s[22:23], v8, s3, 0
	v_add3_u32 v1, v1, v11, v9
	v_lshlrev_b64 v[0:1], 1, v[0:1]
	v_add_co_u32_e32 v0, vcc, v0, v10
	v_addc_co_u32_e32 v1, vcc, 0, v1, vcc
	v_add_co_u32_e32 v0, vcc, s8, v0
	v_addc_co_u32_e32 v1, vcc, v5, v1, vcc
	v_mov_b32_e32 v5, v6
.LBB119_6:                              ; =>This Inner Loop Header: Depth=1
	global_load_dwordx4 v[8:11], v[0:1], off
	v_add_co_u32_e32 v0, vcc, 0x200, v0
	v_add_u32_e32 v5, 32, v5
	v_addc_co_u32_e32 v1, vcc, 0, v1, vcc
	v_cmp_le_i32_e32 vcc, s2, v5
	s_or_b64 s[10:11], vcc, s[10:11]
	s_waitcnt vmcnt(0)
	ds_write_b128 v3, v[8:11]
	v_add_u32_e32 v3, 0x200, v3
	s_andn2_b64 exec, exec, s[10:11]
	s_cbranch_execnz .LBB119_6
.LBB119_7:
	s_or_b64 exec, exec, s[18:19]
	s_and_b64 exec, exec, s[0:1]
	s_cbranch_execz .LBB119_44
; %bb.8:
	s_waitcnt lgkmcnt(0)
	global_load_dwordx4 v[8:11], v17, s[4:5]
	global_load_dwordx4 v[12:15], v17, s[6:7]
	v_mbcnt_lo_u32_b32 v1, -1, 0
	s_abs_i32 s4, s3
	v_mbcnt_hi_u32_b32 v1, -1, v1
	v_cvt_f32_u32_e32 v22, s4
	v_and_b32_e32 v20, 0x60, v1
	v_xor_b32_e32 v21, 16, v1
	v_add_u32_e32 v20, 32, v20
	v_xor_b32_e32 v23, 8, v1
	v_cmp_lt_i32_e32 vcc, v21, v20
	v_xor_b32_e32 v24, 4, v1
	v_cndmask_b32_e32 v21, v1, v21, vcc
	v_cmp_lt_i32_e32 vcc, v23, v20
	v_rcp_iflag_f32_e32 v29, v22
	v_xor_b32_e32 v25, 2, v1
	v_cndmask_b32_e32 v23, v1, v23, vcc
	v_cmp_lt_i32_e32 vcc, v24, v20
	s_ashr_i32 s1, s3, 31
	v_xor_b32_e32 v26, 1, v1
	v_cndmask_b32_e32 v24, v1, v24, vcc
	v_cmp_lt_i32_e32 vcc, v25, v20
	s_lshr_b32 s2, s1, 29
	s_lshr_b32 s1, s1, 28
	v_cndmask_b32_e32 v25, v1, v25, vcc
	v_cmp_lt_i32_e32 vcc, v26, v20
	s_lshr_b32 s0, s3, 31
	s_add_i32 s1, s3, s1
	v_cndmask_b32_e32 v26, v1, v26, vcc
	v_lshlrev_b32_e32 v20, 2, v21
	v_lshlrev_b32_e32 v21, 2, v23
	;; [unrolled: 1-line block ×3, first 2 shown]
	v_mul_f32_e32 v25, 0x4f7ffffe, v29
	s_add_i32 s0, s3, s0
	v_and_b32_e32 v27, 64, v1
	s_ashr_i32 s1, s1, 4
	v_lshlrev_b32_e32 v22, 2, v24
	v_lshlrev_b32_e32 v24, 2, v26
	v_cvt_u32_f32_e32 v26, v25
	v_lshl_add_u32 v0, v4, 1, 0
	s_and_b32 s0, s0, -2
	s_add_i32 s2, s3, s2
	v_add_u32_e32 v27, 64, v27
	v_xor_b32_e32 v28, s1, v1
	v_add_u32_e32 v49, s0, v0
	s_ashr_i32 s0, s2, 3
	v_cmp_lt_i32_e64 s[2:3], v28, v27
	s_sub_i32 s5, 0, s4
	v_cndmask_b32_e64 v1, v1, v28, s[2:3]
	v_lshlrev_b32_e32 v25, 2, v1
	v_mul_lo_u32 v1, s5, v26
	v_mul_hi_u32 v1, v26, v1
	v_add_u32_e32 v1, v26, v1
	v_mul_hi_u32 v26, v17, v1
	v_mul_lo_u32 v26, v26, s4
	v_or_b32_e32 v3, 2, v17
	v_sub_u32_e32 v26, v17, v26
	v_subrev_u32_e32 v27, s4, v26
	v_cmp_le_u32_e64 s[2:3], s4, v26
	v_mul_hi_u32 v36, v3, v1
	v_cndmask_b32_e64 v26, v26, v27, s[2:3]
	v_mul_lo_u32 v36, v36, s4
	v_subrev_u32_e32 v27, s4, v26
	v_cmp_le_u32_e64 s[2:3], s4, v26
	v_sub_u32_e32 v3, v3, v36
	v_cndmask_b32_e64 v26, v26, v27, s[2:3]
	v_subrev_u32_e32 v36, s4, v3
	v_cmp_le_u32_e64 s[2:3], s4, v3
	v_cndmask_b32_e64 v3, v3, v36, s[2:3]
	v_subrev_u32_e32 v36, s4, v3
	v_cmp_le_u32_e64 s[2:3], s4, v3
	v_cndmask_b32_e64 v3, v3, v36, s[2:3]
	v_or_b32_e32 v4, 4, v17
	v_and_b32_e32 v3, -2, v3
	v_add_u32_e32 v36, v0, v3
	v_add_u32_e32 v37, v49, v3
	v_mul_hi_u32 v3, v4, v1
	v_mul_lo_u32 v3, v3, s4
	v_sub_u32_e32 v3, v4, v3
	v_subrev_u32_e32 v4, s4, v3
	v_cmp_le_u32_e64 s[2:3], s4, v3
	v_cndmask_b32_e64 v3, v3, v4, s[2:3]
	v_subrev_u32_e32 v4, s4, v3
	v_cmp_le_u32_e64 s[2:3], s4, v3
	v_cndmask_b32_e64 v3, v3, v4, s[2:3]
	v_or_b32_e32 v5, 6, v17
	v_and_b32_e32 v3, -2, v3
	v_add_u32_e32 v38, v0, v3
	v_add_u32_e32 v39, v49, v3
	v_mul_hi_u32 v3, v5, v1
	v_mul_lo_u32 v3, v3, s4
	v_sub_u32_e32 v3, v5, v3
	;; [unrolled: 13-line block ×5, first 2 shown]
	v_subrev_u32_e32 v4, s4, v3
	v_cmp_le_u32_e64 s[2:3], s4, v3
	v_or_b32_e32 v48, 14, v17
	v_cndmask_b32_e64 v3, v3, v4, s[2:3]
	v_subrev_u32_e32 v4, s4, v3
	v_cmp_le_u32_e64 s[2:3], s4, v3
	v_mul_hi_u32 v1, v48, v1
	v_cndmask_b32_e64 v3, v3, v4, s[2:3]
	v_mul_lo_u32 v1, v1, s4
	v_and_b32_e32 v3, -2, v3
	v_sub_u32_e32 v1, v48, v1
	v_add_u32_e32 v46, v0, v3
	v_add_u32_e32 v47, v49, v3
	v_subrev_u32_e32 v3, s4, v1
	v_cmp_le_u32_e64 s[2:3], s4, v1
	v_cndmask_b32_e64 v1, v1, v3, s[2:3]
	v_subrev_u32_e32 v3, s4, v1
	v_cmp_le_u32_e64 s[2:3], s4, v1
	v_cndmask_b32_e64 v1, v1, v3, s[2:3]
	s_add_i32 s2, s14, s13
	s_add_i32 s2, s2, s12
	s_lshl_b32 s3, s20, 3
	v_and_b32_e32 v35, -2, v26
	v_and_b32_e32 v1, -2, v1
	s_sub_i32 s2, s2, s3
	v_add_u32_e32 v34, v0, v35
	v_add_u32_e32 v48, v0, v1
	v_mul_lo_u32 v0, s2, v2
	v_lshl_add_u32 v0, v0, 8, v16
	v_lshl_or_b32 v16, v6, 3, v0
	v_add_u32_e32 v0, s21, v7
	s_mov_b32 s8, 0
	v_cmp_gt_i32_e32 vcc, s0, v6
	v_cmp_gt_i32_e64 s[0:1], s1, v6
	s_waitcnt vmcnt(1)
	v_lshrrev_b32_e32 v26, 16, v8
	v_lshrrev_b32_e32 v27, 16, v9
	;; [unrolled: 1-line block ×4, first 2 shown]
	s_waitcnt vmcnt(0)
	v_lshrrev_b32_e32 v30, 16, v12
	v_lshrrev_b32_e32 v31, 16, v13
	v_lshrrev_b32_e32 v32, 16, v14
	v_lshrrev_b32_e32 v33, 16, v15
	v_add_u32_e32 v35, v49, v35
	v_add_u32_e32 v49, v49, v1
	v_add3_u32 v50, v0, v17, 0
	s_mov_b64 s[6:7], 0
	s_mov_b32 s9, 0x800000
	s_mov_b32 s10, 0x7f800000
	s_movk_i32 s11, 0x7fff
	s_mov_b32 s13, 0x7060302
	v_mov_b32_e32 v51, 0
	s_branch .LBB119_10
.LBB119_9:                              ;   in Loop: Header=BB119_10 Depth=1
	s_or_b64 exec, exec, s[4:5]
	v_ashrrev_i32_e32 v17, 31, v16
	v_lshlrev_b64 v[0:1], 1, v[16:17]
	v_mov_b32_e32 v2, s17
	v_add_co_u32_e64 v4, s[2:3], s16, v0
	v_addc_co_u32_e64 v5, s[2:3], v2, v1, s[2:3]
	s_add_i32 s8, s8, 1
	v_cmp_ge_i32_e64 s[2:3], s8, v19
	v_perm_b32 v3, v59, v58, s13
	v_perm_b32 v2, v57, v56, s13
	;; [unrolled: 1-line block ×4, first 2 shown]
	v_add_u32_e32 v16, 0x100, v16
	s_or_b64 s[6:7], s[2:3], s[6:7]
	v_add_u32_e32 v50, 0x200, v50
	global_store_dwordx4 v[4:5], v[0:3], off
	s_andn2_b64 exec, exec, s[6:7]
	s_cbranch_execz .LBB119_44
.LBB119_10:                             ; =>This Inner Loop Header: Depth=1
	ds_read_b128 v[0:3], v50
	v_mov_b32_e32 v54, s15
	s_waitcnt lgkmcnt(0)
	v_and_b32_e32 v52, 0xffff0000, v0
	v_lshlrev_b32_e32 v17, 16, v0
	v_and_b32_e32 v5, 0xffff0000, v1
	v_lshlrev_b32_e32 v4, 16, v1
	v_mul_f32_e32 v6, v52, v52
	v_pk_mul_f32 v[0:1], v[4:5], v[4:5]
	v_fmac_f32_e32 v6, v17, v17
	v_add_f32_e32 v0, v6, v0
	v_add_f32_e32 v53, v0, v1
	v_and_b32_e32 v1, 0xffff0000, v2
	v_lshlrev_b32_e32 v0, 16, v2
	v_pk_mul_f32 v[6:7], v[0:1], v[0:1]
	v_add_f32_e32 v2, v53, v6
	v_add_f32_e32 v53, v2, v7
	v_and_b32_e32 v7, 0xffff0000, v3
	v_lshlrev_b32_e32 v6, 16, v3
	v_pk_mul_f32 v[2:3], v[6:7], v[6:7]
	v_add_f32_e32 v2, v53, v2
	v_add_f32_e32 v2, v2, v3
	ds_bpermute_b32 v3, v20, v2
	v_add_u32_e32 v53, s8, v18
	v_cmp_gt_i32_e64 s[2:3], s12, v53
	v_cndmask_b32_e64 v56, v13, v9, s[2:3]
	v_cndmask_b32_e64 v55, v30, v26, s[2:3]
	s_waitcnt lgkmcnt(0)
	v_add_f32_e32 v2, v2, v3
	ds_bpermute_b32 v3, v21, v2
	v_cndmask_b32_e64 v57, v31, v27, s[2:3]
	v_cndmask_b32_e64 v58, v14, v10, s[2:3]
	;; [unrolled: 1-line block ×3, first 2 shown]
	v_lshlrev_b32_e32 v53, 16, v53
	s_waitcnt lgkmcnt(0)
	v_add_f32_e32 v2, v2, v3
	ds_bpermute_b32 v3, v22, v2
	s_waitcnt lgkmcnt(0)
	v_add_f32_e32 v2, v2, v3
	ds_bpermute_b32 v3, v23, v2
	;; [unrolled: 3-line block ×3, first 2 shown]
	s_waitcnt lgkmcnt(0)
	v_add_f32_e32 v2, v2, v3
	v_fmac_f32_e32 v54, 0x3b800000, v2
	v_mul_f32_e32 v2, 0x4b800000, v54
	v_cmp_gt_f32_e64 s[4:5], s9, v54
	v_cndmask_b32_e64 v2, v54, v2, s[4:5]
	v_rsq_f32_e32 v2, v2
	v_lshlrev_b32_e32 v54, 16, v56
	v_lshlrev_b32_e32 v3, 16, v55
	;; [unrolled: 1-line block ×3, first 2 shown]
	v_mul_f32_e32 v56, 0x45800000, v2
	v_cndmask_b32_e64 v56, v2, v56, s[4:5]
	v_mul_f32_e32 v57, v56, v3
	v_mul_f32_e32 v2, v56, v54
	v_mul_f32_e32 v3, v56, v55
	v_mul_f32_e32 v2, v2, v4
	v_mul_f32_e32 v3, v3, v5
	v_lshlrev_b32_e32 v4, 16, v58
	v_cndmask_b32_e64 v5, v15, v11, s[2:3]
	v_mul_f32_e32 v4, v56, v4
	v_lshlrev_b32_e32 v5, 16, v5
	v_mul_f32_e32 v4, v4, v0
	v_cndmask_b32_e64 v0, v32, v28, s[2:3]
	v_mul_f32_e32 v54, v56, v5
	v_cndmask_b32_e64 v5, v33, v29, s[2:3]
	v_lshlrev_b32_e32 v0, 16, v0
	v_lshlrev_b32_e32 v5, 16, v5
	v_mul_f32_e32 v53, v56, v53
	v_mul_f32_e32 v0, v56, v0
	;; [unrolled: 1-line block ×8, first 2 shown]
	s_and_saveexec_b64 s[2:3], vcc
	s_cbranch_execz .LBB119_12
; %bb.11:                               ;   in Loop: Header=BB119_10 Depth=1
	ds_bpermute_b32 v58, v25, v0
	; wave barrier
	ds_read_u16 v17, v35
	ds_read_u16 v52, v36
	;; [unrolled: 1-line block ×7, first 2 shown]
	s_waitcnt lgkmcnt(6)
	v_cvt_f32_f16_e32 v17, v17
	v_cndmask_b32_e64 v58, v58, -v58, s[0:1]
	v_mul_f32_e32 v17, v58, v17
	ds_read_u16 v58, v34
	s_waitcnt lgkmcnt(0)
	v_fma_mix_f32 v0, v0, v58, v17 op_sel_hi:[0,1,0]
	v_cvt_f32_f16_e32 v17, v53
	ds_bpermute_b32 v53, v25, v1
	ds_bpermute_b32 v58, v25, v4
	s_waitcnt lgkmcnt(1)
	v_cndmask_b32_e64 v53, v53, -v53, s[0:1]
	v_mul_f32_e32 v17, v53, v17
	v_fma_mix_f32 v1, v1, v52, v17 op_sel_hi:[0,1,0]
	ds_bpermute_b32 v52, v25, v2
	v_cvt_f32_f16_e32 v17, v55
	s_waitcnt lgkmcnt(1)
	v_cndmask_b32_e64 v58, v58, -v58, s[0:1]
	s_waitcnt lgkmcnt(0)
	v_cndmask_b32_e64 v52, v52, -v52, s[0:1]
	v_mul_f32_e32 v17, v52, v17
	ds_bpermute_b32 v52, v25, v3
	v_fma_mix_f32 v2, v2, v54, v17 op_sel_hi:[0,1,0]
	v_cvt_f32_f16_e32 v17, v57
	s_waitcnt lgkmcnt(0)
	v_cndmask_b32_e64 v52, v52, -v52, s[0:1]
	v_mul_f32_e32 v17, v52, v17
	v_fma_mix_f32 v3, v3, v56, v17 op_sel_hi:[0,1,0]
	ds_read_u16 v17, v43
	ds_read_u16 v52, v44
	ds_read_u16 v53, v45
	ds_read_u16 v54, v46
	ds_read_u16 v55, v47
	ds_read_u16 v56, v48
	ds_read_u16 v57, v49
	s_waitcnt lgkmcnt(6)
	v_cvt_f32_f16_e32 v17, v17
	v_mul_f32_e32 v17, v58, v17
	ds_read_u16 v58, v42
	; wave barrier
	s_waitcnt lgkmcnt(0)
	v_fma_mix_f32 v4, v4, v58, v17 op_sel_hi:[0,1,0]
	v_cvt_f32_f16_e32 v17, v53
	ds_bpermute_b32 v53, v25, v5
	s_waitcnt lgkmcnt(0)
	v_cndmask_b32_e64 v53, v53, -v53, s[0:1]
	v_mul_f32_e32 v17, v53, v17
	v_fma_mix_f32 v5, v5, v52, v17 op_sel_hi:[0,1,0]
	ds_bpermute_b32 v52, v25, v6
	v_cvt_f32_f16_e32 v17, v55
	s_waitcnt lgkmcnt(0)
	v_cndmask_b32_e64 v52, v52, -v52, s[0:1]
	v_mul_f32_e32 v17, v52, v17
	ds_bpermute_b32 v52, v25, v7
	v_fma_mix_f32 v6, v6, v54, v17 op_sel_hi:[0,1,0]
	v_cvt_f32_f16_e32 v17, v57
	s_waitcnt lgkmcnt(0)
	v_cndmask_b32_e64 v52, v52, -v52, s[0:1]
	v_mul_f32_e32 v17, v52, v17
	v_fma_mix_f32 v7, v7, v56, v17 op_sel_hi:[0,1,0]
.LBB119_12:                             ;   in Loop: Header=BB119_10 Depth=1
	s_or_b64 exec, exec, s[2:3]
	v_and_b32_e32 v17, 0x7f800000, v0
	v_cmp_ne_u32_e64 s[2:3], s10, v17
                                        ; implicit-def: $vgpr52
	s_and_saveexec_b64 s[4:5], s[2:3]
	s_xor_b64 s[2:3], exec, s[4:5]
; %bb.13:                               ;   in Loop: Header=BB119_10 Depth=1
	v_bfe_u32 v17, v0, 16, 1
	v_add3_u32 v52, v0, v17, s11
; %bb.14:                               ;   in Loop: Header=BB119_10 Depth=1
	s_andn2_saveexec_b64 s[4:5], s[2:3]
; %bb.15:                               ;   in Loop: Header=BB119_10 Depth=1
	v_or_b32_e32 v17, 0x10000, v0
	v_cmp_eq_u32_sdwa s[2:3], v0, v51 src0_sel:WORD_0 src1_sel:DWORD
	v_cndmask_b32_e64 v52, v17, v0, s[2:3]
; %bb.16:                               ;   in Loop: Header=BB119_10 Depth=1
	s_or_b64 exec, exec, s[4:5]
	v_and_b32_e32 v0, 0x7f800000, v1
	v_cmp_ne_u32_e64 s[2:3], s10, v0
                                        ; implicit-def: $vgpr53
	s_and_saveexec_b64 s[4:5], s[2:3]
	s_xor_b64 s[2:3], exec, s[4:5]
; %bb.17:                               ;   in Loop: Header=BB119_10 Depth=1
	v_bfe_u32 v0, v1, 16, 1
	v_add3_u32 v53, v1, v0, s11
; %bb.18:                               ;   in Loop: Header=BB119_10 Depth=1
	s_andn2_saveexec_b64 s[4:5], s[2:3]
; %bb.19:                               ;   in Loop: Header=BB119_10 Depth=1
	v_or_b32_e32 v0, 0x10000, v1
	v_cmp_eq_u32_sdwa s[2:3], v1, v51 src0_sel:WORD_0 src1_sel:DWORD
	v_cndmask_b32_e64 v53, v0, v1, s[2:3]
; %bb.20:                               ;   in Loop: Header=BB119_10 Depth=1
	s_or_b64 exec, exec, s[4:5]
	v_and_b32_e32 v0, 0x7f800000, v2
	v_cmp_ne_u32_e64 s[2:3], s10, v0
                                        ; implicit-def: $vgpr54
	s_and_saveexec_b64 s[4:5], s[2:3]
	s_xor_b64 s[2:3], exec, s[4:5]
; %bb.21:                               ;   in Loop: Header=BB119_10 Depth=1
	v_bfe_u32 v0, v2, 16, 1
	v_add3_u32 v54, v2, v0, s11
; %bb.22:                               ;   in Loop: Header=BB119_10 Depth=1
	s_andn2_saveexec_b64 s[4:5], s[2:3]
; %bb.23:                               ;   in Loop: Header=BB119_10 Depth=1
	v_or_b32_e32 v0, 0x10000, v2
	v_cmp_eq_u32_sdwa s[2:3], v2, v51 src0_sel:WORD_0 src1_sel:DWORD
	v_cndmask_b32_e64 v54, v0, v2, s[2:3]
; %bb.24:                               ;   in Loop: Header=BB119_10 Depth=1
	s_or_b64 exec, exec, s[4:5]
	v_and_b32_e32 v0, 0x7f800000, v3
	v_cmp_ne_u32_e64 s[2:3], s10, v0
                                        ; implicit-def: $vgpr55
	s_and_saveexec_b64 s[4:5], s[2:3]
	s_xor_b64 s[2:3], exec, s[4:5]
; %bb.25:                               ;   in Loop: Header=BB119_10 Depth=1
	v_bfe_u32 v0, v3, 16, 1
	v_add3_u32 v55, v3, v0, s11
; %bb.26:                               ;   in Loop: Header=BB119_10 Depth=1
	s_andn2_saveexec_b64 s[4:5], s[2:3]
; %bb.27:                               ;   in Loop: Header=BB119_10 Depth=1
	v_or_b32_e32 v0, 0x10000, v3
	v_cmp_eq_u32_sdwa s[2:3], v3, v51 src0_sel:WORD_0 src1_sel:DWORD
	v_cndmask_b32_e64 v55, v0, v3, s[2:3]
; %bb.28:                               ;   in Loop: Header=BB119_10 Depth=1
	s_or_b64 exec, exec, s[4:5]
	v_and_b32_e32 v0, 0x7f800000, v4
	v_cmp_ne_u32_e64 s[2:3], s10, v0
                                        ; implicit-def: $vgpr56
	s_and_saveexec_b64 s[4:5], s[2:3]
	s_xor_b64 s[2:3], exec, s[4:5]
; %bb.29:                               ;   in Loop: Header=BB119_10 Depth=1
	v_bfe_u32 v0, v4, 16, 1
	v_add3_u32 v56, v4, v0, s11
; %bb.30:                               ;   in Loop: Header=BB119_10 Depth=1
	s_andn2_saveexec_b64 s[4:5], s[2:3]
; %bb.31:                               ;   in Loop: Header=BB119_10 Depth=1
	v_or_b32_e32 v0, 0x10000, v4
	v_cmp_eq_u32_sdwa s[2:3], v4, v51 src0_sel:WORD_0 src1_sel:DWORD
	v_cndmask_b32_e64 v56, v0, v4, s[2:3]
; %bb.32:                               ;   in Loop: Header=BB119_10 Depth=1
	s_or_b64 exec, exec, s[4:5]
	v_and_b32_e32 v0, 0x7f800000, v5
	v_cmp_ne_u32_e64 s[2:3], s10, v0
                                        ; implicit-def: $vgpr57
	s_and_saveexec_b64 s[4:5], s[2:3]
	s_xor_b64 s[2:3], exec, s[4:5]
; %bb.33:                               ;   in Loop: Header=BB119_10 Depth=1
	v_bfe_u32 v0, v5, 16, 1
	v_add3_u32 v57, v5, v0, s11
; %bb.34:                               ;   in Loop: Header=BB119_10 Depth=1
	s_andn2_saveexec_b64 s[4:5], s[2:3]
; %bb.35:                               ;   in Loop: Header=BB119_10 Depth=1
	v_or_b32_e32 v0, 0x10000, v5
	v_cmp_eq_u32_sdwa s[2:3], v5, v51 src0_sel:WORD_0 src1_sel:DWORD
	v_cndmask_b32_e64 v57, v0, v5, s[2:3]
; %bb.36:                               ;   in Loop: Header=BB119_10 Depth=1
	s_or_b64 exec, exec, s[4:5]
	v_and_b32_e32 v0, 0x7f800000, v6
	v_cmp_ne_u32_e64 s[2:3], s10, v0
                                        ; implicit-def: $vgpr58
	s_and_saveexec_b64 s[4:5], s[2:3]
	s_xor_b64 s[2:3], exec, s[4:5]
; %bb.37:                               ;   in Loop: Header=BB119_10 Depth=1
	v_bfe_u32 v0, v6, 16, 1
	v_add3_u32 v58, v6, v0, s11
; %bb.38:                               ;   in Loop: Header=BB119_10 Depth=1
	s_andn2_saveexec_b64 s[4:5], s[2:3]
; %bb.39:                               ;   in Loop: Header=BB119_10 Depth=1
	v_or_b32_e32 v0, 0x10000, v6
	v_cmp_eq_u32_sdwa s[2:3], v6, v51 src0_sel:WORD_0 src1_sel:DWORD
	v_cndmask_b32_e64 v58, v0, v6, s[2:3]
; %bb.40:                               ;   in Loop: Header=BB119_10 Depth=1
	s_or_b64 exec, exec, s[4:5]
	v_and_b32_e32 v0, 0x7f800000, v7
	v_cmp_ne_u32_e64 s[2:3], s10, v0
                                        ; implicit-def: $vgpr59
	s_and_saveexec_b64 s[4:5], s[2:3]
	s_xor_b64 s[2:3], exec, s[4:5]
; %bb.41:                               ;   in Loop: Header=BB119_10 Depth=1
	v_bfe_u32 v0, v7, 16, 1
	v_add3_u32 v59, v7, v0, s11
                                        ; implicit-def: $vgpr0_vgpr1_vgpr2_vgpr3_vgpr4_vgpr5_vgpr6_vgpr7
; %bb.42:                               ;   in Loop: Header=BB119_10 Depth=1
	s_andn2_saveexec_b64 s[4:5], s[2:3]
	s_cbranch_execz .LBB119_9
; %bb.43:                               ;   in Loop: Header=BB119_10 Depth=1
	v_or_b32_e32 v0, 0x10000, v7
	v_cmp_eq_u32_sdwa s[2:3], v7, v51 src0_sel:WORD_0 src1_sel:DWORD
	v_cndmask_b32_e64 v59, v0, v7, s[2:3]
	s_branch .LBB119_9
.LBB119_44:
	s_endpgm
	.section	.rodata,"a",@progbits
	.p2align	6, 0x0
	.amdhsa_kernel _ZN12tensorrt_llm7kernels32fusedQKNormRopeKernelNTokenHeadsIN3c108BFloat16ENS2_4HalfELi256ELb0ELi8EEEvPviiifPKvS7_S7_PKlii
		.amdhsa_group_segment_fixed_size 0
		.amdhsa_private_segment_fixed_size 0
		.amdhsa_kernarg_size 320
		.amdhsa_user_sgpr_count 6
		.amdhsa_user_sgpr_private_segment_buffer 1
		.amdhsa_user_sgpr_dispatch_ptr 0
		.amdhsa_user_sgpr_queue_ptr 0
		.amdhsa_user_sgpr_kernarg_segment_ptr 1
		.amdhsa_user_sgpr_dispatch_id 0
		.amdhsa_user_sgpr_flat_scratch_init 0
		.amdhsa_user_sgpr_kernarg_preload_length 0
		.amdhsa_user_sgpr_kernarg_preload_offset 0
		.amdhsa_user_sgpr_private_segment_size 0
		.amdhsa_uses_dynamic_stack 0
		.amdhsa_system_sgpr_private_segment_wavefront_offset 0
		.amdhsa_system_sgpr_workgroup_id_x 1
		.amdhsa_system_sgpr_workgroup_id_y 0
		.amdhsa_system_sgpr_workgroup_id_z 0
		.amdhsa_system_sgpr_workgroup_info 0
		.amdhsa_system_vgpr_workitem_id 0
		.amdhsa_next_free_vgpr 60
		.amdhsa_next_free_sgpr 24
		.amdhsa_accum_offset 60
		.amdhsa_reserve_vcc 1
		.amdhsa_reserve_flat_scratch 0
		.amdhsa_float_round_mode_32 0
		.amdhsa_float_round_mode_16_64 0
		.amdhsa_float_denorm_mode_32 3
		.amdhsa_float_denorm_mode_16_64 3
		.amdhsa_dx10_clamp 1
		.amdhsa_ieee_mode 1
		.amdhsa_fp16_overflow 0
		.amdhsa_tg_split 0
		.amdhsa_exception_fp_ieee_invalid_op 0
		.amdhsa_exception_fp_denorm_src 0
		.amdhsa_exception_fp_ieee_div_zero 0
		.amdhsa_exception_fp_ieee_overflow 0
		.amdhsa_exception_fp_ieee_underflow 0
		.amdhsa_exception_fp_ieee_inexact 0
		.amdhsa_exception_int_div_zero 0
	.end_amdhsa_kernel
	.section	.text._ZN12tensorrt_llm7kernels32fusedQKNormRopeKernelNTokenHeadsIN3c108BFloat16ENS2_4HalfELi256ELb0ELi8EEEvPviiifPKvS7_S7_PKlii,"axG",@progbits,_ZN12tensorrt_llm7kernels32fusedQKNormRopeKernelNTokenHeadsIN3c108BFloat16ENS2_4HalfELi256ELb0ELi8EEEvPviiifPKvS7_S7_PKlii,comdat
.Lfunc_end119:
	.size	_ZN12tensorrt_llm7kernels32fusedQKNormRopeKernelNTokenHeadsIN3c108BFloat16ENS2_4HalfELi256ELb0ELi8EEEvPviiifPKvS7_S7_PKlii, .Lfunc_end119-_ZN12tensorrt_llm7kernels32fusedQKNormRopeKernelNTokenHeadsIN3c108BFloat16ENS2_4HalfELi256ELb0ELi8EEEvPviiifPKvS7_S7_PKlii
                                        ; -- End function
	.section	.AMDGPU.csdata,"",@progbits
; Kernel info:
; codeLenInByte = 3264
; NumSgprs: 28
; NumVgprs: 60
; NumAgprs: 0
; TotalNumVgprs: 60
; ScratchSize: 0
; MemoryBound: 0
; FloatMode: 240
; IeeeMode: 1
; LDSByteSize: 0 bytes/workgroup (compile time only)
; SGPRBlocks: 3
; VGPRBlocks: 7
; NumSGPRsForWavesPerEU: 28
; NumVGPRsForWavesPerEU: 60
; AccumOffset: 60
; Occupancy: 8
; WaveLimiterHint : 0
; COMPUTE_PGM_RSRC2:SCRATCH_EN: 0
; COMPUTE_PGM_RSRC2:USER_SGPR: 6
; COMPUTE_PGM_RSRC2:TRAP_HANDLER: 0
; COMPUTE_PGM_RSRC2:TGID_X_EN: 1
; COMPUTE_PGM_RSRC2:TGID_Y_EN: 0
; COMPUTE_PGM_RSRC2:TGID_Z_EN: 0
; COMPUTE_PGM_RSRC2:TIDIG_COMP_CNT: 0
; COMPUTE_PGM_RSRC3_GFX90A:ACCUM_OFFSET: 14
; COMPUTE_PGM_RSRC3_GFX90A:TG_SPLIT: 0
	.section	.text._ZN12tensorrt_llm7kernels21fusedQKNormRopeKernelIN3c108BFloat16ES3_Li64ELb1EEEvPviiifPKvS6_S6_PKlii,"axG",@progbits,_ZN12tensorrt_llm7kernels21fusedQKNormRopeKernelIN3c108BFloat16ES3_Li64ELb1EEEvPviiifPKvS6_S6_PKlii,comdat
	.protected	_ZN12tensorrt_llm7kernels21fusedQKNormRopeKernelIN3c108BFloat16ES3_Li64ELb1EEEvPviiifPKvS6_S6_PKlii ; -- Begin function _ZN12tensorrt_llm7kernels21fusedQKNormRopeKernelIN3c108BFloat16ES3_Li64ELb1EEEvPviiifPKvS6_S6_PKlii
	.globl	_ZN12tensorrt_llm7kernels21fusedQKNormRopeKernelIN3c108BFloat16ES3_Li64ELb1EEEvPviiifPKvS6_S6_PKlii
	.p2align	8
	.type	_ZN12tensorrt_llm7kernels21fusedQKNormRopeKernelIN3c108BFloat16ES3_Li64ELb1EEEvPviiifPKvS6_S6_PKlii,@function
_ZN12tensorrt_llm7kernels21fusedQKNormRopeKernelIN3c108BFloat16ES3_Li64ELb1EEEvPviiifPKvS6_S6_PKlii: ; @_ZN12tensorrt_llm7kernels21fusedQKNormRopeKernelIN3c108BFloat16ES3_Li64ELb1EEEvPviiifPKvS6_S6_PKlii
; %bb.0:
	s_load_dwordx4 s[8:11], s[4:5], 0x8
	s_load_dwordx2 s[12:13], s[4:5], 0x38
	s_load_dword s1, s[4:5], 0x4c
	v_lshrrev_b32_e32 v2, 5, v0
	s_waitcnt lgkmcnt(0)
	s_add_i32 s0, s9, s8
	s_abs_i32 s2, s0
	v_cvt_f32_u32_e32 v1, s2
	s_bfe_u32 s1, s1, 0xb0005
	s_mul_i32 s6, s6, s1
	s_sub_i32 s1, 0, s2
	v_rcp_iflag_f32_e32 v3, v1
	v_add_u32_e32 v1, s6, v2
	v_sub_u32_e32 v4, 0, v1
	v_max_i32_e32 v4, v1, v4
	v_mul_f32_e32 v3, 0x4f7ffffe, v3
	v_cvt_u32_f32_e32 v3, v3
	v_xor_b32_e32 v2, s0, v1
	v_ashrrev_i32_e32 v2, 31, v2
	v_mul_lo_u32 v5, s1, v3
	v_mul_hi_u32 v5, v3, v5
	v_add_u32_e32 v3, v3, v5
	v_mul_hi_u32 v3, v4, v3
	v_mul_lo_u32 v5, v3, s2
	v_sub_u32_e32 v4, v4, v5
	v_add_u32_e32 v5, 1, v3
	v_cmp_le_u32_e32 vcc, s2, v4
	v_cndmask_b32_e32 v3, v3, v5, vcc
	v_subrev_u32_e32 v5, s2, v4
	v_cndmask_b32_e32 v4, v4, v5, vcc
	v_add_u32_e32 v5, 1, v3
	v_cmp_le_u32_e32 vcc, s2, v4
	v_cndmask_b32_e32 v3, v3, v5, vcc
	v_xor_b32_e32 v3, v3, v2
	v_sub_u32_e32 v2, v3, v2
	v_cmp_gt_i32_e32 vcc, s12, v2
	s_and_saveexec_b64 s[2:3], vcc
	s_cbranch_execz .LBB120_12
; %bb.1:
	v_and_b32_e32 v3, 31, v0
	v_mul_lo_u32 v0, v2, s0
	v_sub_u32_e32 v0, v1, v0
	v_mov_b32_e32 v1, s8
	v_cmp_gt_i32_e32 vcc, s8, v0
	v_cndmask_b32_e64 v1, v1, 0, vcc
	s_add_i32 s0, s0, s10
	s_load_dwordx2 s[2:3], s[4:5], 0x0
	v_sub_u32_e32 v0, v0, v1
	v_mul_lo_u32 v4, v2, s0
	v_add3_u32 v0, v4, v1, v0
	v_lshlrev_b32_e32 v6, 1, v3
	v_lshl_or_b32 v0, v0, 6, v6
	v_ashrrev_i32_e32 v1, 31, v0
	v_lshlrev_b64 v[0:1], 1, v[0:1]
	s_waitcnt lgkmcnt(0)
	v_mov_b32_e32 v4, s3
	v_add_co_u32_e64 v0, s[0:1], s2, v0
	v_addc_co_u32_e64 v1, s[0:1], v4, v1, s[0:1]
	global_load_dword v7, v[0:1], off
	s_load_dwordx8 s[0:7], s[4:5], 0x18
	v_lshlrev_b32_e32 v4, 2, v3
	s_waitcnt lgkmcnt(0)
	v_mov_b32_e32 v5, s3
	v_mov_b32_e32 v8, s1
	;; [unrolled: 1-line block ×4, first 2 shown]
	v_cndmask_b32_e32 v5, v5, v8, vcc
	v_cndmask_b32_e32 v8, v9, v10, vcc
	v_add_co_u32_e32 v4, vcc, v8, v4
	v_addc_co_u32_e32 v5, vcc, 0, v5, vcc
	global_load_dword v10, v[4:5], off
	v_mbcnt_lo_u32_b32 v4, -1, 0
	v_mbcnt_hi_u32_b32 v11, -1, v4
	v_and_b32_e32 v4, 0x60, v11
	v_xor_b32_e32 v5, 16, v11
	v_add_u32_e32 v12, 32, v4
	v_cmp_lt_i32_e32 vcc, v5, v12
	v_cndmask_b32_e32 v4, v11, v5, vcc
	v_lshlrev_b32_e32 v13, 2, v4
	s_mov_b32 s0, 0x800000
	s_lshr_b32 s2, s13, 31
	s_add_i32 s2, s13, s2
	s_mov_b32 s1, 0
	s_waitcnt vmcnt(1)
	v_and_b32_e32 v5, 0xffff0000, v7
	v_lshlrev_b32_e32 v4, 16, v7
	v_pk_mul_f32 v[8:9], v[4:5], v[4:5]
	v_add_f32_e32 v7, v9, v8
	ds_bpermute_b32 v8, v13, v7
	v_xor_b32_e32 v9, 8, v11
	v_cmp_lt_i32_e32 vcc, v9, v12
	v_cndmask_b32_e32 v9, v11, v9, vcc
	v_lshlrev_b32_e32 v9, 2, v9
	s_waitcnt lgkmcnt(0)
	v_add_f32_e32 v7, v7, v8
	ds_bpermute_b32 v8, v9, v7
	v_xor_b32_e32 v9, 4, v11
	v_cmp_lt_i32_e32 vcc, v9, v12
	v_cndmask_b32_e32 v9, v11, v9, vcc
	v_lshlrev_b32_e32 v9, 2, v9
	s_waitcnt lgkmcnt(0)
	;; [unrolled: 7-line block ×4, first 2 shown]
	v_add_f32_e32 v7, v7, v8
	ds_bpermute_b32 v8, v9, v7
	v_mov_b32_e32 v9, s11
	s_waitcnt lgkmcnt(0)
	v_add_f32_e32 v7, v7, v8
	v_fmac_f32_e32 v9, 0x3c800000, v7
	v_mul_f32_e32 v7, 0x4b800000, v9
	v_cmp_gt_f32_e32 vcc, s0, v9
	v_cndmask_b32_e32 v7, v9, v7, vcc
	v_rsq_f32_e32 v7, v7
	s_waitcnt vmcnt(0)
	v_and_b32_e32 v9, 0xffff0000, v10
	v_lshlrev_b32_e32 v8, 16, v10
	s_ashr_i32 s0, s2, 1
	v_mul_f32_e32 v10, 0x45800000, v7
	v_cndmask_b32_e32 v10, v7, v10, vcc
	v_pk_mul_f32 v[8:9], v[10:11], v[8:9] op_sel_hi:[0,1]
	v_pk_mul_f32 v[4:5], v[8:9], v[4:5]
	v_cmp_gt_i32_e32 vcc, s0, v3
	s_and_saveexec_b64 s[2:3], vcc
	s_cbranch_execz .LBB120_3
; %bb.2:
	v_ashrrev_i32_e32 v3, 31, v2
	v_lshlrev_b64 v[2:3], 3, v[2:3]
	v_mov_b32_e32 v7, s7
	v_add_co_u32_e32 v2, vcc, s6, v2
	v_addc_co_u32_e32 v3, vcc, v7, v3, vcc
	global_load_dwordx2 v[2:3], v[2:3], off
	s_ashr_i32 s6, s13, 31
	v_mov_b32_e32 v7, s5
	s_lshl_b64 s[0:1], s[0:1], 1
	v_mov_b32_e32 v8, s1
	s_waitcnt vmcnt(0)
	v_mul_lo_u32 v9, v3, s13
	v_mul_lo_u32 v10, v2, s6
	v_mad_u64_u32 v[2:3], s[6:7], v2, s13, 0
	v_add3_u32 v3, v3, v10, v9
	v_lshlrev_b64 v[2:3], 1, v[2:3]
	v_add_co_u32_e32 v2, vcc, s4, v2
	v_addc_co_u32_e32 v3, vcc, v7, v3, vcc
	v_add_co_u32_e32 v2, vcc, v2, v6
	v_addc_co_u32_e32 v3, vcc, 0, v3, vcc
	;; [unrolled: 2-line block ×3, first 2 shown]
	global_load_ushort v8, v[2:3], off
	global_load_ushort v9, v[6:7], off
	s_waitcnt vmcnt(1)
	v_lshlrev_b32_e32 v3, 16, v8
	s_waitcnt vmcnt(0)
	v_lshlrev_b32_e32 v2, 16, v9
	v_pk_mul_f32 v[6:7], v[4:5], v[2:3]
	v_mov_b32_e32 v7, v6
	v_mul_f32_e32 v8, v4, v3
	v_pk_fma_f32 v[6:7], v[4:5], v[2:3], v[6:7]
	v_fma_f32 v4, -v5, v2, v8
	v_mov_b32_e32 v5, v7
.LBB120_3:
	s_or_b64 exec, exec, s[2:3]
	s_mov_b32 s0, 0x7f800000
	v_and_b32_e32 v2, 0x7f800000, v4
	v_cmp_ne_u32_e32 vcc, s0, v2
                                        ; implicit-def: $vgpr2
	s_and_saveexec_b64 s[0:1], vcc
	s_xor_b64 s[0:1], exec, s[0:1]
; %bb.4:
	v_bfe_u32 v2, v4, 16, 1
	s_movk_i32 s2, 0x7fff
	v_add3_u32 v2, v4, v2, s2
; %bb.5:
	s_andn2_saveexec_b64 s[0:1], s[0:1]
; %bb.6:
	v_mov_b32_e32 v2, 0
	v_or_b32_e32 v3, 0x10000, v4
	v_cmp_eq_u32_sdwa vcc, v4, v2 src0_sel:WORD_0 src1_sel:DWORD
	v_cndmask_b32_e32 v2, v3, v4, vcc
; %bb.7:
	s_or_b64 exec, exec, s[0:1]
	s_mov_b32 s0, 0x7f800000
	v_and_b32_e32 v3, 0x7f800000, v5
	v_cmp_ne_u32_e32 vcc, s0, v3
                                        ; implicit-def: $vgpr3
	s_and_saveexec_b64 s[0:1], vcc
	s_xor_b64 s[0:1], exec, s[0:1]
; %bb.8:
	v_bfe_u32 v3, v5, 16, 1
	s_movk_i32 s2, 0x7fff
	v_add3_u32 v3, v5, v3, s2
                                        ; implicit-def: $vgpr5
; %bb.9:
	s_andn2_saveexec_b64 s[0:1], s[0:1]
; %bb.10:
	v_mov_b32_e32 v3, 0
	v_or_b32_e32 v4, 0x10000, v5
	v_cmp_eq_u32_sdwa vcc, v5, v3 src0_sel:WORD_0 src1_sel:DWORD
	v_cndmask_b32_e32 v3, v4, v5, vcc
; %bb.11:
	s_or_b64 exec, exec, s[0:1]
	v_lshrrev_b32_e32 v2, 16, v2
	s_mov_b32 s0, 0xffff0000
	v_and_or_b32 v2, v3, s0, v2
	global_store_dword v[0:1], v2, off
.LBB120_12:
	s_endpgm
	.section	.rodata,"a",@progbits
	.p2align	6, 0x0
	.amdhsa_kernel _ZN12tensorrt_llm7kernels21fusedQKNormRopeKernelIN3c108BFloat16ES3_Li64ELb1EEEvPviiifPKvS6_S6_PKlii
		.amdhsa_group_segment_fixed_size 0
		.amdhsa_private_segment_fixed_size 0
		.amdhsa_kernarg_size 320
		.amdhsa_user_sgpr_count 6
		.amdhsa_user_sgpr_private_segment_buffer 1
		.amdhsa_user_sgpr_dispatch_ptr 0
		.amdhsa_user_sgpr_queue_ptr 0
		.amdhsa_user_sgpr_kernarg_segment_ptr 1
		.amdhsa_user_sgpr_dispatch_id 0
		.amdhsa_user_sgpr_flat_scratch_init 0
		.amdhsa_user_sgpr_kernarg_preload_length 0
		.amdhsa_user_sgpr_kernarg_preload_offset 0
		.amdhsa_user_sgpr_private_segment_size 0
		.amdhsa_uses_dynamic_stack 0
		.amdhsa_system_sgpr_private_segment_wavefront_offset 0
		.amdhsa_system_sgpr_workgroup_id_x 1
		.amdhsa_system_sgpr_workgroup_id_y 0
		.amdhsa_system_sgpr_workgroup_id_z 0
		.amdhsa_system_sgpr_workgroup_info 0
		.amdhsa_system_vgpr_workitem_id 0
		.amdhsa_next_free_vgpr 14
		.amdhsa_next_free_sgpr 14
		.amdhsa_accum_offset 16
		.amdhsa_reserve_vcc 1
		.amdhsa_reserve_flat_scratch 0
		.amdhsa_float_round_mode_32 0
		.amdhsa_float_round_mode_16_64 0
		.amdhsa_float_denorm_mode_32 3
		.amdhsa_float_denorm_mode_16_64 3
		.amdhsa_dx10_clamp 1
		.amdhsa_ieee_mode 1
		.amdhsa_fp16_overflow 0
		.amdhsa_tg_split 0
		.amdhsa_exception_fp_ieee_invalid_op 0
		.amdhsa_exception_fp_denorm_src 0
		.amdhsa_exception_fp_ieee_div_zero 0
		.amdhsa_exception_fp_ieee_overflow 0
		.amdhsa_exception_fp_ieee_underflow 0
		.amdhsa_exception_fp_ieee_inexact 0
		.amdhsa_exception_int_div_zero 0
	.end_amdhsa_kernel
	.section	.text._ZN12tensorrt_llm7kernels21fusedQKNormRopeKernelIN3c108BFloat16ES3_Li64ELb1EEEvPviiifPKvS6_S6_PKlii,"axG",@progbits,_ZN12tensorrt_llm7kernels21fusedQKNormRopeKernelIN3c108BFloat16ES3_Li64ELb1EEEvPviiifPKvS6_S6_PKlii,comdat
.Lfunc_end120:
	.size	_ZN12tensorrt_llm7kernels21fusedQKNormRopeKernelIN3c108BFloat16ES3_Li64ELb1EEEvPviiifPKvS6_S6_PKlii, .Lfunc_end120-_ZN12tensorrt_llm7kernels21fusedQKNormRopeKernelIN3c108BFloat16ES3_Li64ELb1EEEvPviiifPKvS6_S6_PKlii
                                        ; -- End function
	.section	.AMDGPU.csdata,"",@progbits
; Kernel info:
; codeLenInByte = 1072
; NumSgprs: 18
; NumVgprs: 14
; NumAgprs: 0
; TotalNumVgprs: 14
; ScratchSize: 0
; MemoryBound: 0
; FloatMode: 240
; IeeeMode: 1
; LDSByteSize: 0 bytes/workgroup (compile time only)
; SGPRBlocks: 2
; VGPRBlocks: 1
; NumSGPRsForWavesPerEU: 18
; NumVGPRsForWavesPerEU: 14
; AccumOffset: 16
; Occupancy: 8
; WaveLimiterHint : 1
; COMPUTE_PGM_RSRC2:SCRATCH_EN: 0
; COMPUTE_PGM_RSRC2:USER_SGPR: 6
; COMPUTE_PGM_RSRC2:TRAP_HANDLER: 0
; COMPUTE_PGM_RSRC2:TGID_X_EN: 1
; COMPUTE_PGM_RSRC2:TGID_Y_EN: 0
; COMPUTE_PGM_RSRC2:TGID_Z_EN: 0
; COMPUTE_PGM_RSRC2:TIDIG_COMP_CNT: 0
; COMPUTE_PGM_RSRC3_GFX90A:ACCUM_OFFSET: 3
; COMPUTE_PGM_RSRC3_GFX90A:TG_SPLIT: 0
	.section	.text._ZN12tensorrt_llm7kernels21fusedQKNormRopeKernelIN3c108BFloat16ES3_Li64ELb0EEEvPviiifPKvS6_S6_PKlii,"axG",@progbits,_ZN12tensorrt_llm7kernels21fusedQKNormRopeKernelIN3c108BFloat16ES3_Li64ELb0EEEvPviiifPKvS6_S6_PKlii,comdat
	.protected	_ZN12tensorrt_llm7kernels21fusedQKNormRopeKernelIN3c108BFloat16ES3_Li64ELb0EEEvPviiifPKvS6_S6_PKlii ; -- Begin function _ZN12tensorrt_llm7kernels21fusedQKNormRopeKernelIN3c108BFloat16ES3_Li64ELb0EEEvPviiifPKvS6_S6_PKlii
	.globl	_ZN12tensorrt_llm7kernels21fusedQKNormRopeKernelIN3c108BFloat16ES3_Li64ELb0EEEvPviiifPKvS6_S6_PKlii
	.p2align	8
	.type	_ZN12tensorrt_llm7kernels21fusedQKNormRopeKernelIN3c108BFloat16ES3_Li64ELb0EEEvPviiifPKvS6_S6_PKlii,@function
_ZN12tensorrt_llm7kernels21fusedQKNormRopeKernelIN3c108BFloat16ES3_Li64ELb0EEEvPviiifPKvS6_S6_PKlii: ; @_ZN12tensorrt_llm7kernels21fusedQKNormRopeKernelIN3c108BFloat16ES3_Li64ELb0EEEvPviiifPKvS6_S6_PKlii
; %bb.0:
	s_load_dwordx4 s[8:11], s[4:5], 0x8
	s_load_dwordx2 s[12:13], s[4:5], 0x38
	s_load_dword s1, s[4:5], 0x4c
	v_lshrrev_b32_e32 v2, 5, v0
	s_waitcnt lgkmcnt(0)
	s_add_i32 s0, s9, s8
	s_abs_i32 s2, s0
	v_cvt_f32_u32_e32 v1, s2
	s_bfe_u32 s1, s1, 0xb0005
	s_mul_i32 s6, s6, s1
	s_sub_i32 s1, 0, s2
	v_rcp_iflag_f32_e32 v3, v1
	v_add_u32_e32 v1, s6, v2
	v_sub_u32_e32 v4, 0, v1
	v_max_i32_e32 v4, v1, v4
	v_mul_f32_e32 v3, 0x4f7ffffe, v3
	v_cvt_u32_f32_e32 v3, v3
	v_xor_b32_e32 v2, s0, v1
	v_ashrrev_i32_e32 v2, 31, v2
	v_mul_lo_u32 v5, s1, v3
	v_mul_hi_u32 v5, v3, v5
	v_add_u32_e32 v3, v3, v5
	v_mul_hi_u32 v3, v4, v3
	v_mul_lo_u32 v5, v3, s2
	v_sub_u32_e32 v4, v4, v5
	v_add_u32_e32 v5, 1, v3
	v_cmp_le_u32_e32 vcc, s2, v4
	v_cndmask_b32_e32 v3, v3, v5, vcc
	v_subrev_u32_e32 v5, s2, v4
	v_cndmask_b32_e32 v4, v4, v5, vcc
	v_add_u32_e32 v5, 1, v3
	v_cmp_le_u32_e32 vcc, s2, v4
	v_cndmask_b32_e32 v3, v3, v5, vcc
	v_xor_b32_e32 v3, v3, v2
	v_sub_u32_e32 v4, v3, v2
	v_cmp_gt_i32_e32 vcc, s12, v4
	s_and_saveexec_b64 s[2:3], vcc
	s_cbranch_execz .LBB121_12
; %bb.1:
	v_and_b32_e32 v6, 31, v0
	v_mul_lo_u32 v0, v4, s0
	v_sub_u32_e32 v0, v1, v0
	v_mov_b32_e32 v1, s8
	v_cmp_gt_i32_e32 vcc, s8, v0
	v_cndmask_b32_e64 v1, v1, 0, vcc
	s_add_i32 s0, s0, s10
	s_load_dwordx2 s[2:3], s[4:5], 0x0
	v_sub_u32_e32 v0, v0, v1
	v_mul_lo_u32 v2, v4, s0
	v_add3_u32 v0, v2, v1, v0
	v_lshlrev_b32_e32 v1, 1, v6
	v_lshl_or_b32 v0, v0, 6, v1
	v_ashrrev_i32_e32 v1, 31, v0
	v_lshlrev_b64 v[0:1], 1, v[0:1]
	s_waitcnt lgkmcnt(0)
	v_mov_b32_e32 v2, s3
	v_add_co_u32_e64 v0, s[0:1], s2, v0
	v_addc_co_u32_e64 v1, s[0:1], v2, v1, s[0:1]
	global_load_dword v5, v[0:1], off
	s_load_dwordx8 s[0:7], s[4:5], 0x18
	v_lshlrev_b32_e32 v8, 2, v6
	s_waitcnt lgkmcnt(0)
	v_mov_b32_e32 v2, s3
	v_mov_b32_e32 v3, s1
	;; [unrolled: 1-line block ×4, first 2 shown]
	v_cndmask_b32_e32 v3, v2, v3, vcc
	v_cndmask_b32_e32 v2, v7, v9, vcc
	v_add_co_u32_e32 v2, vcc, v2, v8
	v_addc_co_u32_e32 v3, vcc, 0, v3, vcc
	global_load_dword v9, v[2:3], off
	v_mbcnt_lo_u32_b32 v2, -1, 0
	v_mbcnt_hi_u32_b32 v7, -1, v2
	v_and_b32_e32 v2, 0x60, v7
	v_xor_b32_e32 v3, 16, v7
	v_add_u32_e32 v12, 32, v2
	v_cmp_lt_i32_e32 vcc, v3, v12
	v_cndmask_b32_e32 v2, v7, v3, vcc
	v_lshlrev_b32_e32 v13, 2, v2
	s_mov_b32 s0, 0x800000
	s_lshr_b32 s2, s13, 31
	s_add_i32 s2, s13, s2
	s_mov_b32 s1, 0
	s_waitcnt vmcnt(1)
	v_and_b32_e32 v10, 0xffff0000, v5
	v_lshlrev_b32_e32 v11, 16, v5
	v_pk_mul_f32 v[2:3], v[10:11], v[10:11]
	v_add_f32_e32 v2, v2, v3
	ds_bpermute_b32 v3, v13, v2
	v_xor_b32_e32 v5, 8, v7
	v_cmp_lt_i32_e32 vcc, v5, v12
	v_cndmask_b32_e32 v5, v7, v5, vcc
	v_lshlrev_b32_e32 v5, 2, v5
	s_waitcnt lgkmcnt(0)
	v_add_f32_e32 v2, v2, v3
	ds_bpermute_b32 v3, v5, v2
	v_xor_b32_e32 v5, 4, v7
	v_cmp_lt_i32_e32 vcc, v5, v12
	v_cndmask_b32_e32 v5, v7, v5, vcc
	v_lshlrev_b32_e32 v5, 2, v5
	s_waitcnt lgkmcnt(0)
	;; [unrolled: 7-line block ×4, first 2 shown]
	v_add_f32_e32 v2, v2, v3
	ds_bpermute_b32 v3, v5, v2
	v_mov_b32_e32 v5, s11
	s_waitcnt lgkmcnt(0)
	v_add_f32_e32 v2, v2, v3
	v_fmac_f32_e32 v5, 0x3c800000, v2
	v_mul_f32_e32 v2, 0x4b800000, v5
	v_cmp_gt_f32_e32 vcc, s0, v5
	v_cndmask_b32_e32 v2, v5, v2, vcc
	v_rsq_f32_e32 v2, v2
	s_waitcnt vmcnt(0)
	v_lshlrev_b32_e32 v3, 16, v9
	v_and_b32_e32 v5, 0xffff0000, v9
	s_ashr_i32 s0, s2, 1
	v_mul_f32_e32 v9, 0x45800000, v2
	v_cndmask_b32_e32 v2, v2, v9, vcc
	v_mul_f32_e32 v3, v2, v3
	v_mul_f32_e32 v5, v2, v5
	;; [unrolled: 1-line block ×4, first 2 shown]
	v_cmp_gt_i32_e32 vcc, s0, v6
	s_and_saveexec_b64 s[2:3], vcc
	s_cbranch_execz .LBB121_3
; %bb.2:
	v_ashrrev_i32_e32 v5, 31, v4
	v_lshlrev_b64 v[4:5], 3, v[4:5]
	v_mov_b32_e32 v9, s7
	v_add_co_u32_e32 v4, vcc, s6, v4
	v_addc_co_u32_e32 v5, vcc, v9, v5, vcc
	global_load_dwordx2 v[4:5], v[4:5], off
	s_abs_i32 s8, s13
	v_cvt_f32_u32_e32 v9, s8
	s_lshl_b64 s[6:7], s[0:1], 1
	s_sub_i32 s1, 0, s8
	v_or_b32_e32 v11, 2, v8
	v_rcp_iflag_f32_e32 v9, v9
	s_ashr_i32 s9, s13, 31
	v_mov_b32_e32 v10, s5
	v_mov_b32_e32 v12, s7
	v_mul_f32_e32 v9, 0x4f7ffffe, v9
	v_cvt_u32_f32_e32 v9, v9
	; wave barrier
	s_lshr_b32 s0, s0, 1
	v_mul_lo_u32 v13, s1, v9
	v_mul_hi_u32 v13, v9, v13
	v_add_u32_e32 v9, v9, v13
	v_mul_hi_u32 v13, v8, v9
	v_mul_hi_u32 v9, v11, v9
	v_mul_lo_u32 v13, v13, s8
	v_mul_lo_u32 v9, v9, s8
	v_sub_u32_e32 v8, v8, v13
	v_sub_u32_e32 v9, v11, v9
	v_subrev_u32_e32 v11, s8, v8
	v_cmp_le_u32_e32 vcc, s8, v8
	v_subrev_u32_e32 v13, s8, v9
	v_cndmask_b32_e32 v8, v8, v11, vcc
	v_cmp_le_u32_e32 vcc, s8, v9
	v_cndmask_b32_e32 v9, v9, v13, vcc
	v_subrev_u32_e32 v11, s8, v8
	v_cmp_le_u32_e32 vcc, s8, v8
	v_subrev_u32_e32 v13, s8, v9
	v_cndmask_b32_e32 v8, v8, v11, vcc
	v_cmp_le_u32_e32 vcc, s8, v9
	v_cndmask_b32_e32 v9, v9, v13, vcc
	v_and_b32_e32 v11, -2, v8
	v_and_b32_e32 v13, -2, v9
	s_waitcnt vmcnt(0)
	v_mul_lo_u32 v8, v5, s13
	v_mul_lo_u32 v9, v4, s9
	v_mad_u64_u32 v[4:5], s[8:9], v4, s13, 0
	v_add3_u32 v5, v5, v9, v8
	v_lshlrev_b64 v[4:5], 1, v[4:5]
	v_add_co_u32_e32 v8, vcc, s4, v4
	v_addc_co_u32_e32 v9, vcc, v10, v5, vcc
	v_add_co_u32_e32 v14, vcc, s6, v8
	v_addc_co_u32_e32 v15, vcc, v9, v12, vcc
	;; [unrolled: 2-line block ×6, first 2 shown]
	global_load_ushort v14, v[4:5], off
	global_load_ushort v15, v[10:11], off
	;; [unrolled: 1-line block ×4, first 2 shown]
	v_and_b32_e32 v4, 64, v7
	v_xor_b32_e32 v5, s0, v7
	v_add_u32_e32 v4, 64, v4
	v_cmp_lt_i32_e32 vcc, v5, v4
	v_cndmask_b32_e32 v4, v7, v5, vcc
	v_lshlrev_b32_e32 v4, 2, v4
	ds_bpermute_b32 v5, v4, v2
	ds_bpermute_b32 v4, v4, v3
	v_cmp_gt_u32_e32 vcc, s0, v6
	; wave barrier
	s_waitcnt lgkmcnt(1)
	v_cndmask_b32_e64 v5, v5, -v5, vcc
	s_waitcnt lgkmcnt(0)
	v_cndmask_b32_e64 v6, v4, -v4, vcc
	s_waitcnt vmcnt(3)
	v_lshlrev_b32_e32 v7, 16, v14
	s_waitcnt vmcnt(2)
	v_lshlrev_b32_e32 v4, 16, v15
	;; [unrolled: 2-line block ×4, first 2 shown]
	v_mul_f32_e32 v4, v5, v4
	v_mul_f32_e32 v5, v6, v9
	v_fmac_f32_e32 v4, v2, v7
	v_fmac_f32_e32 v5, v3, v8
	v_pk_mov_b32 v[2:3], v[4:5], v[4:5] op_sel:[0,1]
.LBB121_3:
	s_or_b64 exec, exec, s[2:3]
	s_mov_b32 s0, 0x7f800000
	v_and_b32_e32 v4, 0x7f800000, v2
	v_cmp_ne_u32_e32 vcc, s0, v4
                                        ; implicit-def: $vgpr4
	s_and_saveexec_b64 s[0:1], vcc
	s_xor_b64 s[0:1], exec, s[0:1]
; %bb.4:
	v_bfe_u32 v4, v2, 16, 1
	s_movk_i32 s2, 0x7fff
	v_add3_u32 v4, v2, v4, s2
; %bb.5:
	s_andn2_saveexec_b64 s[0:1], s[0:1]
; %bb.6:
	v_mov_b32_e32 v4, 0
	v_or_b32_e32 v5, 0x10000, v2
	v_cmp_eq_u32_sdwa vcc, v2, v4 src0_sel:WORD_0 src1_sel:DWORD
	v_cndmask_b32_e32 v4, v5, v2, vcc
; %bb.7:
	s_or_b64 exec, exec, s[0:1]
	s_mov_b32 s0, 0x7f800000
	v_and_b32_e32 v2, 0x7f800000, v3
	v_cmp_ne_u32_e32 vcc, s0, v2
                                        ; implicit-def: $vgpr5
	s_and_saveexec_b64 s[0:1], vcc
	s_xor_b64 s[0:1], exec, s[0:1]
; %bb.8:
	v_bfe_u32 v2, v3, 16, 1
	s_movk_i32 s2, 0x7fff
	v_add3_u32 v5, v3, v2, s2
                                        ; implicit-def: $vgpr2_vgpr3
; %bb.9:
	s_andn2_saveexec_b64 s[0:1], s[0:1]
; %bb.10:
	v_mov_b32_e32 v2, 0
	v_or_b32_e32 v5, 0x10000, v3
	v_cmp_eq_u32_sdwa vcc, v3, v2 src0_sel:WORD_0 src1_sel:DWORD
	v_cndmask_b32_e32 v5, v5, v3, vcc
; %bb.11:
	s_or_b64 exec, exec, s[0:1]
	v_lshrrev_b32_e32 v2, 16, v4
	s_mov_b32 s0, 0xffff0000
	v_and_or_b32 v2, v5, s0, v2
	global_store_dword v[0:1], v2, off
.LBB121_12:
	s_endpgm
	.section	.rodata,"a",@progbits
	.p2align	6, 0x0
	.amdhsa_kernel _ZN12tensorrt_llm7kernels21fusedQKNormRopeKernelIN3c108BFloat16ES3_Li64ELb0EEEvPviiifPKvS6_S6_PKlii
		.amdhsa_group_segment_fixed_size 0
		.amdhsa_private_segment_fixed_size 0
		.amdhsa_kernarg_size 320
		.amdhsa_user_sgpr_count 6
		.amdhsa_user_sgpr_private_segment_buffer 1
		.amdhsa_user_sgpr_dispatch_ptr 0
		.amdhsa_user_sgpr_queue_ptr 0
		.amdhsa_user_sgpr_kernarg_segment_ptr 1
		.amdhsa_user_sgpr_dispatch_id 0
		.amdhsa_user_sgpr_flat_scratch_init 0
		.amdhsa_user_sgpr_kernarg_preload_length 0
		.amdhsa_user_sgpr_kernarg_preload_offset 0
		.amdhsa_user_sgpr_private_segment_size 0
		.amdhsa_uses_dynamic_stack 0
		.amdhsa_system_sgpr_private_segment_wavefront_offset 0
		.amdhsa_system_sgpr_workgroup_id_x 1
		.amdhsa_system_sgpr_workgroup_id_y 0
		.amdhsa_system_sgpr_workgroup_id_z 0
		.amdhsa_system_sgpr_workgroup_info 0
		.amdhsa_system_vgpr_workitem_id 0
		.amdhsa_next_free_vgpr 18
		.amdhsa_next_free_sgpr 14
		.amdhsa_accum_offset 20
		.amdhsa_reserve_vcc 1
		.amdhsa_reserve_flat_scratch 0
		.amdhsa_float_round_mode_32 0
		.amdhsa_float_round_mode_16_64 0
		.amdhsa_float_denorm_mode_32 3
		.amdhsa_float_denorm_mode_16_64 3
		.amdhsa_dx10_clamp 1
		.amdhsa_ieee_mode 1
		.amdhsa_fp16_overflow 0
		.amdhsa_tg_split 0
		.amdhsa_exception_fp_ieee_invalid_op 0
		.amdhsa_exception_fp_denorm_src 0
		.amdhsa_exception_fp_ieee_div_zero 0
		.amdhsa_exception_fp_ieee_overflow 0
		.amdhsa_exception_fp_ieee_underflow 0
		.amdhsa_exception_fp_ieee_inexact 0
		.amdhsa_exception_int_div_zero 0
	.end_amdhsa_kernel
	.section	.text._ZN12tensorrt_llm7kernels21fusedQKNormRopeKernelIN3c108BFloat16ES3_Li64ELb0EEEvPviiifPKvS6_S6_PKlii,"axG",@progbits,_ZN12tensorrt_llm7kernels21fusedQKNormRopeKernelIN3c108BFloat16ES3_Li64ELb0EEEvPviiifPKvS6_S6_PKlii,comdat
.Lfunc_end121:
	.size	_ZN12tensorrt_llm7kernels21fusedQKNormRopeKernelIN3c108BFloat16ES3_Li64ELb0EEEvPviiifPKvS6_S6_PKlii, .Lfunc_end121-_ZN12tensorrt_llm7kernels21fusedQKNormRopeKernelIN3c108BFloat16ES3_Li64ELb0EEEvPviiifPKvS6_S6_PKlii
                                        ; -- End function
	.section	.AMDGPU.csdata,"",@progbits
; Kernel info:
; codeLenInByte = 1336
; NumSgprs: 18
; NumVgprs: 18
; NumAgprs: 0
; TotalNumVgprs: 18
; ScratchSize: 0
; MemoryBound: 0
; FloatMode: 240
; IeeeMode: 1
; LDSByteSize: 0 bytes/workgroup (compile time only)
; SGPRBlocks: 2
; VGPRBlocks: 2
; NumSGPRsForWavesPerEU: 18
; NumVGPRsForWavesPerEU: 18
; AccumOffset: 20
; Occupancy: 8
; WaveLimiterHint : 1
; COMPUTE_PGM_RSRC2:SCRATCH_EN: 0
; COMPUTE_PGM_RSRC2:USER_SGPR: 6
; COMPUTE_PGM_RSRC2:TRAP_HANDLER: 0
; COMPUTE_PGM_RSRC2:TGID_X_EN: 1
; COMPUTE_PGM_RSRC2:TGID_Y_EN: 0
; COMPUTE_PGM_RSRC2:TGID_Z_EN: 0
; COMPUTE_PGM_RSRC2:TIDIG_COMP_CNT: 0
; COMPUTE_PGM_RSRC3_GFX90A:ACCUM_OFFSET: 4
; COMPUTE_PGM_RSRC3_GFX90A:TG_SPLIT: 0
	.section	.text._ZN12tensorrt_llm7kernels21fusedQKNormRopeKernelIN3c108BFloat16ES3_Li128ELb1EEEvPviiifPKvS6_S6_PKlii,"axG",@progbits,_ZN12tensorrt_llm7kernels21fusedQKNormRopeKernelIN3c108BFloat16ES3_Li128ELb1EEEvPviiifPKvS6_S6_PKlii,comdat
	.protected	_ZN12tensorrt_llm7kernels21fusedQKNormRopeKernelIN3c108BFloat16ES3_Li128ELb1EEEvPviiifPKvS6_S6_PKlii ; -- Begin function _ZN12tensorrt_llm7kernels21fusedQKNormRopeKernelIN3c108BFloat16ES3_Li128ELb1EEEvPviiifPKvS6_S6_PKlii
	.globl	_ZN12tensorrt_llm7kernels21fusedQKNormRopeKernelIN3c108BFloat16ES3_Li128ELb1EEEvPviiifPKvS6_S6_PKlii
	.p2align	8
	.type	_ZN12tensorrt_llm7kernels21fusedQKNormRopeKernelIN3c108BFloat16ES3_Li128ELb1EEEvPviiifPKvS6_S6_PKlii,@function
_ZN12tensorrt_llm7kernels21fusedQKNormRopeKernelIN3c108BFloat16ES3_Li128ELb1EEEvPviiifPKvS6_S6_PKlii: ; @_ZN12tensorrt_llm7kernels21fusedQKNormRopeKernelIN3c108BFloat16ES3_Li128ELb1EEEvPviiifPKvS6_S6_PKlii
; %bb.0:
	s_load_dwordx4 s[8:11], s[4:5], 0x8
	s_load_dwordx2 s[12:13], s[4:5], 0x38
	s_load_dword s1, s[4:5], 0x4c
	v_lshrrev_b32_e32 v2, 5, v0
	s_waitcnt lgkmcnt(0)
	s_add_i32 s0, s9, s8
	s_abs_i32 s2, s0
	v_cvt_f32_u32_e32 v1, s2
	s_bfe_u32 s1, s1, 0xb0005
	s_mul_i32 s6, s6, s1
	s_sub_i32 s1, 0, s2
	v_rcp_iflag_f32_e32 v3, v1
	v_add_u32_e32 v1, s6, v2
	v_sub_u32_e32 v4, 0, v1
	v_max_i32_e32 v4, v1, v4
	v_mul_f32_e32 v3, 0x4f7ffffe, v3
	v_cvt_u32_f32_e32 v3, v3
	v_xor_b32_e32 v2, s0, v1
	v_ashrrev_i32_e32 v2, 31, v2
	v_mul_lo_u32 v5, s1, v3
	v_mul_hi_u32 v5, v3, v5
	v_add_u32_e32 v3, v3, v5
	v_mul_hi_u32 v3, v4, v3
	v_mul_lo_u32 v5, v3, s2
	v_sub_u32_e32 v4, v4, v5
	v_add_u32_e32 v5, 1, v3
	v_cmp_le_u32_e32 vcc, s2, v4
	v_cndmask_b32_e32 v3, v3, v5, vcc
	v_subrev_u32_e32 v5, s2, v4
	v_cndmask_b32_e32 v4, v4, v5, vcc
	v_add_u32_e32 v5, 1, v3
	v_cmp_le_u32_e32 vcc, s2, v4
	v_cndmask_b32_e32 v3, v3, v5, vcc
	v_xor_b32_e32 v3, v3, v2
	v_sub_u32_e32 v4, v3, v2
	v_cmp_gt_i32_e32 vcc, s12, v4
	s_and_saveexec_b64 s[2:3], vcc
	s_cbranch_execz .LBB122_20
; %bb.1:
	v_and_b32_e32 v5, 31, v0
	v_mul_lo_u32 v0, v4, s0
	v_sub_u32_e32 v0, v1, v0
	v_mov_b32_e32 v1, s8
	v_cmp_gt_i32_e32 vcc, s8, v0
	v_cndmask_b32_e64 v1, v1, 0, vcc
	s_add_i32 s0, s0, s10
	s_load_dwordx2 s[2:3], s[4:5], 0x0
	v_sub_u32_e32 v0, v0, v1
	v_mul_lo_u32 v2, v4, s0
	v_add3_u32 v0, v2, v1, v0
	v_lshlrev_b32_e32 v8, 2, v5
	v_lshl_or_b32 v0, v0, 7, v8
	v_ashrrev_i32_e32 v1, 31, v0
	v_lshlrev_b64 v[0:1], 1, v[0:1]
	s_waitcnt lgkmcnt(0)
	v_mov_b32_e32 v2, s3
	v_add_co_u32_e64 v0, s[0:1], s2, v0
	v_addc_co_u32_e64 v1, s[0:1], v2, v1, s[0:1]
	global_load_dwordx2 v[2:3], v[0:1], off
	s_load_dwordx8 s[0:7], s[4:5], 0x18
	v_lshlrev_b32_e32 v6, 3, v5
	v_mov_b32_e32 v16, s11
	s_waitcnt lgkmcnt(0)
	v_mov_b32_e32 v7, s3
	v_mov_b32_e32 v9, s1
	;; [unrolled: 1-line block ×4, first 2 shown]
	v_cndmask_b32_e32 v7, v7, v9, vcc
	v_cndmask_b32_e32 v9, v10, v11, vcc
	v_add_co_u32_e32 v6, vcc, v9, v6
	v_addc_co_u32_e32 v7, vcc, 0, v7, vcc
	global_load_dwordx2 v[6:7], v[6:7], off
	v_mbcnt_lo_u32_b32 v9, -1, 0
	v_mbcnt_hi_u32_b32 v9, -1, v9
	v_and_b32_e32 v10, 0x60, v9
	v_xor_b32_e32 v11, 16, v9
	v_add_u32_e32 v17, 32, v10
	v_cmp_lt_i32_e32 vcc, v11, v17
	v_cndmask_b32_e32 v10, v9, v11, vcc
	v_lshlrev_b32_e32 v18, 2, v10
	s_mov_b32 s0, 0x800000
	s_ashr_i32 s2, s13, 31
	s_lshr_b32 s1, s2, 30
	s_add_i32 s1, s13, s1
	s_ashr_i32 s1, s1, 2
	s_waitcnt vmcnt(1)
	v_alignbit_b32 v12, v3, v2, 16
	v_lshlrev_b32_e32 v10, 16, v2
	v_and_b32_e32 v11, 0xffff0000, v2
	v_and_b32_e32 v3, 0xffff0000, v3
	;; [unrolled: 1-line block ×3, first 2 shown]
	v_pk_mul_f32 v[12:13], v[10:11], v[10:11]
	v_pk_mul_f32 v[14:15], v[2:3], v[2:3]
	v_add_f32_e32 v12, v12, v13
	v_add_f32_e32 v12, v12, v14
	;; [unrolled: 1-line block ×3, first 2 shown]
	ds_bpermute_b32 v13, v18, v12
	v_xor_b32_e32 v14, 8, v9
	v_cmp_lt_i32_e32 vcc, v14, v17
	v_cndmask_b32_e32 v14, v9, v14, vcc
	v_lshlrev_b32_e32 v14, 2, v14
	s_waitcnt lgkmcnt(0)
	v_add_f32_e32 v12, v12, v13
	ds_bpermute_b32 v13, v14, v12
	v_xor_b32_e32 v14, 4, v9
	v_cmp_lt_i32_e32 vcc, v14, v17
	v_cndmask_b32_e32 v14, v9, v14, vcc
	v_lshlrev_b32_e32 v14, 2, v14
	s_waitcnt lgkmcnt(0)
	v_add_f32_e32 v12, v12, v13
	;; [unrolled: 7-line block ×4, first 2 shown]
	ds_bpermute_b32 v9, v9, v12
	s_waitcnt vmcnt(0)
	v_and_b32_e32 v13, 0xffff0000, v6
	v_and_b32_e32 v15, 0xffff0000, v7
	v_lshlrev_b32_e32 v14, 16, v7
	s_waitcnt lgkmcnt(0)
	v_add_f32_e32 v9, v12, v9
	v_fmac_f32_e32 v16, 0x3c000000, v9
	v_mul_f32_e32 v9, 0x4b800000, v16
	v_cmp_gt_f32_e32 vcc, s0, v16
	v_cndmask_b32_e32 v9, v16, v9, vcc
	v_rsq_f32_e32 v9, v9
	v_lshlrev_b32_e32 v12, 16, v6
	v_mul_f32_e32 v6, 0x45800000, v9
	v_cndmask_b32_e32 v6, v9, v6, vcc
	v_pk_mul_f32 v[12:13], v[6:7], v[12:13] op_sel_hi:[0,1]
	v_pk_mul_f32 v[14:15], v[6:7], v[14:15] op_sel_hi:[0,1]
	v_pk_mul_f32 v[6:7], v[12:13], v[10:11]
	v_pk_mul_f32 v[2:3], v[14:15], v[2:3]
	v_cmp_gt_i32_e32 vcc, s1, v5
	s_and_saveexec_b64 s[0:1], vcc
	s_cbranch_execz .LBB122_3
; %bb.2:
	v_ashrrev_i32_e32 v5, 31, v4
	v_lshlrev_b64 v[4:5], 3, v[4:5]
	v_mov_b32_e32 v9, s7
	v_add_co_u32_e32 v4, vcc, s6, v4
	v_addc_co_u32_e32 v5, vcc, v9, v5, vcc
	global_load_dwordx2 v[4:5], v[4:5], off
	s_lshr_b32 s3, s13, 31
	s_add_i32 s3, s13, s3
	s_ashr_i32 s6, s3, 1
	v_mov_b32_e32 v9, s5
	s_ashr_i32 s7, s6, 31
	s_lshl_b64 s[6:7], s[6:7], 1
	v_mov_b32_e32 v10, s7
	s_waitcnt vmcnt(0)
	v_mul_lo_u32 v11, v5, s13
	v_mul_lo_u32 v12, v4, s2
	v_mad_u64_u32 v[4:5], s[2:3], v4, s13, 0
	v_add3_u32 v5, v5, v12, v11
	v_lshlrev_b64 v[4:5], 1, v[4:5]
	v_add_co_u32_e32 v4, vcc, s4, v4
	v_addc_co_u32_e32 v5, vcc, v9, v5, vcc
	v_add_co_u32_e32 v4, vcc, v4, v8
	v_addc_co_u32_e32 v5, vcc, 0, v5, vcc
	global_load_dword v9, v[4:5], off
	v_add_co_u32_e32 v4, vcc, s6, v4
	v_addc_co_u32_e32 v5, vcc, v5, v10, vcc
	global_load_dword v5, v[4:5], off
	v_mov_b32_e32 v4, v3
	s_waitcnt vmcnt(1)
	v_lshlrev_b32_e32 v8, 16, v9
	v_and_b32_e32 v11, 0xffff0000, v9
	v_pk_mul_f32 v[14:15], v[6:7], v[8:9] op_sel_hi:[1,0]
	v_mov_b32_e32 v16, v11
	s_waitcnt vmcnt(0)
	v_lshlrev_b32_e32 v12, 16, v5
	v_and_b32_e32 v10, 0xffff0000, v5
	v_pk_mul_f32 v[12:13], v[6:7], v[12:13] op_sel_hi:[1,0]
	v_pk_mul_f32 v[18:19], v[2:3], v[10:11]
	v_pk_fma_f32 v[6:7], v[6:7], v[8:9], v[12:13] op_sel:[0,0,1] op_sel_hi:[1,0,0]
	v_pk_mul_f32 v[4:5], v[4:5], v[10:11]
	v_mov_b32_e32 v6, v19
	v_pk_fma_f32 v[4:5], v[2:3], v[16:17], v[4:5] op_sel_hi:[1,0,1] neg_lo:[0,0,1] neg_hi:[0,0,1]
	v_pk_fma_f32 v[8:9], v[2:3], v[10:11], v[6:7]
	v_sub_f32_e32 v6, v14, v13
	v_mov_b32_e32 v2, v4
	v_mov_b32_e32 v3, v8
.LBB122_3:
	s_or_b64 exec, exec, s[0:1]
	s_mov_b32 s0, 0x7f800000
	v_and_b32_e32 v4, 0x7f800000, v6
	v_cmp_ne_u32_e32 vcc, s0, v4
                                        ; implicit-def: $vgpr4
	s_and_saveexec_b64 s[0:1], vcc
	s_xor_b64 s[0:1], exec, s[0:1]
; %bb.4:
	v_bfe_u32 v4, v6, 16, 1
	s_movk_i32 s2, 0x7fff
	v_add3_u32 v4, v6, v4, s2
; %bb.5:
	s_andn2_saveexec_b64 s[0:1], s[0:1]
; %bb.6:
	v_mov_b32_e32 v4, 0
	v_or_b32_e32 v5, 0x10000, v6
	v_cmp_eq_u32_sdwa vcc, v6, v4 src0_sel:WORD_0 src1_sel:DWORD
	v_cndmask_b32_e32 v4, v5, v6, vcc
; %bb.7:
	s_or_b64 exec, exec, s[0:1]
	s_mov_b32 s0, 0x7f800000
	v_and_b32_e32 v5, 0x7f800000, v7
	v_cmp_ne_u32_e32 vcc, s0, v5
                                        ; implicit-def: $vgpr5
	s_and_saveexec_b64 s[0:1], vcc
	s_xor_b64 s[0:1], exec, s[0:1]
; %bb.8:
	v_bfe_u32 v5, v7, 16, 1
	s_movk_i32 s2, 0x7fff
	v_add3_u32 v5, v7, v5, s2
                                        ; implicit-def: $vgpr7
; %bb.9:
	s_andn2_saveexec_b64 s[0:1], s[0:1]
; %bb.10:
	v_mov_b32_e32 v5, 0
	v_or_b32_e32 v6, 0x10000, v7
	v_cmp_eq_u32_sdwa vcc, v7, v5 src0_sel:WORD_0 src1_sel:DWORD
	v_cndmask_b32_e32 v5, v6, v7, vcc
; %bb.11:
	s_or_b64 exec, exec, s[0:1]
	s_mov_b32 s0, 0x7f800000
	v_and_b32_e32 v6, 0x7f800000, v2
	v_cmp_ne_u32_e32 vcc, s0, v6
                                        ; implicit-def: $vgpr6
	s_and_saveexec_b64 s[0:1], vcc
	s_xor_b64 s[0:1], exec, s[0:1]
; %bb.12:
	v_bfe_u32 v6, v2, 16, 1
	s_movk_i32 s2, 0x7fff
	v_add3_u32 v6, v2, v6, s2
; %bb.13:
	s_andn2_saveexec_b64 s[0:1], s[0:1]
; %bb.14:
	v_mov_b32_e32 v6, 0
	v_or_b32_e32 v7, 0x10000, v2
	v_cmp_eq_u32_sdwa vcc, v2, v6 src0_sel:WORD_0 src1_sel:DWORD
	v_cndmask_b32_e32 v6, v7, v2, vcc
; %bb.15:
	s_or_b64 exec, exec, s[0:1]
	s_mov_b32 s0, 0x7f800000
	v_and_b32_e32 v2, 0x7f800000, v3
	v_cmp_ne_u32_e32 vcc, s0, v2
                                        ; implicit-def: $vgpr2
	s_and_saveexec_b64 s[0:1], vcc
	s_xor_b64 s[0:1], exec, s[0:1]
; %bb.16:
	v_bfe_u32 v2, v3, 16, 1
	s_movk_i32 s2, 0x7fff
	v_add3_u32 v2, v3, v2, s2
                                        ; implicit-def: $vgpr3
; %bb.17:
	s_andn2_saveexec_b64 s[0:1], s[0:1]
; %bb.18:
	v_mov_b32_e32 v2, 0
	v_or_b32_e32 v7, 0x10000, v3
	v_cmp_eq_u32_sdwa vcc, v3, v2 src0_sel:WORD_0 src1_sel:DWORD
	v_cndmask_b32_e32 v2, v7, v3, vcc
; %bb.19:
	s_or_b64 exec, exec, s[0:1]
	v_lshrrev_b32_e32 v4, 16, v4
	s_mov_b32 s0, 0xffff0000
	v_and_b32_e32 v2, 0xffff0000, v2
	v_or_b32_sdwa v3, v2, v6 dst_sel:DWORD dst_unused:UNUSED_PAD src0_sel:DWORD src1_sel:WORD_1
	v_and_or_b32 v2, v5, s0, v4
	global_store_dwordx2 v[0:1], v[2:3], off
.LBB122_20:
	s_endpgm
	.section	.rodata,"a",@progbits
	.p2align	6, 0x0
	.amdhsa_kernel _ZN12tensorrt_llm7kernels21fusedQKNormRopeKernelIN3c108BFloat16ES3_Li128ELb1EEEvPviiifPKvS6_S6_PKlii
		.amdhsa_group_segment_fixed_size 0
		.amdhsa_private_segment_fixed_size 0
		.amdhsa_kernarg_size 320
		.amdhsa_user_sgpr_count 6
		.amdhsa_user_sgpr_private_segment_buffer 1
		.amdhsa_user_sgpr_dispatch_ptr 0
		.amdhsa_user_sgpr_queue_ptr 0
		.amdhsa_user_sgpr_kernarg_segment_ptr 1
		.amdhsa_user_sgpr_dispatch_id 0
		.amdhsa_user_sgpr_flat_scratch_init 0
		.amdhsa_user_sgpr_kernarg_preload_length 0
		.amdhsa_user_sgpr_kernarg_preload_offset 0
		.amdhsa_user_sgpr_private_segment_size 0
		.amdhsa_uses_dynamic_stack 0
		.amdhsa_system_sgpr_private_segment_wavefront_offset 0
		.amdhsa_system_sgpr_workgroup_id_x 1
		.amdhsa_system_sgpr_workgroup_id_y 0
		.amdhsa_system_sgpr_workgroup_id_z 0
		.amdhsa_system_sgpr_workgroup_info 0
		.amdhsa_system_vgpr_workitem_id 0
		.amdhsa_next_free_vgpr 20
		.amdhsa_next_free_sgpr 14
		.amdhsa_accum_offset 20
		.amdhsa_reserve_vcc 1
		.amdhsa_reserve_flat_scratch 0
		.amdhsa_float_round_mode_32 0
		.amdhsa_float_round_mode_16_64 0
		.amdhsa_float_denorm_mode_32 3
		.amdhsa_float_denorm_mode_16_64 3
		.amdhsa_dx10_clamp 1
		.amdhsa_ieee_mode 1
		.amdhsa_fp16_overflow 0
		.amdhsa_tg_split 0
		.amdhsa_exception_fp_ieee_invalid_op 0
		.amdhsa_exception_fp_denorm_src 0
		.amdhsa_exception_fp_ieee_div_zero 0
		.amdhsa_exception_fp_ieee_overflow 0
		.amdhsa_exception_fp_ieee_underflow 0
		.amdhsa_exception_fp_ieee_inexact 0
		.amdhsa_exception_int_div_zero 0
	.end_amdhsa_kernel
	.section	.text._ZN12tensorrt_llm7kernels21fusedQKNormRopeKernelIN3c108BFloat16ES3_Li128ELb1EEEvPviiifPKvS6_S6_PKlii,"axG",@progbits,_ZN12tensorrt_llm7kernels21fusedQKNormRopeKernelIN3c108BFloat16ES3_Li128ELb1EEEvPviiifPKvS6_S6_PKlii,comdat
.Lfunc_end122:
	.size	_ZN12tensorrt_llm7kernels21fusedQKNormRopeKernelIN3c108BFloat16ES3_Li128ELb1EEEvPviiifPKvS6_S6_PKlii, .Lfunc_end122-_ZN12tensorrt_llm7kernels21fusedQKNormRopeKernelIN3c108BFloat16ES3_Li128ELb1EEEvPviiifPKvS6_S6_PKlii
                                        ; -- End function
	.section	.AMDGPU.csdata,"",@progbits
; Kernel info:
; codeLenInByte = 1388
; NumSgprs: 18
; NumVgprs: 20
; NumAgprs: 0
; TotalNumVgprs: 20
; ScratchSize: 0
; MemoryBound: 0
; FloatMode: 240
; IeeeMode: 1
; LDSByteSize: 0 bytes/workgroup (compile time only)
; SGPRBlocks: 2
; VGPRBlocks: 2
; NumSGPRsForWavesPerEU: 18
; NumVGPRsForWavesPerEU: 20
; AccumOffset: 20
; Occupancy: 8
; WaveLimiterHint : 1
; COMPUTE_PGM_RSRC2:SCRATCH_EN: 0
; COMPUTE_PGM_RSRC2:USER_SGPR: 6
; COMPUTE_PGM_RSRC2:TRAP_HANDLER: 0
; COMPUTE_PGM_RSRC2:TGID_X_EN: 1
; COMPUTE_PGM_RSRC2:TGID_Y_EN: 0
; COMPUTE_PGM_RSRC2:TGID_Z_EN: 0
; COMPUTE_PGM_RSRC2:TIDIG_COMP_CNT: 0
; COMPUTE_PGM_RSRC3_GFX90A:ACCUM_OFFSET: 4
; COMPUTE_PGM_RSRC3_GFX90A:TG_SPLIT: 0
	.section	.text._ZN12tensorrt_llm7kernels21fusedQKNormRopeKernelIN3c108BFloat16ES3_Li128ELb0EEEvPviiifPKvS6_S6_PKlii,"axG",@progbits,_ZN12tensorrt_llm7kernels21fusedQKNormRopeKernelIN3c108BFloat16ES3_Li128ELb0EEEvPviiifPKvS6_S6_PKlii,comdat
	.protected	_ZN12tensorrt_llm7kernels21fusedQKNormRopeKernelIN3c108BFloat16ES3_Li128ELb0EEEvPviiifPKvS6_S6_PKlii ; -- Begin function _ZN12tensorrt_llm7kernels21fusedQKNormRopeKernelIN3c108BFloat16ES3_Li128ELb0EEEvPviiifPKvS6_S6_PKlii
	.globl	_ZN12tensorrt_llm7kernels21fusedQKNormRopeKernelIN3c108BFloat16ES3_Li128ELb0EEEvPviiifPKvS6_S6_PKlii
	.p2align	8
	.type	_ZN12tensorrt_llm7kernels21fusedQKNormRopeKernelIN3c108BFloat16ES3_Li128ELb0EEEvPviiifPKvS6_S6_PKlii,@function
_ZN12tensorrt_llm7kernels21fusedQKNormRopeKernelIN3c108BFloat16ES3_Li128ELb0EEEvPviiifPKvS6_S6_PKlii: ; @_ZN12tensorrt_llm7kernels21fusedQKNormRopeKernelIN3c108BFloat16ES3_Li128ELb0EEEvPviiifPKvS6_S6_PKlii
; %bb.0:
	s_load_dwordx4 s[8:11], s[4:5], 0x8
	s_load_dwordx2 s[12:13], s[4:5], 0x38
	s_load_dword s1, s[4:5], 0x4c
	v_lshrrev_b32_e32 v2, 5, v0
	s_waitcnt lgkmcnt(0)
	s_add_i32 s0, s9, s8
	s_abs_i32 s2, s0
	v_cvt_f32_u32_e32 v1, s2
	s_bfe_u32 s1, s1, 0xb0005
	s_mul_i32 s6, s6, s1
	s_sub_i32 s1, 0, s2
	v_rcp_iflag_f32_e32 v3, v1
	v_add_u32_e32 v1, s6, v2
	v_sub_u32_e32 v4, 0, v1
	v_max_i32_e32 v4, v1, v4
	v_mul_f32_e32 v3, 0x4f7ffffe, v3
	v_cvt_u32_f32_e32 v3, v3
	v_xor_b32_e32 v2, s0, v1
	v_ashrrev_i32_e32 v2, 31, v2
	v_mul_lo_u32 v5, s1, v3
	v_mul_hi_u32 v5, v3, v5
	v_add_u32_e32 v3, v3, v5
	v_mul_hi_u32 v3, v4, v3
	v_mul_lo_u32 v5, v3, s2
	v_sub_u32_e32 v4, v4, v5
	v_add_u32_e32 v5, 1, v3
	v_cmp_le_u32_e32 vcc, s2, v4
	v_cndmask_b32_e32 v3, v3, v5, vcc
	v_subrev_u32_e32 v5, s2, v4
	v_cndmask_b32_e32 v4, v4, v5, vcc
	v_add_u32_e32 v5, 1, v3
	v_cmp_le_u32_e32 vcc, s2, v4
	v_cndmask_b32_e32 v3, v3, v5, vcc
	v_xor_b32_e32 v3, v3, v2
	v_sub_u32_e32 v6, v3, v2
	v_cmp_gt_i32_e32 vcc, s12, v6
	s_and_saveexec_b64 s[2:3], vcc
	s_cbranch_execz .LBB123_20
; %bb.1:
	v_and_b32_e32 v8, 31, v0
	v_mul_lo_u32 v0, v6, s0
	v_sub_u32_e32 v0, v1, v0
	v_mov_b32_e32 v1, s8
	v_cmp_gt_i32_e32 vcc, s8, v0
	v_cndmask_b32_e64 v1, v1, 0, vcc
	s_add_i32 s0, s0, s10
	s_load_dwordx2 s[2:3], s[4:5], 0x0
	v_sub_u32_e32 v0, v0, v1
	v_mul_lo_u32 v2, v6, s0
	v_add3_u32 v0, v2, v1, v0
	v_lshlrev_b32_e32 v1, 2, v8
	v_lshl_or_b32 v0, v0, 7, v1
	v_ashrrev_i32_e32 v1, 31, v0
	v_lshlrev_b64 v[0:1], 1, v[0:1]
	s_waitcnt lgkmcnt(0)
	v_mov_b32_e32 v2, s3
	v_add_co_u32_e64 v4, s[0:1], s2, v0
	v_addc_co_u32_e64 v5, s[0:1], v2, v1, s[0:1]
	global_load_dwordx2 v[0:1], v[4:5], off
	s_load_dwordx8 s[0:7], s[4:5], 0x18
	v_lshlrev_b32_e32 v10, 3, v8
	v_mov_b32_e32 v11, s11
	s_waitcnt lgkmcnt(0)
	v_mov_b32_e32 v2, s3
	v_mov_b32_e32 v3, s1
	;; [unrolled: 1-line block ×4, first 2 shown]
	v_cndmask_b32_e32 v3, v2, v3, vcc
	v_cndmask_b32_e32 v2, v7, v9, vcc
	v_add_co_u32_e32 v2, vcc, v2, v10
	v_addc_co_u32_e32 v3, vcc, 0, v3, vcc
	global_load_dwordx2 v[2:3], v[2:3], off
	v_mbcnt_lo_u32_b32 v7, -1, 0
	v_mbcnt_hi_u32_b32 v9, -1, v7
	v_and_b32_e32 v7, 0x60, v9
	v_xor_b32_e32 v12, 16, v9
	v_add_u32_e32 v7, 32, v7
	v_cmp_lt_i32_e32 vcc, v12, v7
	v_cndmask_b32_e32 v12, v9, v12, vcc
	v_lshlrev_b32_e32 v12, 2, v12
	s_mov_b32 s0, 0x800000
	s_ashr_i32 s2, s13, 31
	s_lshr_b32 s1, s2, 30
	s_add_i32 s1, s13, s1
	s_ashr_i32 s1, s1, 2
	s_waitcnt vmcnt(1)
	v_and_b32_e32 v13, 0xffff0000, v0
	v_lshlrev_b32_e32 v14, 16, v0
	v_alignbit_b32 v0, v1, v0, 16
	v_and_b32_e32 v15, 0xffff0000, v1
	v_mul_f32_e32 v1, v13, v13
	v_and_b32_e32 v16, 0xffff0000, v0
	v_fmac_f32_e32 v1, v14, v14
	v_fmac_f32_e32 v1, v16, v16
	v_fmac_f32_e32 v1, v15, v15
	ds_bpermute_b32 v0, v12, v1
	v_xor_b32_e32 v12, 8, v9
	v_cmp_lt_i32_e32 vcc, v12, v7
	v_cndmask_b32_e32 v12, v9, v12, vcc
	v_lshlrev_b32_e32 v12, 2, v12
	s_waitcnt lgkmcnt(0)
	v_add_f32_e32 v0, v1, v0
	ds_bpermute_b32 v1, v12, v0
	v_xor_b32_e32 v12, 4, v9
	v_cmp_lt_i32_e32 vcc, v12, v7
	v_cndmask_b32_e32 v12, v9, v12, vcc
	v_lshlrev_b32_e32 v12, 2, v12
	s_waitcnt lgkmcnt(0)
	v_add_f32_e32 v0, v0, v1
	;; [unrolled: 7-line block ×4, first 2 shown]
	ds_bpermute_b32 v1, v7, v0
	s_waitcnt vmcnt(0)
	v_lshlrev_b32_e32 v7, 16, v2
	s_waitcnt lgkmcnt(0)
	v_add_f32_e32 v0, v0, v1
	v_fmac_f32_e32 v11, 0x3c000000, v0
	v_mul_f32_e32 v0, 0x4b800000, v11
	v_cmp_gt_f32_e32 vcc, s0, v11
	v_cndmask_b32_e32 v0, v11, v0, vcc
	v_rsq_f32_e32 v0, v0
	v_and_b32_e32 v1, 0xffff0000, v2
	v_lshlrev_b32_e32 v2, 16, v3
	v_and_b32_e32 v3, 0xffff0000, v3
	v_mul_f32_e32 v11, 0x45800000, v0
	v_cndmask_b32_e32 v0, v0, v11, vcc
	v_mul_f32_e32 v7, v0, v7
	v_mul_f32_e32 v1, v0, v1
	;; [unrolled: 1-line block ×8, first 2 shown]
	v_cmp_gt_i32_e32 vcc, s1, v8
	s_and_saveexec_b64 s[0:1], vcc
	s_cbranch_execz .LBB123_3
; %bb.2:
	v_ashrrev_i32_e32 v7, 31, v6
	v_lshlrev_b64 v[6:7], 3, v[6:7]
	v_mov_b32_e32 v11, s7
	v_add_co_u32_e32 v6, vcc, s6, v6
	v_addc_co_u32_e32 v7, vcc, v11, v7, vcc
	global_load_dwordx2 v[6:7], v[6:7], off
	v_mov_b32_e32 v11, s5
	s_abs_i32 s5, s13
	v_cvt_f32_u32_e32 v13, s5
	s_sub_i32 s8, 0, s5
	v_or_b32_e32 v12, 2, v10
	v_or_b32_e32 v14, 4, v10
	v_rcp_iflag_f32_e32 v13, v13
	s_lshr_b32 s3, s13, 31
	s_add_i32 s3, s13, s3
	s_ashr_i32 s6, s3, 1
	v_mul_f32_e32 v13, 0x4f7ffffe, v13
	v_cvt_u32_f32_e32 v13, v13
	s_ashr_i32 s7, s6, 31
	s_lshl_b64 s[6:7], s[6:7], 1
	v_mov_b32_e32 v15, s7
	v_mul_lo_u32 v16, s8, v13
	v_mul_hi_u32 v16, v13, v16
	v_add_u32_e32 v22, v13, v16
	v_mul_hi_u32 v13, v10, v22
	v_mul_hi_u32 v16, v12, v22
	v_mul_lo_u32 v13, v13, s5
	v_mul_hi_u32 v17, v14, v22
	v_mul_lo_u32 v16, v16, s5
	v_sub_u32_e32 v13, v10, v13
	v_mul_lo_u32 v17, v17, s5
	v_sub_u32_e32 v12, v12, v16
	v_subrev_u32_e32 v16, s5, v13
	v_cmp_le_u32_e32 vcc, s5, v13
	v_sub_u32_e32 v14, v14, v17
	v_subrev_u32_e32 v17, s5, v12
	v_cndmask_b32_e32 v13, v13, v16, vcc
	v_cmp_le_u32_e32 vcc, s5, v12
	v_subrev_u32_e32 v18, s5, v14
	v_cndmask_b32_e32 v12, v12, v17, vcc
	v_cmp_le_u32_e32 vcc, s5, v14
	v_cndmask_b32_e32 v14, v14, v18, vcc
	v_subrev_u32_e32 v16, s5, v13
	v_cmp_le_u32_e32 vcc, s5, v13
	v_subrev_u32_e32 v17, s5, v12
	v_cndmask_b32_e32 v13, v13, v16, vcc
	v_cmp_le_u32_e32 vcc, s5, v12
	v_cndmask_b32_e32 v12, v12, v17, vcc
	v_and_b32_e32 v16, -2, v13
	v_and_b32_e32 v17, -2, v12
	v_subrev_u32_e32 v18, s5, v14
	v_cmp_le_u32_e32 vcc, s5, v14
	v_cndmask_b32_e32 v14, v14, v18, vcc
	v_and_b32_e32 v20, -2, v14
	v_or_b32_e32 v10, 6, v10
	v_mul_hi_u32 v22, v10, v22
	v_mul_lo_u32 v22, v22, s5
	v_sub_u32_e32 v10, v10, v22
	v_subrev_u32_e32 v22, s5, v10
	; wave barrier
	s_waitcnt vmcnt(0)
	v_mul_lo_u32 v12, v7, s13
	v_mul_lo_u32 v13, v6, s2
	v_mad_u64_u32 v[6:7], s[8:9], v6, s13, 0
	v_add3_u32 v7, v7, v13, v12
	v_lshlrev_b64 v[6:7], 1, v[6:7]
	v_add_co_u32_e32 v23, vcc, s4, v6
	v_addc_co_u32_e32 v11, vcc, v11, v7, vcc
	v_add_co_u32_e32 v24, vcc, s6, v23
	v_addc_co_u32_e32 v25, vcc, v11, v15, vcc
	;; [unrolled: 2-line block ×8, first 2 shown]
	v_cmp_le_u32_e32 vcc, s5, v10
	v_cndmask_b32_e32 v10, v10, v22, vcc
	v_subrev_u32_e32 v22, s5, v10
	v_cmp_le_u32_e32 vcc, s5, v10
	v_cndmask_b32_e32 v10, v10, v22, vcc
	v_and_b32_e32 v22, -2, v10
	v_add_co_u32_e32 v10, vcc, v23, v22
	v_addc_co_u32_e32 v11, vcc, 0, v11, vcc
	v_add_co_u32_e32 v22, vcc, v24, v22
	v_addc_co_u32_e32 v23, vcc, 0, v25, vcc
	global_load_ushort v24, v[6:7], off
	global_load_ushort v25, v[14:15], off
	;; [unrolled: 1-line block ×8, first 2 shown]
	s_lshr_b32 s2, s2, 29
	s_add_i32 s2, s13, s2
	v_and_b32_e32 v6, 64, v9
	s_ashr_i32 s2, s2, 3
	v_add_u32_e32 v6, 64, v6
	v_xor_b32_e32 v7, s2, v9
	v_cmp_lt_i32_e32 vcc, v7, v6
	v_cndmask_b32_e32 v6, v9, v7, vcc
	v_lshlrev_b32_e32 v6, 2, v6
	ds_bpermute_b32 v7, v6, v0
	ds_bpermute_b32 v9, v6, v1
	;; [unrolled: 1-line block ×4, first 2 shown]
	v_cmp_gt_i32_e32 vcc, s2, v8
	s_waitcnt lgkmcnt(3)
	v_cndmask_b32_e64 v7, v7, -v7, vcc
	s_waitcnt lgkmcnt(2)
	v_cndmask_b32_e64 v8, v9, -v9, vcc
	;; [unrolled: 2-line block ×4, first 2 shown]
	; wave barrier
	s_waitcnt vmcnt(7)
	v_lshlrev_b32_e32 v11, 16, v24
	s_waitcnt vmcnt(6)
	v_lshlrev_b32_e32 v6, 16, v25
	;; [unrolled: 2-line block ×4, first 2 shown]
	v_mul_f32_e32 v6, v7, v6
	s_waitcnt vmcnt(2)
	v_lshlrev_b32_e32 v15, 16, v29
	v_mul_f32_e32 v7, v8, v13
	s_waitcnt vmcnt(0)
	v_lshlrev_b32_e32 v17, 16, v31
	v_lshlrev_b32_e32 v14, 16, v28
	v_lshlrev_b32_e32 v16, 16, v30
	v_mul_f32_e32 v8, v9, v15
	v_mul_f32_e32 v9, v10, v17
	v_fmac_f32_e32 v6, v0, v11
	v_fmac_f32_e32 v7, v1, v12
	;; [unrolled: 1-line block ×4, first 2 shown]
	v_pk_mov_b32 v[0:1], v[6:7], v[6:7] op_sel:[0,1]
	v_pk_mov_b32 v[2:3], v[8:9], v[8:9] op_sel:[0,1]
.LBB123_3:
	s_or_b64 exec, exec, s[0:1]
	s_mov_b32 s0, 0x7f800000
	v_and_b32_e32 v6, 0x7f800000, v0
	v_cmp_ne_u32_e32 vcc, s0, v6
                                        ; implicit-def: $vgpr6
	s_and_saveexec_b64 s[0:1], vcc
	s_xor_b64 s[0:1], exec, s[0:1]
; %bb.4:
	v_bfe_u32 v6, v0, 16, 1
	s_movk_i32 s2, 0x7fff
	v_add3_u32 v6, v0, v6, s2
; %bb.5:
	s_andn2_saveexec_b64 s[0:1], s[0:1]
; %bb.6:
	v_mov_b32_e32 v6, 0
	v_or_b32_e32 v7, 0x10000, v0
	v_cmp_eq_u32_sdwa vcc, v0, v6 src0_sel:WORD_0 src1_sel:DWORD
	v_cndmask_b32_e32 v6, v7, v0, vcc
; %bb.7:
	s_or_b64 exec, exec, s[0:1]
	s_mov_b32 s0, 0x7f800000
	v_and_b32_e32 v0, 0x7f800000, v1
	v_cmp_ne_u32_e32 vcc, s0, v0
                                        ; implicit-def: $vgpr7
	s_and_saveexec_b64 s[0:1], vcc
	s_xor_b64 s[0:1], exec, s[0:1]
; %bb.8:
	v_bfe_u32 v0, v1, 16, 1
	s_movk_i32 s2, 0x7fff
	v_add3_u32 v7, v1, v0, s2
; %bb.9:
	s_andn2_saveexec_b64 s[0:1], s[0:1]
; %bb.10:
	v_mov_b32_e32 v0, 0
	v_or_b32_e32 v7, 0x10000, v1
	v_cmp_eq_u32_sdwa vcc, v1, v0 src0_sel:WORD_0 src1_sel:DWORD
	v_cndmask_b32_e32 v7, v7, v1, vcc
; %bb.11:
	s_or_b64 exec, exec, s[0:1]
	s_mov_b32 s0, 0x7f800000
	v_and_b32_e32 v0, 0x7f800000, v2
	v_cmp_ne_u32_e32 vcc, s0, v0
                                        ; implicit-def: $vgpr8
	s_and_saveexec_b64 s[0:1], vcc
	s_xor_b64 s[0:1], exec, s[0:1]
; %bb.12:
	v_bfe_u32 v0, v2, 16, 1
	s_movk_i32 s2, 0x7fff
	v_add3_u32 v8, v2, v0, s2
; %bb.13:
	s_andn2_saveexec_b64 s[0:1], s[0:1]
; %bb.14:
	v_mov_b32_e32 v0, 0
	v_or_b32_e32 v1, 0x10000, v2
	v_cmp_eq_u32_sdwa vcc, v2, v0 src0_sel:WORD_0 src1_sel:DWORD
	v_cndmask_b32_e32 v8, v1, v2, vcc
; %bb.15:
	s_or_b64 exec, exec, s[0:1]
	s_mov_b32 s0, 0x7f800000
	v_and_b32_e32 v0, 0x7f800000, v3
	v_cmp_ne_u32_e32 vcc, s0, v0
                                        ; implicit-def: $vgpr9
	s_and_saveexec_b64 s[0:1], vcc
	s_xor_b64 s[0:1], exec, s[0:1]
; %bb.16:
	v_bfe_u32 v0, v3, 16, 1
	s_movk_i32 s2, 0x7fff
	v_add3_u32 v9, v3, v0, s2
                                        ; implicit-def: $vgpr0_vgpr1_vgpr2_vgpr3
; %bb.17:
	s_andn2_saveexec_b64 s[0:1], s[0:1]
; %bb.18:
	v_mov_b32_e32 v0, 0
	v_or_b32_e32 v1, 0x10000, v3
	v_cmp_eq_u32_sdwa vcc, v3, v0 src0_sel:WORD_0 src1_sel:DWORD
	v_cndmask_b32_e32 v9, v1, v3, vcc
; %bb.19:
	s_or_b64 exec, exec, s[0:1]
	v_lshrrev_b32_e32 v0, 16, v6
	s_mov_b32 s0, 0xffff0000
	v_and_b32_e32 v1, 0xffff0000, v9
	v_or_b32_sdwa v1, v1, v8 dst_sel:DWORD dst_unused:UNUSED_PAD src0_sel:DWORD src1_sel:WORD_1
	v_and_or_b32 v0, v7, s0, v0
	global_store_dwordx2 v[4:5], v[0:1], off
.LBB123_20:
	s_endpgm
	.section	.rodata,"a",@progbits
	.p2align	6, 0x0
	.amdhsa_kernel _ZN12tensorrt_llm7kernels21fusedQKNormRopeKernelIN3c108BFloat16ES3_Li128ELb0EEEvPviiifPKvS6_S6_PKlii
		.amdhsa_group_segment_fixed_size 0
		.amdhsa_private_segment_fixed_size 0
		.amdhsa_kernarg_size 320
		.amdhsa_user_sgpr_count 6
		.amdhsa_user_sgpr_private_segment_buffer 1
		.amdhsa_user_sgpr_dispatch_ptr 0
		.amdhsa_user_sgpr_queue_ptr 0
		.amdhsa_user_sgpr_kernarg_segment_ptr 1
		.amdhsa_user_sgpr_dispatch_id 0
		.amdhsa_user_sgpr_flat_scratch_init 0
		.amdhsa_user_sgpr_kernarg_preload_length 0
		.amdhsa_user_sgpr_kernarg_preload_offset 0
		.amdhsa_user_sgpr_private_segment_size 0
		.amdhsa_uses_dynamic_stack 0
		.amdhsa_system_sgpr_private_segment_wavefront_offset 0
		.amdhsa_system_sgpr_workgroup_id_x 1
		.amdhsa_system_sgpr_workgroup_id_y 0
		.amdhsa_system_sgpr_workgroup_id_z 0
		.amdhsa_system_sgpr_workgroup_info 0
		.amdhsa_system_vgpr_workitem_id 0
		.amdhsa_next_free_vgpr 32
		.amdhsa_next_free_sgpr 14
		.amdhsa_accum_offset 32
		.amdhsa_reserve_vcc 1
		.amdhsa_reserve_flat_scratch 0
		.amdhsa_float_round_mode_32 0
		.amdhsa_float_round_mode_16_64 0
		.amdhsa_float_denorm_mode_32 3
		.amdhsa_float_denorm_mode_16_64 3
		.amdhsa_dx10_clamp 1
		.amdhsa_ieee_mode 1
		.amdhsa_fp16_overflow 0
		.amdhsa_tg_split 0
		.amdhsa_exception_fp_ieee_invalid_op 0
		.amdhsa_exception_fp_denorm_src 0
		.amdhsa_exception_fp_ieee_div_zero 0
		.amdhsa_exception_fp_ieee_overflow 0
		.amdhsa_exception_fp_ieee_underflow 0
		.amdhsa_exception_fp_ieee_inexact 0
		.amdhsa_exception_int_div_zero 0
	.end_amdhsa_kernel
	.section	.text._ZN12tensorrt_llm7kernels21fusedQKNormRopeKernelIN3c108BFloat16ES3_Li128ELb0EEEvPviiifPKvS6_S6_PKlii,"axG",@progbits,_ZN12tensorrt_llm7kernels21fusedQKNormRopeKernelIN3c108BFloat16ES3_Li128ELb0EEEvPviiifPKvS6_S6_PKlii,comdat
.Lfunc_end123:
	.size	_ZN12tensorrt_llm7kernels21fusedQKNormRopeKernelIN3c108BFloat16ES3_Li128ELb0EEEvPviiifPKvS6_S6_PKlii, .Lfunc_end123-_ZN12tensorrt_llm7kernels21fusedQKNormRopeKernelIN3c108BFloat16ES3_Li128ELb0EEEvPviiifPKvS6_S6_PKlii
                                        ; -- End function
	.section	.AMDGPU.csdata,"",@progbits
; Kernel info:
; codeLenInByte = 1844
; NumSgprs: 18
; NumVgprs: 32
; NumAgprs: 0
; TotalNumVgprs: 32
; ScratchSize: 0
; MemoryBound: 0
; FloatMode: 240
; IeeeMode: 1
; LDSByteSize: 0 bytes/workgroup (compile time only)
; SGPRBlocks: 2
; VGPRBlocks: 3
; NumSGPRsForWavesPerEU: 18
; NumVGPRsForWavesPerEU: 32
; AccumOffset: 32
; Occupancy: 8
; WaveLimiterHint : 1
; COMPUTE_PGM_RSRC2:SCRATCH_EN: 0
; COMPUTE_PGM_RSRC2:USER_SGPR: 6
; COMPUTE_PGM_RSRC2:TRAP_HANDLER: 0
; COMPUTE_PGM_RSRC2:TGID_X_EN: 1
; COMPUTE_PGM_RSRC2:TGID_Y_EN: 0
; COMPUTE_PGM_RSRC2:TGID_Z_EN: 0
; COMPUTE_PGM_RSRC2:TIDIG_COMP_CNT: 0
; COMPUTE_PGM_RSRC3_GFX90A:ACCUM_OFFSET: 7
; COMPUTE_PGM_RSRC3_GFX90A:TG_SPLIT: 0
	.section	.text._ZN12tensorrt_llm7kernels21fusedQKNormRopeKernelIN3c108BFloat16ES3_Li256ELb1EEEvPviiifPKvS6_S6_PKlii,"axG",@progbits,_ZN12tensorrt_llm7kernels21fusedQKNormRopeKernelIN3c108BFloat16ES3_Li256ELb1EEEvPviiifPKvS6_S6_PKlii,comdat
	.protected	_ZN12tensorrt_llm7kernels21fusedQKNormRopeKernelIN3c108BFloat16ES3_Li256ELb1EEEvPviiifPKvS6_S6_PKlii ; -- Begin function _ZN12tensorrt_llm7kernels21fusedQKNormRopeKernelIN3c108BFloat16ES3_Li256ELb1EEEvPviiifPKvS6_S6_PKlii
	.globl	_ZN12tensorrt_llm7kernels21fusedQKNormRopeKernelIN3c108BFloat16ES3_Li256ELb1EEEvPviiifPKvS6_S6_PKlii
	.p2align	8
	.type	_ZN12tensorrt_llm7kernels21fusedQKNormRopeKernelIN3c108BFloat16ES3_Li256ELb1EEEvPviiifPKvS6_S6_PKlii,@function
_ZN12tensorrt_llm7kernels21fusedQKNormRopeKernelIN3c108BFloat16ES3_Li256ELb1EEEvPviiifPKvS6_S6_PKlii: ; @_ZN12tensorrt_llm7kernels21fusedQKNormRopeKernelIN3c108BFloat16ES3_Li256ELb1EEEvPviiifPKvS6_S6_PKlii
; %bb.0:
	s_load_dwordx4 s[8:11], s[4:5], 0x8
	s_load_dwordx2 s[12:13], s[4:5], 0x38
	s_load_dword s1, s[4:5], 0x4c
	v_lshrrev_b32_e32 v2, 5, v0
	s_waitcnt lgkmcnt(0)
	s_add_i32 s0, s9, s8
	s_abs_i32 s2, s0
	v_cvt_f32_u32_e32 v1, s2
	s_bfe_u32 s1, s1, 0xb0005
	s_mul_i32 s6, s6, s1
	s_sub_i32 s1, 0, s2
	v_rcp_iflag_f32_e32 v3, v1
	v_add_u32_e32 v1, s6, v2
	v_sub_u32_e32 v4, 0, v1
	v_max_i32_e32 v4, v1, v4
	v_mul_f32_e32 v3, 0x4f7ffffe, v3
	v_cvt_u32_f32_e32 v3, v3
	v_xor_b32_e32 v2, s0, v1
	v_ashrrev_i32_e32 v2, 31, v2
	v_mul_lo_u32 v5, s1, v3
	v_mul_hi_u32 v5, v3, v5
	v_add_u32_e32 v3, v3, v5
	v_mul_hi_u32 v3, v4, v3
	v_mul_lo_u32 v5, v3, s2
	v_sub_u32_e32 v4, v4, v5
	v_add_u32_e32 v5, 1, v3
	v_cmp_le_u32_e32 vcc, s2, v4
	v_cndmask_b32_e32 v3, v3, v5, vcc
	v_subrev_u32_e32 v5, s2, v4
	v_cndmask_b32_e32 v4, v4, v5, vcc
	v_add_u32_e32 v5, 1, v3
	v_cmp_le_u32_e32 vcc, s2, v4
	v_cndmask_b32_e32 v3, v3, v5, vcc
	v_xor_b32_e32 v3, v3, v2
	v_sub_u32_e32 v8, v3, v2
	v_cmp_gt_i32_e32 vcc, s12, v8
	s_and_saveexec_b64 s[2:3], vcc
	s_cbranch_execz .LBB124_36
; %bb.1:
	v_and_b32_e32 v9, 31, v0
	v_mul_lo_u32 v0, v8, s0
	v_sub_u32_e32 v0, v1, v0
	v_mov_b32_e32 v1, s8
	v_cmp_gt_i32_e32 vcc, s8, v0
	v_cndmask_b32_e64 v1, v1, 0, vcc
	s_add_i32 s0, s0, s10
	s_load_dwordx2 s[2:3], s[4:5], 0x0
	v_sub_u32_e32 v0, v0, v1
	v_mul_lo_u32 v2, v8, s0
	v_add3_u32 v0, v2, v1, v0
	v_lshlrev_b32_e32 v12, 3, v9
	v_lshl_or_b32 v0, v0, 8, v12
	v_ashrrev_i32_e32 v1, 31, v0
	v_lshlrev_b64 v[0:1], 1, v[0:1]
	s_waitcnt lgkmcnt(0)
	v_mov_b32_e32 v2, s3
	v_add_co_u32_e64 v4, s[0:1], s2, v0
	v_addc_co_u32_e64 v5, s[0:1], v2, v1, s[0:1]
	global_load_dwordx4 v[14:17], v[4:5], off
	s_load_dwordx8 s[0:7], s[4:5], 0x18
	v_lshlrev_b32_e32 v0, 4, v9
	v_mov_b32_e32 v13, s11
	s_waitcnt lgkmcnt(0)
	v_mov_b32_e32 v1, s3
	v_mov_b32_e32 v2, s1
	;; [unrolled: 1-line block ×4, first 2 shown]
	v_cndmask_b32_e32 v1, v1, v2, vcc
	v_cndmask_b32_e32 v2, v3, v6, vcc
	v_add_co_u32_e32 v0, vcc, v2, v0
	v_addc_co_u32_e32 v1, vcc, 0, v1, vcc
	global_load_dwordx4 v[0:3], v[0:1], off
	v_mbcnt_lo_u32_b32 v6, -1, 0
	v_mbcnt_hi_u32_b32 v26, -1, v6
	v_and_b32_e32 v6, 0x60, v26
	v_xor_b32_e32 v7, 16, v26
	v_add_u32_e32 v30, 32, v6
	v_cmp_lt_i32_e32 vcc, v7, v30
	v_cndmask_b32_e32 v6, v26, v7, vcc
	v_lshlrev_b32_e32 v31, 2, v6
	v_xor_b32_e32 v27, 8, v26
	v_cmp_lt_i32_e32 vcc, v27, v30
	v_xor_b32_e32 v28, 4, v26
	v_xor_b32_e32 v29, 2, v26
	s_mov_b32 s0, 0x800000
	s_ashr_i32 s2, s13, 31
	s_lshr_b32 s1, s2, 29
	s_add_i32 s1, s13, s1
	s_ashr_i32 s1, s1, 3
	s_waitcnt vmcnt(1)
	v_and_b32_e32 v7, 0xffff0000, v14
	v_lshlrev_b32_e32 v6, 16, v14
	v_and_b32_e32 v19, 0xffff0000, v17
	v_lshlrev_b32_e32 v18, 16, v17
	;; [unrolled: 2-line block ×4, first 2 shown]
	v_pk_mul_f32 v[16:17], v[6:7], v[6:7]
	v_pk_mul_f32 v[22:23], v[20:21], v[20:21]
	v_add_f32_e32 v16, v16, v17
	v_add_f32_e32 v16, v16, v22
	v_pk_mul_f32 v[24:25], v[14:15], v[14:15]
	v_add_f32_e32 v16, v16, v23
	v_add_f32_e32 v16, v16, v24
	;; [unrolled: 3-line block ×3, first 2 shown]
	v_add_f32_e32 v10, v10, v11
	ds_bpermute_b32 v11, v31, v10
	v_cndmask_b32_e32 v17, v26, v27, vcc
	v_lshlrev_b32_e32 v17, 2, v17
	v_cmp_lt_i32_e32 vcc, v28, v30
	v_xor_b32_e32 v16, 1, v26
	s_waitcnt lgkmcnt(0)
	v_add_f32_e32 v10, v10, v11
	ds_bpermute_b32 v11, v17, v10
	v_cndmask_b32_e32 v17, v26, v28, vcc
	v_lshlrev_b32_e32 v17, 2, v17
	v_cmp_lt_i32_e32 vcc, v29, v30
	s_waitcnt lgkmcnt(0)
	v_add_f32_e32 v10, v10, v11
	ds_bpermute_b32 v11, v17, v10
	v_cndmask_b32_e32 v17, v26, v29, vcc
	v_lshlrev_b32_e32 v17, 2, v17
	v_cmp_lt_i32_e32 vcc, v16, v30
	s_waitcnt lgkmcnt(0)
	v_add_f32_e32 v10, v10, v11
	ds_bpermute_b32 v17, v17, v10
	v_cndmask_b32_e32 v11, v26, v16, vcc
	v_lshlrev_b32_e32 v16, 2, v11
	s_waitcnt vmcnt(0)
	v_and_b32_e32 v11, 0xffff0000, v0
	s_waitcnt lgkmcnt(0)
	v_add_f32_e32 v22, v10, v17
	ds_bpermute_b32 v23, v16, v22
	v_lshlrev_b32_e32 v10, 16, v0
	v_and_b32_e32 v17, 0xffff0000, v1
	v_lshlrev_b32_e32 v16, 16, v1
	v_and_b32_e32 v1, 0xffff0000, v2
	s_waitcnt lgkmcnt(0)
	v_add_f32_e32 v0, v22, v23
	v_fmac_f32_e32 v13, 0x3b800000, v0
	v_mul_f32_e32 v0, 0x4b800000, v13
	v_cmp_gt_f32_e32 vcc, s0, v13
	v_cndmask_b32_e32 v0, v13, v0, vcc
	v_rsq_f32_e32 v13, v0
	v_lshlrev_b32_e32 v0, 16, v2
	v_and_b32_e32 v23, 0xffff0000, v3
	v_lshlrev_b32_e32 v22, 16, v3
	v_mul_f32_e32 v2, 0x45800000, v13
	v_cndmask_b32_e32 v2, v13, v2, vcc
	v_pk_mul_f32 v[10:11], v[2:3], v[10:11] op_sel_hi:[0,1]
	v_pk_mul_f32 v[16:17], v[2:3], v[16:17] op_sel_hi:[0,1]
	;; [unrolled: 1-line block ×4, first 2 shown]
	v_pk_mul_f32 v[10:11], v[10:11], v[6:7]
	v_pk_mul_f32 v[6:7], v[16:17], v[20:21]
	;; [unrolled: 1-line block ×4, first 2 shown]
	v_cmp_gt_i32_e32 vcc, s1, v9
	s_and_saveexec_b64 s[0:1], vcc
	s_cbranch_execz .LBB124_3
; %bb.2:
	v_ashrrev_i32_e32 v9, 31, v8
	v_lshlrev_b64 v[8:9], 3, v[8:9]
	v_mov_b32_e32 v13, s7
	v_add_co_u32_e32 v8, vcc, s6, v8
	v_addc_co_u32_e32 v9, vcc, v13, v9, vcc
	global_load_dwordx2 v[8:9], v[8:9], off
	s_lshr_b32 s3, s13, 31
	s_add_i32 s3, s13, s3
	s_ashr_i32 s6, s3, 1
	v_mov_b32_e32 v13, s5
	s_ashr_i32 s7, s6, 31
	s_lshl_b64 s[6:7], s[6:7], 1
	v_mov_b32_e32 v14, s7
	s_waitcnt vmcnt(0)
	v_mul_lo_u32 v15, v9, s13
	v_mul_lo_u32 v16, v8, s2
	v_mad_u64_u32 v[8:9], s[2:3], v8, s13, 0
	v_add3_u32 v9, v9, v16, v15
	v_lshlrev_b64 v[8:9], 1, v[8:9]
	v_add_co_u32_e32 v8, vcc, s4, v8
	v_addc_co_u32_e32 v9, vcc, v13, v9, vcc
	v_add_co_u32_e32 v8, vcc, v8, v12
	v_addc_co_u32_e32 v9, vcc, 0, v9, vcc
	global_load_dwordx2 v[12:13], v[8:9], off
	v_add_co_u32_e32 v8, vcc, s6, v8
	v_addc_co_u32_e32 v9, vcc, v9, v14, vcc
	global_load_dwordx2 v[8:9], v[8:9], off
	v_mov_b32_e32 v14, v1
	s_waitcnt vmcnt(1)
	v_lshlrev_b32_e32 v16, 16, v12
	v_and_b32_e32 v12, 0xffff0000, v12
	v_lshlrev_b32_e32 v18, 16, v13
	v_and_b32_e32 v21, 0xffff0000, v13
	v_pk_mul_f32 v[24:25], v[10:11], v[16:17] op_sel_hi:[1,0]
	s_waitcnt vmcnt(0)
	v_lshlrev_b32_e32 v22, 16, v8
	v_and_b32_e32 v8, 0xffff0000, v8
	v_lshlrev_b32_e32 v26, 16, v9
	v_and_b32_e32 v20, 0xffff0000, v9
	v_pk_mul_f32 v[22:23], v[10:11], v[22:23] op_sel_hi:[1,0]
	v_pk_mul_f32 v[8:9], v[6:7], v[8:9] op_sel_hi:[1,0]
	;; [unrolled: 1-line block ×3, first 2 shown]
	v_pk_mul_f32 v[30:31], v[0:1], v[20:21]
	v_pk_fma_f32 v[10:11], v[10:11], v[16:17], v[22:23] op_sel:[0,0,1] op_sel_hi:[1,0,0]
	v_pk_fma_f32 v[16:17], v[6:7], v[12:13], v[8:9] op_sel:[0,0,1] op_sel_hi:[1,0,0] neg_lo:[0,0,1] neg_hi:[0,0,1]
	v_pk_fma_f32 v[6:7], v[6:7], v[12:13], v[8:9] op_sel:[0,0,1] op_sel_hi:[1,0,0]
	v_pk_fma_f32 v[8:9], v[2:3], v[18:19], v[26:27] op_sel:[0,0,1] op_sel_hi:[1,0,0] neg_lo:[0,0,1] neg_hi:[0,0,1]
	v_pk_fma_f32 v[2:3], v[2:3], v[18:19], v[26:27] op_sel:[0,0,1] op_sel_hi:[1,0,0]
	v_mov_b32_e32 v28, v21
	v_pk_mul_f32 v[14:15], v[14:15], v[20:21]
	v_mov_b32_e32 v2, v31
	v_pk_fma_f32 v[12:13], v[0:1], v[28:29], v[14:15] op_sel_hi:[1,0,1] neg_lo:[0,0,1] neg_hi:[0,0,1]
	v_pk_fma_f32 v[14:15], v[0:1], v[20:21], v[2:3]
	v_sub_f32_e32 v10, v24, v23
	v_mov_b32_e32 v6, v16
	v_mov_b32_e32 v2, v8
	;; [unrolled: 1-line block ×4, first 2 shown]
.LBB124_3:
	s_or_b64 exec, exec, s[0:1]
	s_mov_b32 s0, 0x7f800000
	v_and_b32_e32 v8, 0x7f800000, v10
	v_cmp_ne_u32_e32 vcc, s0, v8
                                        ; implicit-def: $vgpr8
	s_and_saveexec_b64 s[0:1], vcc
	s_xor_b64 s[0:1], exec, s[0:1]
; %bb.4:
	v_bfe_u32 v8, v10, 16, 1
	s_movk_i32 s2, 0x7fff
	v_add3_u32 v8, v10, v8, s2
; %bb.5:
	s_andn2_saveexec_b64 s[0:1], s[0:1]
; %bb.6:
	v_mov_b32_e32 v8, 0
	v_or_b32_e32 v9, 0x10000, v10
	v_cmp_eq_u32_sdwa vcc, v10, v8 src0_sel:WORD_0 src1_sel:DWORD
	v_cndmask_b32_e32 v8, v9, v10, vcc
; %bb.7:
	s_or_b64 exec, exec, s[0:1]
	s_mov_b32 s0, 0x7f800000
	v_and_b32_e32 v9, 0x7f800000, v11
	v_cmp_ne_u32_e32 vcc, s0, v9
                                        ; implicit-def: $vgpr9
	s_and_saveexec_b64 s[0:1], vcc
	s_xor_b64 s[0:1], exec, s[0:1]
; %bb.8:
	v_bfe_u32 v9, v11, 16, 1
	s_movk_i32 s2, 0x7fff
	v_add3_u32 v9, v11, v9, s2
                                        ; implicit-def: $vgpr11
; %bb.9:
	s_andn2_saveexec_b64 s[0:1], s[0:1]
; %bb.10:
	v_mov_b32_e32 v9, 0
	v_or_b32_e32 v10, 0x10000, v11
	v_cmp_eq_u32_sdwa vcc, v11, v9 src0_sel:WORD_0 src1_sel:DWORD
	v_cndmask_b32_e32 v9, v10, v11, vcc
; %bb.11:
	s_or_b64 exec, exec, s[0:1]
	s_mov_b32 s0, 0x7f800000
	v_and_b32_e32 v10, 0x7f800000, v6
	v_cmp_ne_u32_e32 vcc, s0, v10
                                        ; implicit-def: $vgpr10
	s_and_saveexec_b64 s[0:1], vcc
	s_xor_b64 s[0:1], exec, s[0:1]
; %bb.12:
	v_bfe_u32 v10, v6, 16, 1
	s_movk_i32 s2, 0x7fff
	v_add3_u32 v10, v6, v10, s2
; %bb.13:
	s_andn2_saveexec_b64 s[0:1], s[0:1]
; %bb.14:
	v_mov_b32_e32 v10, 0
	v_or_b32_e32 v11, 0x10000, v6
	v_cmp_eq_u32_sdwa vcc, v6, v10 src0_sel:WORD_0 src1_sel:DWORD
	v_cndmask_b32_e32 v10, v11, v6, vcc
; %bb.15:
	s_or_b64 exec, exec, s[0:1]
	s_mov_b32 s0, 0x7f800000
	v_and_b32_e32 v6, 0x7f800000, v7
	v_cmp_ne_u32_e32 vcc, s0, v6
                                        ; implicit-def: $vgpr6
	s_and_saveexec_b64 s[0:1], vcc
	s_xor_b64 s[0:1], exec, s[0:1]
; %bb.16:
	v_bfe_u32 v6, v7, 16, 1
	s_movk_i32 s2, 0x7fff
	v_add3_u32 v6, v7, v6, s2
                                        ; implicit-def: $vgpr7
; %bb.17:
	s_andn2_saveexec_b64 s[0:1], s[0:1]
; %bb.18:
	v_mov_b32_e32 v6, 0
	v_or_b32_e32 v11, 0x10000, v7
	v_cmp_eq_u32_sdwa vcc, v7, v6 src0_sel:WORD_0 src1_sel:DWORD
	v_cndmask_b32_e32 v6, v11, v7, vcc
; %bb.19:
	s_or_b64 exec, exec, s[0:1]
	s_mov_b32 s0, 0x7f800000
	v_and_b32_e32 v7, 0x7f800000, v2
	v_cmp_ne_u32_e32 vcc, s0, v7
                                        ; implicit-def: $vgpr7
	s_and_saveexec_b64 s[0:1], vcc
	s_xor_b64 s[0:1], exec, s[0:1]
; %bb.20:
	v_bfe_u32 v7, v2, 16, 1
	s_movk_i32 s2, 0x7fff
	v_add3_u32 v7, v2, v7, s2
; %bb.21:
	s_andn2_saveexec_b64 s[0:1], s[0:1]
; %bb.22:
	v_mov_b32_e32 v7, 0
	v_or_b32_e32 v11, 0x10000, v2
	v_cmp_eq_u32_sdwa vcc, v2, v7 src0_sel:WORD_0 src1_sel:DWORD
	v_cndmask_b32_e32 v7, v11, v2, vcc
; %bb.23:
	s_or_b64 exec, exec, s[0:1]
	s_mov_b32 s0, 0x7f800000
	v_and_b32_e32 v2, 0x7f800000, v3
	v_cmp_ne_u32_e32 vcc, s0, v2
                                        ; implicit-def: $vgpr2
	s_and_saveexec_b64 s[0:1], vcc
	s_xor_b64 s[0:1], exec, s[0:1]
; %bb.24:
	v_bfe_u32 v2, v3, 16, 1
	s_movk_i32 s2, 0x7fff
	v_add3_u32 v2, v3, v2, s2
                                        ; implicit-def: $vgpr3
; %bb.25:
	s_andn2_saveexec_b64 s[0:1], s[0:1]
; %bb.26:
	v_mov_b32_e32 v2, 0
	v_or_b32_e32 v11, 0x10000, v3
	v_cmp_eq_u32_sdwa vcc, v3, v2 src0_sel:WORD_0 src1_sel:DWORD
	v_cndmask_b32_e32 v2, v11, v3, vcc
; %bb.27:
	s_or_b64 exec, exec, s[0:1]
	s_mov_b32 s0, 0x7f800000
	v_and_b32_e32 v3, 0x7f800000, v0
	v_cmp_ne_u32_e32 vcc, s0, v3
                                        ; implicit-def: $vgpr3
	s_and_saveexec_b64 s[0:1], vcc
	s_xor_b64 s[0:1], exec, s[0:1]
; %bb.28:
	v_bfe_u32 v3, v0, 16, 1
	s_movk_i32 s2, 0x7fff
	v_add3_u32 v3, v0, v3, s2
; %bb.29:
	s_andn2_saveexec_b64 s[0:1], s[0:1]
; %bb.30:
	v_mov_b32_e32 v3, 0
	v_or_b32_e32 v11, 0x10000, v0
	v_cmp_eq_u32_sdwa vcc, v0, v3 src0_sel:WORD_0 src1_sel:DWORD
	v_cndmask_b32_e32 v3, v11, v0, vcc
; %bb.31:
	s_or_b64 exec, exec, s[0:1]
	s_mov_b32 s0, 0x7f800000
	v_and_b32_e32 v0, 0x7f800000, v1
	v_cmp_ne_u32_e32 vcc, s0, v0
                                        ; implicit-def: $vgpr0
	s_and_saveexec_b64 s[0:1], vcc
	s_xor_b64 s[0:1], exec, s[0:1]
; %bb.32:
	v_bfe_u32 v0, v1, 16, 1
	s_movk_i32 s2, 0x7fff
	v_add3_u32 v0, v1, v0, s2
                                        ; implicit-def: $vgpr1
; %bb.33:
	s_andn2_saveexec_b64 s[0:1], s[0:1]
; %bb.34:
	v_mov_b32_e32 v0, 0
	v_or_b32_e32 v11, 0x10000, v1
	v_cmp_eq_u32_sdwa vcc, v1, v0 src0_sel:WORD_0 src1_sel:DWORD
	v_cndmask_b32_e32 v0, v11, v1, vcc
; %bb.35:
	s_or_b64 exec, exec, s[0:1]
	s_mov_b32 s0, 0x7060302
	v_perm_b32 v3, v0, v3, s0
	v_perm_b32 v2, v2, v7, s0
	;; [unrolled: 1-line block ×4, first 2 shown]
	global_store_dwordx4 v[4:5], v[0:3], off
.LBB124_36:
	s_endpgm
	.section	.rodata,"a",@progbits
	.p2align	6, 0x0
	.amdhsa_kernel _ZN12tensorrt_llm7kernels21fusedQKNormRopeKernelIN3c108BFloat16ES3_Li256ELb1EEEvPviiifPKvS6_S6_PKlii
		.amdhsa_group_segment_fixed_size 0
		.amdhsa_private_segment_fixed_size 0
		.amdhsa_kernarg_size 320
		.amdhsa_user_sgpr_count 6
		.amdhsa_user_sgpr_private_segment_buffer 1
		.amdhsa_user_sgpr_dispatch_ptr 0
		.amdhsa_user_sgpr_queue_ptr 0
		.amdhsa_user_sgpr_kernarg_segment_ptr 1
		.amdhsa_user_sgpr_dispatch_id 0
		.amdhsa_user_sgpr_flat_scratch_init 0
		.amdhsa_user_sgpr_kernarg_preload_length 0
		.amdhsa_user_sgpr_kernarg_preload_offset 0
		.amdhsa_user_sgpr_private_segment_size 0
		.amdhsa_uses_dynamic_stack 0
		.amdhsa_system_sgpr_private_segment_wavefront_offset 0
		.amdhsa_system_sgpr_workgroup_id_x 1
		.amdhsa_system_sgpr_workgroup_id_y 0
		.amdhsa_system_sgpr_workgroup_id_z 0
		.amdhsa_system_sgpr_workgroup_info 0
		.amdhsa_system_vgpr_workitem_id 0
		.amdhsa_next_free_vgpr 32
		.amdhsa_next_free_sgpr 14
		.amdhsa_accum_offset 32
		.amdhsa_reserve_vcc 1
		.amdhsa_reserve_flat_scratch 0
		.amdhsa_float_round_mode_32 0
		.amdhsa_float_round_mode_16_64 0
		.amdhsa_float_denorm_mode_32 3
		.amdhsa_float_denorm_mode_16_64 3
		.amdhsa_dx10_clamp 1
		.amdhsa_ieee_mode 1
		.amdhsa_fp16_overflow 0
		.amdhsa_tg_split 0
		.amdhsa_exception_fp_ieee_invalid_op 0
		.amdhsa_exception_fp_denorm_src 0
		.amdhsa_exception_fp_ieee_div_zero 0
		.amdhsa_exception_fp_ieee_overflow 0
		.amdhsa_exception_fp_ieee_underflow 0
		.amdhsa_exception_fp_ieee_inexact 0
		.amdhsa_exception_int_div_zero 0
	.end_amdhsa_kernel
	.section	.text._ZN12tensorrt_llm7kernels21fusedQKNormRopeKernelIN3c108BFloat16ES3_Li256ELb1EEEvPviiifPKvS6_S6_PKlii,"axG",@progbits,_ZN12tensorrt_llm7kernels21fusedQKNormRopeKernelIN3c108BFloat16ES3_Li256ELb1EEEvPviiifPKvS6_S6_PKlii,comdat
.Lfunc_end124:
	.size	_ZN12tensorrt_llm7kernels21fusedQKNormRopeKernelIN3c108BFloat16ES3_Li256ELb1EEEvPviiifPKvS6_S6_PKlii, .Lfunc_end124-_ZN12tensorrt_llm7kernels21fusedQKNormRopeKernelIN3c108BFloat16ES3_Li256ELb1EEEvPviiifPKvS6_S6_PKlii
                                        ; -- End function
	.section	.AMDGPU.csdata,"",@progbits
; Kernel info:
; codeLenInByte = 1892
; NumSgprs: 18
; NumVgprs: 32
; NumAgprs: 0
; TotalNumVgprs: 32
; ScratchSize: 0
; MemoryBound: 0
; FloatMode: 240
; IeeeMode: 1
; LDSByteSize: 0 bytes/workgroup (compile time only)
; SGPRBlocks: 2
; VGPRBlocks: 3
; NumSGPRsForWavesPerEU: 18
; NumVGPRsForWavesPerEU: 32
; AccumOffset: 32
; Occupancy: 8
; WaveLimiterHint : 1
; COMPUTE_PGM_RSRC2:SCRATCH_EN: 0
; COMPUTE_PGM_RSRC2:USER_SGPR: 6
; COMPUTE_PGM_RSRC2:TRAP_HANDLER: 0
; COMPUTE_PGM_RSRC2:TGID_X_EN: 1
; COMPUTE_PGM_RSRC2:TGID_Y_EN: 0
; COMPUTE_PGM_RSRC2:TGID_Z_EN: 0
; COMPUTE_PGM_RSRC2:TIDIG_COMP_CNT: 0
; COMPUTE_PGM_RSRC3_GFX90A:ACCUM_OFFSET: 7
; COMPUTE_PGM_RSRC3_GFX90A:TG_SPLIT: 0
	.section	.text._ZN12tensorrt_llm7kernels21fusedQKNormRopeKernelIN3c108BFloat16ES3_Li256ELb0EEEvPviiifPKvS6_S6_PKlii,"axG",@progbits,_ZN12tensorrt_llm7kernels21fusedQKNormRopeKernelIN3c108BFloat16ES3_Li256ELb0EEEvPviiifPKvS6_S6_PKlii,comdat
	.protected	_ZN12tensorrt_llm7kernels21fusedQKNormRopeKernelIN3c108BFloat16ES3_Li256ELb0EEEvPviiifPKvS6_S6_PKlii ; -- Begin function _ZN12tensorrt_llm7kernels21fusedQKNormRopeKernelIN3c108BFloat16ES3_Li256ELb0EEEvPviiifPKvS6_S6_PKlii
	.globl	_ZN12tensorrt_llm7kernels21fusedQKNormRopeKernelIN3c108BFloat16ES3_Li256ELb0EEEvPviiifPKvS6_S6_PKlii
	.p2align	8
	.type	_ZN12tensorrt_llm7kernels21fusedQKNormRopeKernelIN3c108BFloat16ES3_Li256ELb0EEEvPviiifPKvS6_S6_PKlii,@function
_ZN12tensorrt_llm7kernels21fusedQKNormRopeKernelIN3c108BFloat16ES3_Li256ELb0EEEvPviiifPKvS6_S6_PKlii: ; @_ZN12tensorrt_llm7kernels21fusedQKNormRopeKernelIN3c108BFloat16ES3_Li256ELb0EEEvPviiifPKvS6_S6_PKlii
; %bb.0:
	s_load_dwordx4 s[8:11], s[4:5], 0x8
	s_load_dwordx2 s[12:13], s[4:5], 0x38
	s_load_dword s1, s[4:5], 0x4c
	v_lshrrev_b32_e32 v2, 5, v0
	s_waitcnt lgkmcnt(0)
	s_add_i32 s0, s9, s8
	s_abs_i32 s2, s0
	v_cvt_f32_u32_e32 v1, s2
	s_bfe_u32 s1, s1, 0xb0005
	s_mul_i32 s6, s6, s1
	s_sub_i32 s1, 0, s2
	v_rcp_iflag_f32_e32 v3, v1
	v_add_u32_e32 v1, s6, v2
	v_sub_u32_e32 v4, 0, v1
	v_max_i32_e32 v4, v1, v4
	v_mul_f32_e32 v3, 0x4f7ffffe, v3
	v_cvt_u32_f32_e32 v3, v3
	v_xor_b32_e32 v2, s0, v1
	v_ashrrev_i32_e32 v2, 31, v2
	v_mul_lo_u32 v5, s1, v3
	v_mul_hi_u32 v5, v3, v5
	v_add_u32_e32 v3, v3, v5
	v_mul_hi_u32 v3, v4, v3
	v_mul_lo_u32 v5, v3, s2
	v_sub_u32_e32 v4, v4, v5
	v_add_u32_e32 v5, 1, v3
	v_cmp_le_u32_e32 vcc, s2, v4
	v_cndmask_b32_e32 v3, v3, v5, vcc
	v_subrev_u32_e32 v5, s2, v4
	v_cndmask_b32_e32 v4, v4, v5, vcc
	v_add_u32_e32 v5, 1, v3
	v_cmp_le_u32_e32 vcc, s2, v4
	v_cndmask_b32_e32 v3, v3, v5, vcc
	v_xor_b32_e32 v3, v3, v2
	v_sub_u32_e32 v10, v3, v2
	v_cmp_gt_i32_e32 vcc, s12, v10
	s_and_saveexec_b64 s[2:3], vcc
	s_cbranch_execz .LBB125_36
; %bb.1:
	v_and_b32_e32 v12, 31, v0
	v_mul_lo_u32 v0, v10, s0
	v_sub_u32_e32 v0, v1, v0
	v_mov_b32_e32 v1, s8
	v_cmp_gt_i32_e32 vcc, s8, v0
	v_cndmask_b32_e64 v1, v1, 0, vcc
	s_add_i32 s0, s0, s10
	s_load_dwordx2 s[2:3], s[4:5], 0x0
	v_sub_u32_e32 v0, v0, v1
	v_mul_lo_u32 v2, v10, s0
	v_add3_u32 v0, v2, v1, v0
	v_lshlrev_b32_e32 v1, 3, v12
	v_lshl_or_b32 v0, v0, 8, v1
	v_ashrrev_i32_e32 v1, 31, v0
	v_lshlrev_b64 v[0:1], 1, v[0:1]
	s_waitcnt lgkmcnt(0)
	v_mov_b32_e32 v2, s3
	v_add_co_u32_e64 v8, s[0:1], s2, v0
	v_addc_co_u32_e64 v9, s[0:1], v2, v1, s[0:1]
	global_load_dwordx4 v[0:3], v[8:9], off
	s_load_dwordx8 s[0:7], s[4:5], 0x18
	v_lshlrev_b32_e32 v13, 4, v12
	v_mbcnt_lo_u32_b32 v11, -1, 0
	v_mbcnt_hi_u32_b32 v14, -1, v11
	v_and_b32_e32 v11, 0x60, v14
	s_waitcnt lgkmcnt(0)
	v_mov_b32_e32 v4, s3
	v_mov_b32_e32 v5, s1
	;; [unrolled: 1-line block ×4, first 2 shown]
	v_cndmask_b32_e32 v5, v4, v5, vcc
	v_cndmask_b32_e32 v4, v6, v7, vcc
	v_add_co_u32_e32 v4, vcc, v4, v13
	v_addc_co_u32_e32 v5, vcc, 0, v5, vcc
	global_load_dwordx4 v[4:7], v[4:5], off
	v_xor_b32_e32 v16, 16, v14
	v_add_u32_e32 v11, 32, v11
	v_cmp_lt_i32_e32 vcc, v16, v11
	v_cndmask_b32_e32 v16, v14, v16, vcc
	v_lshlrev_b32_e32 v27, 2, v16
	v_xor_b32_e32 v24, 8, v14
	v_cmp_lt_i32_e32 vcc, v24, v11
	v_xor_b32_e32 v25, 4, v14
	v_xor_b32_e32 v26, 2, v14
	v_mov_b32_e32 v15, s11
	s_mov_b32 s0, 0x800000
	s_ashr_i32 s2, s13, 31
	s_lshr_b32 s1, s2, 29
	s_add_i32 s1, s13, s1
	s_ashr_i32 s1, s1, 3
	s_waitcnt vmcnt(1)
	v_and_b32_e32 v29, 0xffff0000, v0
	v_lshlrev_b32_e32 v28, 16, v0
	v_and_b32_e32 v17, 0xffff0000, v1
	v_lshlrev_b32_e32 v16, 16, v1
	v_mul_f32_e32 v30, v29, v29
	v_pk_mul_f32 v[0:1], v[16:17], v[16:17]
	v_fmac_f32_e32 v30, v28, v28
	v_and_b32_e32 v19, 0xffff0000, v2
	v_lshlrev_b32_e32 v18, 16, v2
	v_add_f32_e32 v0, v30, v0
	v_and_b32_e32 v21, 0xffff0000, v3
	v_lshlrev_b32_e32 v20, 16, v3
	v_pk_mul_f32 v[2:3], v[18:19], v[18:19]
	v_add_f32_e32 v0, v0, v1
	v_add_f32_e32 v0, v0, v2
	v_pk_mul_f32 v[22:23], v[20:21], v[20:21]
	v_add_f32_e32 v0, v0, v3
	v_add_f32_e32 v0, v0, v22
	;; [unrolled: 1-line block ×3, first 2 shown]
	ds_bpermute_b32 v1, v27, v0
	v_cndmask_b32_e32 v3, v14, v24, vcc
	v_lshlrev_b32_e32 v3, 2, v3
	v_cmp_lt_i32_e32 vcc, v25, v11
	v_xor_b32_e32 v2, 1, v14
	s_waitcnt lgkmcnt(0)
	v_add_f32_e32 v0, v0, v1
	ds_bpermute_b32 v1, v3, v0
	v_cndmask_b32_e32 v3, v14, v25, vcc
	v_lshlrev_b32_e32 v3, 2, v3
	v_cmp_lt_i32_e32 vcc, v26, v11
	s_waitcnt lgkmcnt(0)
	v_add_f32_e32 v0, v0, v1
	ds_bpermute_b32 v1, v3, v0
	v_cndmask_b32_e32 v3, v14, v26, vcc
	v_lshlrev_b32_e32 v3, 2, v3
	v_cmp_lt_i32_e32 vcc, v2, v11
	v_cndmask_b32_e32 v2, v14, v2, vcc
	s_waitcnt lgkmcnt(0)
	v_add_f32_e32 v0, v0, v1
	ds_bpermute_b32 v1, v3, v0
	v_lshlrev_b32_e32 v2, 2, v2
	s_waitcnt vmcnt(0)
	v_lshlrev_b32_e32 v3, 16, v4
	v_lshlrev_b32_e32 v11, 16, v6
	s_waitcnt lgkmcnt(0)
	v_add_f32_e32 v0, v0, v1
	ds_bpermute_b32 v1, v2, v0
	v_and_b32_e32 v2, 0xffff0000, v4
	v_lshlrev_b32_e32 v4, 16, v5
	v_and_b32_e32 v5, 0xffff0000, v5
	s_waitcnt lgkmcnt(0)
	v_add_f32_e32 v0, v0, v1
	v_fmac_f32_e32 v15, 0x3b800000, v0
	v_mul_f32_e32 v0, 0x4b800000, v15
	v_cmp_gt_f32_e32 vcc, s0, v15
	v_cndmask_b32_e32 v0, v15, v0, vcc
	v_rsq_f32_e32 v0, v0
	v_and_b32_e32 v1, 0xffff0000, v6
	v_lshlrev_b32_e32 v6, 16, v7
	v_and_b32_e32 v7, 0xffff0000, v7
	v_mul_f32_e32 v15, 0x45800000, v0
	v_cndmask_b32_e32 v0, v0, v15, vcc
	v_mul_f32_e32 v3, v0, v3
	v_mul_f32_e32 v2, v0, v2
	;; [unrolled: 1-line block ×16, first 2 shown]
	v_cmp_gt_i32_e32 vcc, s1, v12
	s_and_saveexec_b64 s[0:1], vcc
	s_cbranch_execz .LBB125_3
; %bb.2:
	v_ashrrev_i32_e32 v11, 31, v10
	v_lshlrev_b64 v[10:11], 3, v[10:11]
	v_mov_b32_e32 v15, s7
	v_add_co_u32_e32 v10, vcc, s6, v10
	v_addc_co_u32_e32 v11, vcc, v15, v11, vcc
	global_load_dwordx2 v[10:11], v[10:11], off
	s_abs_i32 s3, s13
	v_cvt_f32_u32_e32 v17, s3
	s_sub_i32 s8, 0, s3
	v_or_b32_e32 v16, 2, v13
	v_or_b32_e32 v18, 4, v13
	v_rcp_iflag_f32_e32 v17, v17
	v_mov_b32_e32 v15, s5
	s_lshr_b32 s5, s13, 31
	s_add_i32 s5, s13, s5
	v_mul_f32_e32 v17, 0x4f7ffffe, v17
	v_cvt_u32_f32_e32 v17, v17
	s_ashr_i32 s6, s5, 1
	s_ashr_i32 s7, s6, 31
	s_lshl_b64 s[6:7], s[6:7], 1
	v_mul_lo_u32 v20, s8, v17
	v_mul_hi_u32 v20, v17, v20
	v_add_u32_e32 v30, v17, v20
	v_mul_hi_u32 v17, v13, v30
	v_mul_hi_u32 v20, v16, v30
	v_mul_lo_u32 v17, v17, s3
	v_mul_hi_u32 v21, v18, v30
	v_mul_lo_u32 v20, v20, s3
	v_sub_u32_e32 v17, v13, v17
	v_mul_lo_u32 v21, v21, s3
	v_sub_u32_e32 v16, v16, v20
	v_subrev_u32_e32 v20, s3, v17
	v_cmp_le_u32_e32 vcc, s3, v17
	v_sub_u32_e32 v18, v18, v21
	v_subrev_u32_e32 v21, s3, v16
	v_cndmask_b32_e32 v17, v17, v20, vcc
	v_cmp_le_u32_e32 vcc, s3, v16
	v_subrev_u32_e32 v22, s3, v18
	v_cndmask_b32_e32 v16, v16, v21, vcc
	v_cmp_le_u32_e32 vcc, s3, v18
	v_cndmask_b32_e32 v18, v18, v22, vcc
	v_subrev_u32_e32 v20, s3, v17
	v_cmp_le_u32_e32 vcc, s3, v17
	v_subrev_u32_e32 v21, s3, v16
	v_cndmask_b32_e32 v17, v17, v20, vcc
	v_cmp_le_u32_e32 vcc, s3, v16
	v_cndmask_b32_e32 v16, v16, v21, vcc
	v_and_b32_e32 v20, -2, v17
	v_and_b32_e32 v21, -2, v16
	v_subrev_u32_e32 v22, s3, v18
	v_cmp_le_u32_e32 vcc, s3, v18
	v_cndmask_b32_e32 v18, v18, v22, vcc
	v_mov_b32_e32 v19, s7
	v_and_b32_e32 v24, -2, v18
	v_or_b32_e32 v26, 6, v13
	v_mul_hi_u32 v27, v26, v30
	v_mul_lo_u32 v27, v27, s3
	v_sub_u32_e32 v26, v26, v27
	v_subrev_u32_e32 v27, s3, v26
	; wave barrier
	s_waitcnt vmcnt(0)
	v_mul_lo_u32 v16, v11, s13
	v_mul_lo_u32 v17, v10, s2
	v_mad_u64_u32 v[10:11], s[8:9], v10, s13, 0
	v_add3_u32 v11, v11, v17, v16
	v_lshlrev_b64 v[10:11], 1, v[10:11]
	v_add_co_u32_e32 v31, vcc, s4, v10
	v_addc_co_u32_e32 v15, vcc, v15, v11, vcc
	v_add_co_u32_e32 v32, vcc, s6, v31
	v_addc_co_u32_e32 v33, vcc, v15, v19, vcc
	;; [unrolled: 2-line block ×8, first 2 shown]
	v_cmp_le_u32_e32 vcc, s3, v26
	v_cndmask_b32_e32 v26, v26, v27, vcc
	v_subrev_u32_e32 v27, s3, v26
	v_cmp_le_u32_e32 vcc, s3, v26
	v_cndmask_b32_e32 v26, v26, v27, vcc
	v_and_b32_e32 v28, -2, v26
	v_add_co_u32_e32 v26, vcc, v31, v28
	v_addc_co_u32_e32 v27, vcc, 0, v15, vcc
	v_add_co_u32_e32 v28, vcc, v32, v28
	v_addc_co_u32_e32 v29, vcc, 0, v33, vcc
	global_load_ushort v34, v[10:11], off
	global_load_ushort v35, v[18:19], off
	global_load_ushort v36, v[16:17], off
	global_load_ushort v37, v[20:21], off
	global_load_ushort v38, v[22:23], off
	global_load_ushort v39, v[24:25], off
	global_load_ushort v40, v[26:27], off
	global_load_ushort v41, v[28:29], off
	v_or_b32_e32 v10, 8, v13
	v_mul_hi_u32 v11, v10, v30
	v_mul_lo_u32 v11, v11, s3
	v_sub_u32_e32 v10, v10, v11
	v_subrev_u32_e32 v11, s3, v10
	v_cmp_le_u32_e32 vcc, s3, v10
	v_cndmask_b32_e32 v10, v10, v11, vcc
	v_subrev_u32_e32 v11, s3, v10
	v_cmp_le_u32_e32 vcc, s3, v10
	v_cndmask_b32_e32 v10, v10, v11, vcc
	v_and_b32_e32 v16, -2, v10
	v_add_co_u32_e32 v10, vcc, v31, v16
	v_or_b32_e32 v18, 10, v13
	v_addc_co_u32_e32 v11, vcc, 0, v15, vcc
	v_mul_hi_u32 v19, v18, v30
	v_add_co_u32_e32 v16, vcc, v32, v16
	v_mul_lo_u32 v19, v19, s3
	v_addc_co_u32_e32 v17, vcc, 0, v33, vcc
	v_sub_u32_e32 v18, v18, v19
	v_subrev_u32_e32 v19, s3, v18
	v_cmp_le_u32_e32 vcc, s3, v18
	v_cndmask_b32_e32 v18, v18, v19, vcc
	v_subrev_u32_e32 v19, s3, v18
	v_cmp_le_u32_e32 vcc, s3, v18
	v_cndmask_b32_e32 v18, v18, v19, vcc
	v_and_b32_e32 v20, -2, v18
	v_add_co_u32_e32 v18, vcc, v31, v20
	v_or_b32_e32 v22, 12, v13
	v_addc_co_u32_e32 v19, vcc, 0, v15, vcc
	v_mul_hi_u32 v23, v22, v30
	v_add_co_u32_e32 v20, vcc, v32, v20
	v_mul_lo_u32 v23, v23, s3
	v_addc_co_u32_e32 v21, vcc, 0, v33, vcc
	v_sub_u32_e32 v22, v22, v23
	v_subrev_u32_e32 v23, s3, v22
	v_cmp_le_u32_e32 vcc, s3, v22
	v_cndmask_b32_e32 v22, v22, v23, vcc
	v_subrev_u32_e32 v23, s3, v22
	v_cmp_le_u32_e32 vcc, s3, v22
	v_cndmask_b32_e32 v22, v22, v23, vcc
	v_and_b32_e32 v24, -2, v22
	v_add_co_u32_e32 v22, vcc, v31, v24
	v_addc_co_u32_e32 v23, vcc, 0, v15, vcc
	v_add_co_u32_e32 v24, vcc, v32, v24
	v_addc_co_u32_e32 v25, vcc, 0, v33, vcc
	global_load_ushort v26, v[10:11], off
	global_load_ushort v27, v[16:17], off
	;; [unrolled: 1-line block ×6, first 2 shown]
	v_or_b32_e32 v10, 14, v13
	v_mul_hi_u32 v11, v10, v30
	v_mul_lo_u32 v11, v11, s3
	v_sub_u32_e32 v10, v10, v11
	v_subrev_u32_e32 v11, s3, v10
	v_cmp_le_u32_e32 vcc, s3, v10
	v_cndmask_b32_e32 v10, v10, v11, vcc
	v_subrev_u32_e32 v11, s3, v10
	v_cmp_le_u32_e32 vcc, s3, v10
	v_cndmask_b32_e32 v10, v10, v11, vcc
	v_and_b32_e32 v13, -2, v10
	v_add_co_u32_e32 v10, vcc, v31, v13
	v_addc_co_u32_e32 v11, vcc, 0, v15, vcc
	v_add_co_u32_e32 v16, vcc, v32, v13
	v_addc_co_u32_e32 v17, vcc, 0, v33, vcc
	global_load_ushort v18, v[10:11], off
	global_load_ushort v19, v[16:17], off
	s_lshr_b32 s2, s2, 28
	s_add_i32 s2, s13, s2
	s_ashr_i32 s2, s2, 4
	v_and_b32_e32 v11, 64, v14
	v_xor_b32_e32 v10, s2, v14
	v_add_u32_e32 v11, 64, v11
	v_cmp_lt_i32_e32 vcc, v10, v11
	v_cndmask_b32_e32 v10, v14, v10, vcc
	v_lshlrev_b32_e32 v16, 2, v10
	ds_bpermute_b32 v10, v16, v0
	ds_bpermute_b32 v11, v16, v1
	v_cmp_gt_i32_e32 vcc, s2, v12
	s_waitcnt vmcnt(14)
	v_lshlrev_b32_e32 v13, 16, v35
	v_lshlrev_b32_e32 v12, 16, v34
	s_waitcnt lgkmcnt(1)
	v_cndmask_b32_e64 v10, v10, -v10, vcc
	v_mul_f32_e32 v10, v10, v13
	v_fmac_f32_e32 v10, v0, v12
	s_waitcnt lgkmcnt(0)
	v_cndmask_b32_e64 v0, v11, -v11, vcc
	s_waitcnt vmcnt(12)
	v_lshlrev_b32_e32 v11, 16, v37
	ds_bpermute_b32 v12, v16, v2
	v_lshlrev_b32_e32 v13, 16, v36
	v_mul_f32_e32 v11, v0, v11
	v_fmac_f32_e32 v11, v1, v13
	ds_bpermute_b32 v1, v16, v3
	s_waitcnt lgkmcnt(1)
	v_cndmask_b32_e64 v0, v12, -v12, vcc
	s_waitcnt vmcnt(10)
	v_lshlrev_b32_e32 v12, 16, v39
	v_mul_f32_e32 v12, v0, v12
	v_lshlrev_b32_e32 v13, 16, v38
	s_waitcnt lgkmcnt(0)
	v_cndmask_b32_e64 v0, v1, -v1, vcc
	ds_bpermute_b32 v1, v16, v4
	v_fmac_f32_e32 v12, v2, v13
	s_waitcnt vmcnt(8)
	v_lshlrev_b32_e32 v13, 16, v41
	v_mul_f32_e32 v13, v0, v13
	v_lshlrev_b32_e32 v2, 16, v40
	s_waitcnt lgkmcnt(0)
	v_cndmask_b32_e64 v0, v1, -v1, vcc
	ds_bpermute_b32 v1, v16, v5
	v_fmac_f32_e32 v13, v3, v2
	; wave barrier
	s_waitcnt vmcnt(7)
	v_lshlrev_b32_e32 v2, 16, v26
	s_waitcnt vmcnt(6)
	v_lshlrev_b32_e32 v3, 16, v27
	v_mul_f32_e32 v14, v0, v3
	s_waitcnt lgkmcnt(0)
	v_cndmask_b32_e64 v0, v1, -v1, vcc
	ds_bpermute_b32 v1, v16, v6
	s_waitcnt vmcnt(4)
	v_lshlrev_b32_e32 v3, 16, v29
	v_mul_f32_e32 v15, v0, v3
	v_fmac_f32_e32 v14, v4, v2
	v_lshlrev_b32_e32 v2, 16, v28
	s_waitcnt lgkmcnt(0)
	v_cndmask_b32_e64 v0, v1, -v1, vcc
	ds_bpermute_b32 v1, v16, v7
	s_waitcnt vmcnt(2)
	v_lshlrev_b32_e32 v3, 16, v43
	v_fmac_f32_e32 v15, v5, v2
	v_lshlrev_b32_e32 v2, 16, v42
	v_mul_f32_e32 v16, v0, v3
	v_fmac_f32_e32 v16, v6, v2
	s_waitcnt lgkmcnt(0)
	v_cndmask_b32_e64 v0, v1, -v1, vcc
	s_waitcnt vmcnt(1)
	v_lshlrev_b32_e32 v1, 16, v18
	s_waitcnt vmcnt(0)
	v_lshlrev_b32_e32 v2, 16, v19
	v_mul_f32_e32 v17, v0, v2
	v_fmac_f32_e32 v17, v7, v1
	v_pk_mov_b32 v[0:1], v[10:11], v[10:11] op_sel:[0,1]
	v_pk_mov_b32 v[2:3], v[12:13], v[12:13] op_sel:[0,1]
	;; [unrolled: 1-line block ×4, first 2 shown]
.LBB125_3:
	s_or_b64 exec, exec, s[0:1]
	s_mov_b32 s0, 0x7f800000
	v_and_b32_e32 v10, 0x7f800000, v0
	v_cmp_ne_u32_e32 vcc, s0, v10
                                        ; implicit-def: $vgpr10
	s_and_saveexec_b64 s[0:1], vcc
	s_xor_b64 s[0:1], exec, s[0:1]
; %bb.4:
	v_bfe_u32 v10, v0, 16, 1
	s_movk_i32 s2, 0x7fff
	v_add3_u32 v10, v0, v10, s2
; %bb.5:
	s_andn2_saveexec_b64 s[0:1], s[0:1]
; %bb.6:
	v_mov_b32_e32 v10, 0
	v_or_b32_e32 v11, 0x10000, v0
	v_cmp_eq_u32_sdwa vcc, v0, v10 src0_sel:WORD_0 src1_sel:DWORD
	v_cndmask_b32_e32 v10, v11, v0, vcc
; %bb.7:
	s_or_b64 exec, exec, s[0:1]
	s_mov_b32 s0, 0x7f800000
	v_and_b32_e32 v0, 0x7f800000, v1
	v_cmp_ne_u32_e32 vcc, s0, v0
                                        ; implicit-def: $vgpr11
	s_and_saveexec_b64 s[0:1], vcc
	s_xor_b64 s[0:1], exec, s[0:1]
; %bb.8:
	v_bfe_u32 v0, v1, 16, 1
	s_movk_i32 s2, 0x7fff
	v_add3_u32 v11, v1, v0, s2
; %bb.9:
	s_andn2_saveexec_b64 s[0:1], s[0:1]
; %bb.10:
	v_mov_b32_e32 v0, 0
	v_or_b32_e32 v11, 0x10000, v1
	v_cmp_eq_u32_sdwa vcc, v1, v0 src0_sel:WORD_0 src1_sel:DWORD
	v_cndmask_b32_e32 v11, v11, v1, vcc
; %bb.11:
	s_or_b64 exec, exec, s[0:1]
	s_mov_b32 s0, 0x7f800000
	v_and_b32_e32 v0, 0x7f800000, v2
	v_cmp_ne_u32_e32 vcc, s0, v0
                                        ; implicit-def: $vgpr12
	s_and_saveexec_b64 s[0:1], vcc
	s_xor_b64 s[0:1], exec, s[0:1]
; %bb.12:
	v_bfe_u32 v0, v2, 16, 1
	s_movk_i32 s2, 0x7fff
	v_add3_u32 v12, v2, v0, s2
; %bb.13:
	s_andn2_saveexec_b64 s[0:1], s[0:1]
; %bb.14:
	v_mov_b32_e32 v0, 0
	v_or_b32_e32 v1, 0x10000, v2
	v_cmp_eq_u32_sdwa vcc, v2, v0 src0_sel:WORD_0 src1_sel:DWORD
	v_cndmask_b32_e32 v12, v1, v2, vcc
; %bb.15:
	s_or_b64 exec, exec, s[0:1]
	s_mov_b32 s0, 0x7f800000
	v_and_b32_e32 v0, 0x7f800000, v3
	v_cmp_ne_u32_e32 vcc, s0, v0
                                        ; implicit-def: $vgpr13
	s_and_saveexec_b64 s[0:1], vcc
	s_xor_b64 s[0:1], exec, s[0:1]
; %bb.16:
	v_bfe_u32 v0, v3, 16, 1
	s_movk_i32 s2, 0x7fff
	v_add3_u32 v13, v3, v0, s2
; %bb.17:
	s_andn2_saveexec_b64 s[0:1], s[0:1]
; %bb.18:
	v_mov_b32_e32 v0, 0
	v_or_b32_e32 v1, 0x10000, v3
	v_cmp_eq_u32_sdwa vcc, v3, v0 src0_sel:WORD_0 src1_sel:DWORD
	v_cndmask_b32_e32 v13, v1, v3, vcc
; %bb.19:
	s_or_b64 exec, exec, s[0:1]
	s_mov_b32 s0, 0x7f800000
	v_and_b32_e32 v0, 0x7f800000, v4
	v_cmp_ne_u32_e32 vcc, s0, v0
                                        ; implicit-def: $vgpr14
	s_and_saveexec_b64 s[0:1], vcc
	s_xor_b64 s[0:1], exec, s[0:1]
; %bb.20:
	v_bfe_u32 v0, v4, 16, 1
	s_movk_i32 s2, 0x7fff
	v_add3_u32 v14, v4, v0, s2
; %bb.21:
	s_andn2_saveexec_b64 s[0:1], s[0:1]
; %bb.22:
	v_mov_b32_e32 v0, 0
	v_or_b32_e32 v1, 0x10000, v4
	v_cmp_eq_u32_sdwa vcc, v4, v0 src0_sel:WORD_0 src1_sel:DWORD
	v_cndmask_b32_e32 v14, v1, v4, vcc
; %bb.23:
	s_or_b64 exec, exec, s[0:1]
	s_mov_b32 s0, 0x7f800000
	v_and_b32_e32 v0, 0x7f800000, v5
	v_cmp_ne_u32_e32 vcc, s0, v0
                                        ; implicit-def: $vgpr15
	s_and_saveexec_b64 s[0:1], vcc
	s_xor_b64 s[0:1], exec, s[0:1]
; %bb.24:
	v_bfe_u32 v0, v5, 16, 1
	s_movk_i32 s2, 0x7fff
	v_add3_u32 v15, v5, v0, s2
; %bb.25:
	s_andn2_saveexec_b64 s[0:1], s[0:1]
; %bb.26:
	v_mov_b32_e32 v0, 0
	v_or_b32_e32 v1, 0x10000, v5
	v_cmp_eq_u32_sdwa vcc, v5, v0 src0_sel:WORD_0 src1_sel:DWORD
	v_cndmask_b32_e32 v15, v1, v5, vcc
; %bb.27:
	s_or_b64 exec, exec, s[0:1]
	s_mov_b32 s0, 0x7f800000
	v_and_b32_e32 v0, 0x7f800000, v6
	v_cmp_ne_u32_e32 vcc, s0, v0
                                        ; implicit-def: $vgpr16
	s_and_saveexec_b64 s[0:1], vcc
	s_xor_b64 s[0:1], exec, s[0:1]
; %bb.28:
	v_bfe_u32 v0, v6, 16, 1
	s_movk_i32 s2, 0x7fff
	v_add3_u32 v16, v6, v0, s2
; %bb.29:
	s_andn2_saveexec_b64 s[0:1], s[0:1]
; %bb.30:
	v_mov_b32_e32 v0, 0
	v_or_b32_e32 v1, 0x10000, v6
	v_cmp_eq_u32_sdwa vcc, v6, v0 src0_sel:WORD_0 src1_sel:DWORD
	v_cndmask_b32_e32 v16, v1, v6, vcc
; %bb.31:
	s_or_b64 exec, exec, s[0:1]
	s_mov_b32 s0, 0x7f800000
	v_and_b32_e32 v0, 0x7f800000, v7
	v_cmp_ne_u32_e32 vcc, s0, v0
                                        ; implicit-def: $vgpr17
	s_and_saveexec_b64 s[0:1], vcc
	s_xor_b64 s[0:1], exec, s[0:1]
; %bb.32:
	v_bfe_u32 v0, v7, 16, 1
	s_movk_i32 s2, 0x7fff
	v_add3_u32 v17, v7, v0, s2
                                        ; implicit-def: $vgpr0_vgpr1_vgpr2_vgpr3_vgpr4_vgpr5_vgpr6_vgpr7
; %bb.33:
	s_andn2_saveexec_b64 s[0:1], s[0:1]
; %bb.34:
	v_mov_b32_e32 v0, 0
	v_or_b32_e32 v1, 0x10000, v7
	v_cmp_eq_u32_sdwa vcc, v7, v0 src0_sel:WORD_0 src1_sel:DWORD
	v_cndmask_b32_e32 v17, v1, v7, vcc
; %bb.35:
	s_or_b64 exec, exec, s[0:1]
	s_mov_b32 s0, 0x7060302
	v_perm_b32 v3, v17, v16, s0
	v_perm_b32 v2, v15, v14, s0
	;; [unrolled: 1-line block ×4, first 2 shown]
	global_store_dwordx4 v[8:9], v[0:3], off
.LBB125_36:
	s_endpgm
	.section	.rodata,"a",@progbits
	.p2align	6, 0x0
	.amdhsa_kernel _ZN12tensorrt_llm7kernels21fusedQKNormRopeKernelIN3c108BFloat16ES3_Li256ELb0EEEvPviiifPKvS6_S6_PKlii
		.amdhsa_group_segment_fixed_size 0
		.amdhsa_private_segment_fixed_size 0
		.amdhsa_kernarg_size 320
		.amdhsa_user_sgpr_count 6
		.amdhsa_user_sgpr_private_segment_buffer 1
		.amdhsa_user_sgpr_dispatch_ptr 0
		.amdhsa_user_sgpr_queue_ptr 0
		.amdhsa_user_sgpr_kernarg_segment_ptr 1
		.amdhsa_user_sgpr_dispatch_id 0
		.amdhsa_user_sgpr_flat_scratch_init 0
		.amdhsa_user_sgpr_kernarg_preload_length 0
		.amdhsa_user_sgpr_kernarg_preload_offset 0
		.amdhsa_user_sgpr_private_segment_size 0
		.amdhsa_uses_dynamic_stack 0
		.amdhsa_system_sgpr_private_segment_wavefront_offset 0
		.amdhsa_system_sgpr_workgroup_id_x 1
		.amdhsa_system_sgpr_workgroup_id_y 0
		.amdhsa_system_sgpr_workgroup_id_z 0
		.amdhsa_system_sgpr_workgroup_info 0
		.amdhsa_system_vgpr_workitem_id 0
		.amdhsa_next_free_vgpr 44
		.amdhsa_next_free_sgpr 14
		.amdhsa_accum_offset 44
		.amdhsa_reserve_vcc 1
		.amdhsa_reserve_flat_scratch 0
		.amdhsa_float_round_mode_32 0
		.amdhsa_float_round_mode_16_64 0
		.amdhsa_float_denorm_mode_32 3
		.amdhsa_float_denorm_mode_16_64 3
		.amdhsa_dx10_clamp 1
		.amdhsa_ieee_mode 1
		.amdhsa_fp16_overflow 0
		.amdhsa_tg_split 0
		.amdhsa_exception_fp_ieee_invalid_op 0
		.amdhsa_exception_fp_denorm_src 0
		.amdhsa_exception_fp_ieee_div_zero 0
		.amdhsa_exception_fp_ieee_overflow 0
		.amdhsa_exception_fp_ieee_underflow 0
		.amdhsa_exception_fp_ieee_inexact 0
		.amdhsa_exception_int_div_zero 0
	.end_amdhsa_kernel
	.section	.text._ZN12tensorrt_llm7kernels21fusedQKNormRopeKernelIN3c108BFloat16ES3_Li256ELb0EEEvPviiifPKvS6_S6_PKlii,"axG",@progbits,_ZN12tensorrt_llm7kernels21fusedQKNormRopeKernelIN3c108BFloat16ES3_Li256ELb0EEEvPviiifPKvS6_S6_PKlii,comdat
.Lfunc_end125:
	.size	_ZN12tensorrt_llm7kernels21fusedQKNormRopeKernelIN3c108BFloat16ES3_Li256ELb0EEEvPviiifPKvS6_S6_PKlii, .Lfunc_end125-_ZN12tensorrt_llm7kernels21fusedQKNormRopeKernelIN3c108BFloat16ES3_Li256ELb0EEEvPviiifPKvS6_S6_PKlii
                                        ; -- End function
	.section	.AMDGPU.csdata,"",@progbits
; Kernel info:
; codeLenInByte = 2788
; NumSgprs: 18
; NumVgprs: 44
; NumAgprs: 0
; TotalNumVgprs: 44
; ScratchSize: 0
; MemoryBound: 0
; FloatMode: 240
; IeeeMode: 1
; LDSByteSize: 0 bytes/workgroup (compile time only)
; SGPRBlocks: 2
; VGPRBlocks: 5
; NumSGPRsForWavesPerEU: 18
; NumVGPRsForWavesPerEU: 44
; AccumOffset: 44
; Occupancy: 8
; WaveLimiterHint : 1
; COMPUTE_PGM_RSRC2:SCRATCH_EN: 0
; COMPUTE_PGM_RSRC2:USER_SGPR: 6
; COMPUTE_PGM_RSRC2:TRAP_HANDLER: 0
; COMPUTE_PGM_RSRC2:TGID_X_EN: 1
; COMPUTE_PGM_RSRC2:TGID_Y_EN: 0
; COMPUTE_PGM_RSRC2:TGID_Z_EN: 0
; COMPUTE_PGM_RSRC2:TIDIG_COMP_CNT: 0
; COMPUTE_PGM_RSRC3_GFX90A:ACCUM_OFFSET: 10
; COMPUTE_PGM_RSRC3_GFX90A:TG_SPLIT: 0
	.section	.text._ZN12tensorrt_llm7kernels32fusedQKNormRopeKernelNTokenHeadsIN3c108BFloat16ES3_Li64ELb1ELi2EEEvPviiifPKvS6_S6_PKlii,"axG",@progbits,_ZN12tensorrt_llm7kernels32fusedQKNormRopeKernelNTokenHeadsIN3c108BFloat16ES3_Li64ELb1ELi2EEEvPviiifPKvS6_S6_PKlii,comdat
	.protected	_ZN12tensorrt_llm7kernels32fusedQKNormRopeKernelNTokenHeadsIN3c108BFloat16ES3_Li64ELb1ELi2EEEvPviiifPKvS6_S6_PKlii ; -- Begin function _ZN12tensorrt_llm7kernels32fusedQKNormRopeKernelNTokenHeadsIN3c108BFloat16ES3_Li64ELb1ELi2EEEvPviiifPKvS6_S6_PKlii
	.globl	_ZN12tensorrt_llm7kernels32fusedQKNormRopeKernelNTokenHeadsIN3c108BFloat16ES3_Li64ELb1ELi2EEEvPviiifPKvS6_S6_PKlii
	.p2align	8
	.type	_ZN12tensorrt_llm7kernels32fusedQKNormRopeKernelNTokenHeadsIN3c108BFloat16ES3_Li64ELb1ELi2EEEvPviiifPKvS6_S6_PKlii,@function
_ZN12tensorrt_llm7kernels32fusedQKNormRopeKernelNTokenHeadsIN3c108BFloat16ES3_Li64ELb1ELi2EEEvPviiifPKvS6_S6_PKlii: ; @_ZN12tensorrt_llm7kernels32fusedQKNormRopeKernelNTokenHeadsIN3c108BFloat16ES3_Li64ELb1ELi2EEEvPviiifPKvS6_S6_PKlii
; %bb.0:
	s_load_dwordx4 s[12:15], s[4:5], 0x8
	s_load_dwordx2 s[2:3], s[4:5], 0x38
	s_load_dword s0, s[4:5], 0x4c
	v_lshrrev_b32_e32 v13, 5, v0
	s_waitcnt lgkmcnt(0)
	s_add_i32 s21, s13, s12
	s_add_i32 s1, s21, 1
	s_lshr_b32 s7, s1, 31
	s_add_i32 s1, s1, s7
	s_ashr_i32 s20, s1, 1
	s_abs_i32 s1, s20
	v_cvt_f32_u32_e32 v1, s1
	s_bfe_u32 s0, s0, 0xb0005
	s_mul_i32 s6, s6, s0
	v_add_u32_e32 v9, s6, v13
	v_rcp_iflag_f32_e32 v1, v1
	s_sub_i32 s6, 0, s1
	v_sub_u32_e32 v2, 0, v9
	v_max_i32_e32 v2, v9, v2
	v_mul_f32_e32 v1, 0x4f7ffffe, v1
	v_cvt_u32_f32_e32 v1, v1
	v_xor_b32_e32 v3, s20, v9
	v_ashrrev_i32_e32 v3, 31, v3
	v_mul_lo_u32 v4, s6, v1
	v_mul_hi_u32 v4, v1, v4
	v_add_u32_e32 v1, v1, v4
	v_mul_hi_u32 v1, v2, v1
	v_mul_lo_u32 v4, v1, s1
	v_sub_u32_e32 v2, v2, v4
	v_add_u32_e32 v4, 1, v1
	v_cmp_le_u32_e32 vcc, s1, v2
	v_cndmask_b32_e32 v1, v1, v4, vcc
	v_subrev_u32_e32 v4, s1, v2
	v_cndmask_b32_e32 v2, v2, v4, vcc
	v_add_u32_e32 v4, 1, v1
	v_cmp_le_u32_e32 vcc, s1, v2
	v_cndmask_b32_e32 v1, v1, v4, vcc
	v_xor_b32_e32 v1, v1, v3
	v_sub_u32_e32 v2, v1, v3
	v_cmp_gt_i32_e32 vcc, s2, v2
	s_and_saveexec_b64 s[6:7], vcc
	s_cbranch_execz .LBB126_25
; %bb.1:
	v_and_b32_e32 v10, 31, v0
	v_mul_lo_u32 v0, v2, s20
	v_sub_u32_e32 v0, v9, v0
	s_load_dwordx2 s[16:17], s[4:5], 0x0
	v_lshlrev_b32_e32 v0, 1, v0
	v_add_u32_e32 v1, 2, v0
	v_sub_u32_e32 v3, s21, v0
	v_cmp_lt_i32_e32 vcc, s21, v1
	v_cndmask_b32_e32 v8, 2, v3, vcc
	s_lshl_b32 s18, s3, 1
	s_mul_i32 s2, s18, s0
	v_lshlrev_b32_e32 v12, 8, v13
	v_cmp_lt_i32_e64 s[0:1], 0, v8
	v_lshlrev_b32_e32 v4, 1, v10
	v_lshlrev_b32_e32 v11, 2, v10
	s_and_saveexec_b64 s[6:7], s[0:1]
	s_cbranch_execz .LBB126_9
; %bb.2:
	s_mov_b32 s19, 1
	v_cmp_ne_u32_e32 vcc, 1, v8
	s_mov_b64 s[10:11], -1
	v_mov_b32_e32 v1, 0
	s_and_saveexec_b64 s[8:9], vcc
	s_cbranch_execz .LBB126_6
; %bb.3:
	s_add_i32 s21, s21, s14
	s_add_i32 s10, s2, 0
	v_mul_lo_u32 v6, v2, s21
	s_mov_b32 s22, 0
	v_add3_u32 v7, s10, v12, v11
	v_mov_b32_e32 v1, v0
	s_mov_b32 s21, s12
	s_mov_b32 s23, s12
	v_mov_b32_e32 v3, v6
	v_mov_b32_e32 v5, v4
	v_and_b32_e32 v14, 0x7ffffffe, v8
	s_mov_b64 s[10:11], 0
	v_mov_b32_e32 v15, s12
	v_mov_b32_e32 v16, s12
	s_waitcnt lgkmcnt(0)
	v_mov_b32_e32 v17, s17
.LBB126_4:                              ; =>This Inner Loop Header: Depth=1
	v_add_u32_e32 v19, s19, v1
	v_add_u32_e32 v18, s22, v0
	v_cmp_le_i32_e32 vcc, s23, v19
	v_cndmask_b32_e32 v20, 0, v15, vcc
	v_cmp_le_i32_e32 vcc, s21, v18
	v_cndmask_b32_e32 v21, 0, v16, vcc
	v_sub_u32_e32 v18, v18, v21
	v_sub_u32_e32 v19, v19, v20
	v_add3_u32 v18, v6, v21, v18
	v_add3_u32 v19, v3, v20, v19
	v_lshl_or_b32 v18, v18, 6, v4
	v_lshl_or_b32 v20, v19, 6, v5
	v_ashrrev_i32_e32 v19, 31, v18
	v_lshlrev_b64 v[18:19], 1, v[18:19]
	v_ashrrev_i32_e32 v21, 31, v20
	v_add_co_u32_e32 v18, vcc, s16, v18
	v_lshlrev_b64 v[20:21], 1, v[20:21]
	v_addc_co_u32_e32 v19, vcc, v17, v19, vcc
	v_add_co_u32_e32 v20, vcc, s16, v20
	v_addc_co_u32_e32 v21, vcc, v17, v21, vcc
	global_load_dword v22, v[18:19], off
	global_load_dword v23, v[20:21], off
	v_add_u32_e32 v14, -2, v14
	v_lshl_add_u32 v18, s22, 7, v7
	v_lshl_add_u32 v19, s19, 7, v7
	s_add_i32 s22, s22, 2
	s_add_i32 s19, s19, 2
	v_cmp_eq_u32_e32 vcc, 0, v14
	s_or_b64 s[10:11], vcc, s[10:11]
	s_waitcnt vmcnt(1)
	ds_write_b32 v18, v22
	s_waitcnt vmcnt(0)
	ds_write_b32 v19, v23
	s_andn2_b64 exec, exec, s[10:11]
	s_cbranch_execnz .LBB126_4
; %bb.5:
	s_or_b64 exec, exec, s[10:11]
	v_and_b32_e32 v1, 0x7ffffffe, v8
	v_cmp_ne_u32_e32 vcc, v8, v1
	s_orn2_b64 s[10:11], vcc, exec
.LBB126_6:
	s_or_b64 exec, exec, s[8:9]
	s_and_b64 exec, exec, s[10:11]
	s_cbranch_execz .LBB126_9
; %bb.7:
	s_add_i32 s8, s14, s13
	s_add_i32 s8, s8, s12
	s_lshl_b32 s9, s20, 1
	s_sub_i32 s8, s8, s9
	v_mul_lo_u32 v3, s8, v2
	v_lshlrev_b32_e32 v5, 1, v9
	v_add3_u32 v3, v1, v3, v5
	v_lshl_or_b32 v6, v3, 6, v4
	v_lshlrev_b32_e32 v3, 7, v1
	v_add3_u32 v3, s2, v12, v3
	v_add3_u32 v3, v3, v11, 0
	s_mov_b64 s[8:9], 0
	s_waitcnt lgkmcnt(0)
	v_mov_b32_e32 v5, s17
.LBB126_8:                              ; =>This Inner Loop Header: Depth=1
	v_ashrrev_i32_e32 v7, 31, v6
	v_lshlrev_b64 v[14:15], 1, v[6:7]
	v_add_co_u32_e32 v14, vcc, s16, v14
	v_addc_co_u32_e32 v15, vcc, v5, v15, vcc
	global_load_dword v7, v[14:15], off
	v_add_u32_e32 v1, 1, v1
	v_cmp_ge_i32_e32 vcc, v1, v8
	v_add_u32_e32 v6, 64, v6
	s_or_b64 s[8:9], vcc, s[8:9]
	s_waitcnt vmcnt(0)
	ds_write_b32 v3, v7
	v_add_u32_e32 v3, 0x80, v3
	s_andn2_b64 exec, exec, s[8:9]
	s_cbranch_execnz .LBB126_8
.LBB126_9:
	s_or_b64 exec, exec, s[6:7]
	s_add_i32 s18, s18, 15
	s_load_dwordx8 s[4:11], s[4:5], 0x18
	s_ashr_i32 s19, s18, 31
	s_lshr_b32 s19, s19, 28
	s_add_i32 s18, s18, s19
	s_ashr_i32 s21, s18, 4
	v_mul_lo_u32 v1, v13, s3
	v_cmp_gt_i32_e32 vcc, s21, v10
	v_lshlrev_b32_e32 v5, 1, v1
	s_and_saveexec_b64 s[18:19], vcc
	s_cbranch_execz .LBB126_12
; %bb.10:
	v_ashrrev_i32_e32 v3, 31, v2
	v_lshlrev_b64 v[6:7], 3, v[2:3]
	s_waitcnt lgkmcnt(0)
	v_mov_b32_e32 v1, s11
	v_add_co_u32_e32 v6, vcc, s10, v6
	v_addc_co_u32_e32 v7, vcc, v1, v7, vcc
	global_load_dwordx2 v[6:7], v[6:7], off
	s_ashr_i32 s22, s3, 31
	v_lshlrev_b32_e32 v3, 4, v10
	v_add3_u32 v1, v5, v3, 0
	v_mov_b32_e32 v13, s9
	s_mov_b64 s[10:11], 0
	s_waitcnt vmcnt(0)
	v_mul_lo_u32 v14, v7, s3
	v_mul_lo_u32 v15, v6, s22
	v_mad_u64_u32 v[6:7], s[22:23], v6, s3, 0
	v_add3_u32 v7, v7, v15, v14
	v_lshlrev_b64 v[6:7], 1, v[6:7]
	v_add_co_u32_e32 v3, vcc, v6, v3
	v_addc_co_u32_e32 v7, vcc, 0, v7, vcc
	v_add_co_u32_e32 v6, vcc, s8, v3
	v_addc_co_u32_e32 v7, vcc, v13, v7, vcc
	v_mov_b32_e32 v3, v10
.LBB126_11:                             ; =>This Inner Loop Header: Depth=1
	global_load_dwordx4 v[14:17], v[6:7], off
	v_add_co_u32_e32 v6, vcc, 0x200, v6
	v_add_u32_e32 v3, 32, v3
	v_addc_co_u32_e32 v7, vcc, 0, v7, vcc
	v_cmp_le_i32_e32 vcc, s21, v3
	s_or_b64 s[10:11], vcc, s[10:11]
	s_waitcnt vmcnt(0)
	ds_write_b128 v1, v[14:17]
	v_add_u32_e32 v1, 0x200, v1
	s_andn2_b64 exec, exec, s[10:11]
	s_cbranch_execnz .LBB126_11
.LBB126_12:
	s_or_b64 exec, exec, s[18:19]
	s_and_b64 exec, exec, s[0:1]
	s_cbranch_execz .LBB126_25
; %bb.13:
	s_waitcnt lgkmcnt(0)
	global_load_dword v1, v11, s[4:5]
	global_load_dword v6, v11, s[6:7]
	v_mbcnt_lo_u32_b32 v3, -1, 0
	s_lshr_b32 s0, s3, 31
	s_add_i32 s1, s14, s13
	v_add_u32_e32 v13, s2, v12
	v_mbcnt_hi_u32_b32 v3, -1, v3
	s_lshl_b32 s11, s20, 1
	s_add_i32 s0, s3, s0
	s_add_i32 s1, s1, s12
	v_add3_u32 v11, v13, v11, 0
	v_and_b32_e32 v13, 0x60, v3
	v_add3_u32 v7, 0, v5, v4
	s_ashr_i32 s2, s0, 1
	s_and_b32 s0, s0, -2
	v_xor_b32_e32 v14, 16, v3
	s_sub_i32 s1, s1, s11
	v_add_u32_e32 v13, 32, v13
	v_xor_b32_e32 v15, 8, v3
	v_cmp_gt_i32_e32 vcc, s2, v10
	v_add_u32_e32 v10, s0, v7
	v_mul_lo_u32 v2, s1, v2
	v_cmp_lt_i32_e64 s[0:1], v14, v13
	v_xor_b32_e32 v16, 4, v3
	v_cndmask_b32_e64 v14, v3, v14, s[0:1]
	v_cmp_lt_i32_e64 s[0:1], v15, v13
	v_xor_b32_e32 v17, 2, v3
	v_cndmask_b32_e64 v15, v3, v15, s[0:1]
	;; [unrolled: 3-line block ×3, first 2 shown]
	v_cmp_lt_i32_e64 s[0:1], v17, v13
	v_lshlrev_b32_e32 v5, 7, v9
	v_cndmask_b32_e64 v17, v3, v17, s[0:1]
	v_cmp_lt_i32_e64 s[0:1], v18, v13
	v_cndmask_b32_e64 v3, v3, v18, s[0:1]
	v_lshl_add_u32 v2, v2, 6, v5
	s_mov_b32 s6, 0
	s_mov_b64 s[4:5], 0
	s_mov_b32 s7, 0xffff0000
	v_mov_b32_e32 v9, s15
	s_mov_b32 s8, 0x800000
	s_mov_b32 s9, 0x7f800000
	s_movk_i32 s10, 0x7fff
	v_mov_b32_e32 v12, s17
	v_lshlrev_b32_e32 v13, 2, v14
	v_lshlrev_b32_e32 v14, 2, v15
	;; [unrolled: 1-line block ×5, first 2 shown]
	v_or_b32_e32 v2, v2, v4
	v_mov_b32_e32 v20, 0
	s_waitcnt vmcnt(1)
	v_lshrrev_b32_e32 v18, 16, v1
	s_waitcnt vmcnt(0)
	v_lshrrev_b32_e32 v19, 16, v6
	s_branch .LBB126_15
.LBB126_14:                             ;   in Loop: Header=BB126_15 Depth=1
	s_or_b64 exec, exec, s[2:3]
	v_lshrrev_b32_e32 v3, 16, v3
	v_and_or_b32 v21, v4, s7, v3
	v_ashrrev_i32_e32 v3, 31, v2
	v_lshlrev_b64 v[4:5], 1, v[2:3]
	v_add_co_u32_e64 v4, s[0:1], s16, v4
	v_addc_co_u32_e64 v5, s[0:1], v12, v5, s[0:1]
	s_add_i32 s6, s6, 1
	v_cmp_ge_i32_e64 s[0:1], s6, v8
	v_add_u32_e32 v2, 64, v2
	s_or_b64 s[4:5], s[0:1], s[4:5]
	v_add_u32_e32 v11, 0x80, v11
	global_store_dword v[4:5], v21, off
	s_andn2_b64 exec, exec, s[4:5]
	s_cbranch_execz .LBB126_25
.LBB126_15:                             ; =>This Inner Loop Header: Depth=1
	ds_read_b32 v3, v11
	s_waitcnt lgkmcnt(0)
	v_and_b32_e32 v5, 0xffff0000, v3
	v_lshlrev_b32_e32 v4, 16, v3
	v_pk_mul_f32 v[22:23], v[4:5], v[4:5]
	v_add_f32_e32 v3, v23, v22
	ds_bpermute_b32 v21, v13, v3
	v_mov_b32_e32 v23, v9
	v_add_u32_e32 v22, s6, v0
	v_cmp_gt_i32_e64 s[2:3], s12, v22
	v_cndmask_b32_e64 v22, v6, v1, s[2:3]
	s_waitcnt lgkmcnt(0)
	v_add_f32_e32 v3, v3, v21
	ds_bpermute_b32 v21, v14, v3
	v_lshlrev_b32_e32 v22, 16, v22
	s_waitcnt lgkmcnt(0)
	v_add_f32_e32 v3, v3, v21
	ds_bpermute_b32 v21, v15, v3
	s_waitcnt lgkmcnt(0)
	v_add_f32_e32 v3, v3, v21
	ds_bpermute_b32 v21, v16, v3
	;; [unrolled: 3-line block ×3, first 2 shown]
	s_waitcnt lgkmcnt(0)
	v_add_f32_e32 v3, v3, v21
	v_fmac_f32_e32 v23, 0x3c800000, v3
	v_mul_f32_e32 v3, 0x4b800000, v23
	v_cmp_gt_f32_e64 s[0:1], s8, v23
	v_cndmask_b32_e64 v3, v23, v3, s[0:1]
	v_rsq_f32_e32 v3, v3
	v_cndmask_b32_e64 v21, v19, v18, s[2:3]
	v_lshlrev_b32_e32 v23, 16, v21
	v_mul_f32_e32 v21, 0x45800000, v3
	v_cndmask_b32_e64 v24, v3, v21, s[0:1]
	v_pk_mul_f32 v[22:23], v[24:25], v[22:23] op_sel_hi:[0,1]
	v_pk_mul_f32 v[4:5], v[22:23], v[4:5]
	s_and_saveexec_b64 s[0:1], vcc
	s_cbranch_execz .LBB126_17
; %bb.16:                               ;   in Loop: Header=BB126_15 Depth=1
	ds_read_u16 v3, v7
	ds_read_u16 v21, v10
	s_waitcnt lgkmcnt(1)
	v_lshlrev_b32_e32 v23, 16, v3
	s_waitcnt lgkmcnt(0)
	v_lshlrev_b32_e32 v22, 16, v21
	v_pk_mul_f32 v[24:25], v[4:5], v[22:23]
	v_mov_b32_e32 v3, v24
	v_mul_f32_e32 v21, v4, v23
	v_pk_fma_f32 v[24:25], v[4:5], v[22:23], v[2:3]
	v_fma_f32 v4, -v5, v22, v21
	v_mov_b32_e32 v5, v25
.LBB126_17:                             ;   in Loop: Header=BB126_15 Depth=1
	s_or_b64 exec, exec, s[0:1]
	v_and_b32_e32 v3, 0x7f800000, v4
	v_cmp_ne_u32_e64 s[0:1], s9, v3
                                        ; implicit-def: $vgpr3
	s_and_saveexec_b64 s[2:3], s[0:1]
	s_xor_b64 s[0:1], exec, s[2:3]
; %bb.18:                               ;   in Loop: Header=BB126_15 Depth=1
	v_bfe_u32 v3, v4, 16, 1
	v_add3_u32 v3, v4, v3, s10
; %bb.19:                               ;   in Loop: Header=BB126_15 Depth=1
	s_andn2_saveexec_b64 s[2:3], s[0:1]
; %bb.20:                               ;   in Loop: Header=BB126_15 Depth=1
	v_or_b32_e32 v3, 0x10000, v4
	v_cmp_eq_u32_sdwa s[0:1], v4, v20 src0_sel:WORD_0 src1_sel:DWORD
	v_cndmask_b32_e64 v3, v3, v4, s[0:1]
; %bb.21:                               ;   in Loop: Header=BB126_15 Depth=1
	s_or_b64 exec, exec, s[2:3]
	v_and_b32_e32 v4, 0x7f800000, v5
	v_cmp_ne_u32_e64 s[0:1], s9, v4
                                        ; implicit-def: $vgpr4
	s_and_saveexec_b64 s[2:3], s[0:1]
	s_xor_b64 s[0:1], exec, s[2:3]
; %bb.22:                               ;   in Loop: Header=BB126_15 Depth=1
	v_bfe_u32 v4, v5, 16, 1
	v_add3_u32 v4, v5, v4, s10
                                        ; implicit-def: $vgpr5
; %bb.23:                               ;   in Loop: Header=BB126_15 Depth=1
	s_andn2_saveexec_b64 s[2:3], s[0:1]
	s_cbranch_execz .LBB126_14
; %bb.24:                               ;   in Loop: Header=BB126_15 Depth=1
	v_or_b32_e32 v4, 0x10000, v5
	v_cmp_eq_u32_sdwa s[0:1], v5, v20 src0_sel:WORD_0 src1_sel:DWORD
	v_cndmask_b32_e64 v4, v4, v5, s[0:1]
	s_branch .LBB126_14
.LBB126_25:
	s_endpgm
	.section	.rodata,"a",@progbits
	.p2align	6, 0x0
	.amdhsa_kernel _ZN12tensorrt_llm7kernels32fusedQKNormRopeKernelNTokenHeadsIN3c108BFloat16ES3_Li64ELb1ELi2EEEvPviiifPKvS6_S6_PKlii
		.amdhsa_group_segment_fixed_size 0
		.amdhsa_private_segment_fixed_size 0
		.amdhsa_kernarg_size 320
		.amdhsa_user_sgpr_count 6
		.amdhsa_user_sgpr_private_segment_buffer 1
		.amdhsa_user_sgpr_dispatch_ptr 0
		.amdhsa_user_sgpr_queue_ptr 0
		.amdhsa_user_sgpr_kernarg_segment_ptr 1
		.amdhsa_user_sgpr_dispatch_id 0
		.amdhsa_user_sgpr_flat_scratch_init 0
		.amdhsa_user_sgpr_kernarg_preload_length 0
		.amdhsa_user_sgpr_kernarg_preload_offset 0
		.amdhsa_user_sgpr_private_segment_size 0
		.amdhsa_uses_dynamic_stack 0
		.amdhsa_system_sgpr_private_segment_wavefront_offset 0
		.amdhsa_system_sgpr_workgroup_id_x 1
		.amdhsa_system_sgpr_workgroup_id_y 0
		.amdhsa_system_sgpr_workgroup_id_z 0
		.amdhsa_system_sgpr_workgroup_info 0
		.amdhsa_system_vgpr_workitem_id 0
		.amdhsa_next_free_vgpr 26
		.amdhsa_next_free_sgpr 24
		.amdhsa_accum_offset 28
		.amdhsa_reserve_vcc 1
		.amdhsa_reserve_flat_scratch 0
		.amdhsa_float_round_mode_32 0
		.amdhsa_float_round_mode_16_64 0
		.amdhsa_float_denorm_mode_32 3
		.amdhsa_float_denorm_mode_16_64 3
		.amdhsa_dx10_clamp 1
		.amdhsa_ieee_mode 1
		.amdhsa_fp16_overflow 0
		.amdhsa_tg_split 0
		.amdhsa_exception_fp_ieee_invalid_op 0
		.amdhsa_exception_fp_denorm_src 0
		.amdhsa_exception_fp_ieee_div_zero 0
		.amdhsa_exception_fp_ieee_overflow 0
		.amdhsa_exception_fp_ieee_underflow 0
		.amdhsa_exception_fp_ieee_inexact 0
		.amdhsa_exception_int_div_zero 0
	.end_amdhsa_kernel
	.section	.text._ZN12tensorrt_llm7kernels32fusedQKNormRopeKernelNTokenHeadsIN3c108BFloat16ES3_Li64ELb1ELi2EEEvPviiifPKvS6_S6_PKlii,"axG",@progbits,_ZN12tensorrt_llm7kernels32fusedQKNormRopeKernelNTokenHeadsIN3c108BFloat16ES3_Li64ELb1ELi2EEEvPviiifPKvS6_S6_PKlii,comdat
.Lfunc_end126:
	.size	_ZN12tensorrt_llm7kernels32fusedQKNormRopeKernelNTokenHeadsIN3c108BFloat16ES3_Li64ELb1ELi2EEEvPviiifPKvS6_S6_PKlii, .Lfunc_end126-_ZN12tensorrt_llm7kernels32fusedQKNormRopeKernelNTokenHeadsIN3c108BFloat16ES3_Li64ELb1ELi2EEEvPviiifPKvS6_S6_PKlii
                                        ; -- End function
	.section	.AMDGPU.csdata,"",@progbits
; Kernel info:
; codeLenInByte = 1868
; NumSgprs: 28
; NumVgprs: 26
; NumAgprs: 0
; TotalNumVgprs: 26
; ScratchSize: 0
; MemoryBound: 0
; FloatMode: 240
; IeeeMode: 1
; LDSByteSize: 0 bytes/workgroup (compile time only)
; SGPRBlocks: 3
; VGPRBlocks: 3
; NumSGPRsForWavesPerEU: 28
; NumVGPRsForWavesPerEU: 26
; AccumOffset: 28
; Occupancy: 8
; WaveLimiterHint : 0
; COMPUTE_PGM_RSRC2:SCRATCH_EN: 0
; COMPUTE_PGM_RSRC2:USER_SGPR: 6
; COMPUTE_PGM_RSRC2:TRAP_HANDLER: 0
; COMPUTE_PGM_RSRC2:TGID_X_EN: 1
; COMPUTE_PGM_RSRC2:TGID_Y_EN: 0
; COMPUTE_PGM_RSRC2:TGID_Z_EN: 0
; COMPUTE_PGM_RSRC2:TIDIG_COMP_CNT: 0
; COMPUTE_PGM_RSRC3_GFX90A:ACCUM_OFFSET: 6
; COMPUTE_PGM_RSRC3_GFX90A:TG_SPLIT: 0
	.section	.text._ZN12tensorrt_llm7kernels32fusedQKNormRopeKernelNTokenHeadsIN3c108BFloat16ES3_Li64ELb0ELi2EEEvPviiifPKvS6_S6_PKlii,"axG",@progbits,_ZN12tensorrt_llm7kernels32fusedQKNormRopeKernelNTokenHeadsIN3c108BFloat16ES3_Li64ELb0ELi2EEEvPviiifPKvS6_S6_PKlii,comdat
	.protected	_ZN12tensorrt_llm7kernels32fusedQKNormRopeKernelNTokenHeadsIN3c108BFloat16ES3_Li64ELb0ELi2EEEvPviiifPKvS6_S6_PKlii ; -- Begin function _ZN12tensorrt_llm7kernels32fusedQKNormRopeKernelNTokenHeadsIN3c108BFloat16ES3_Li64ELb0ELi2EEEvPviiifPKvS6_S6_PKlii
	.globl	_ZN12tensorrt_llm7kernels32fusedQKNormRopeKernelNTokenHeadsIN3c108BFloat16ES3_Li64ELb0ELi2EEEvPviiifPKvS6_S6_PKlii
	.p2align	8
	.type	_ZN12tensorrt_llm7kernels32fusedQKNormRopeKernelNTokenHeadsIN3c108BFloat16ES3_Li64ELb0ELi2EEEvPviiifPKvS6_S6_PKlii,@function
_ZN12tensorrt_llm7kernels32fusedQKNormRopeKernelNTokenHeadsIN3c108BFloat16ES3_Li64ELb0ELi2EEEvPviiifPKvS6_S6_PKlii: ; @_ZN12tensorrt_llm7kernels32fusedQKNormRopeKernelNTokenHeadsIN3c108BFloat16ES3_Li64ELb0ELi2EEEvPviiifPKvS6_S6_PKlii
; %bb.0:
	s_load_dwordx4 s[12:15], s[4:5], 0x8
	s_load_dwordx2 s[2:3], s[4:5], 0x38
	s_load_dword s0, s[4:5], 0x4c
	v_lshrrev_b32_e32 v12, 5, v0
	s_waitcnt lgkmcnt(0)
	s_add_i32 s19, s13, s12
	s_add_i32 s1, s19, 1
	s_lshr_b32 s7, s1, 31
	s_add_i32 s1, s1, s7
	s_ashr_i32 s21, s1, 1
	s_abs_i32 s1, s21
	v_cvt_f32_u32_e32 v1, s1
	s_bfe_u32 s0, s0, 0xb0005
	s_mul_i32 s6, s6, s0
	v_add_u32_e32 v8, s6, v12
	v_rcp_iflag_f32_e32 v1, v1
	s_sub_i32 s6, 0, s1
	v_sub_u32_e32 v2, 0, v8
	v_max_i32_e32 v2, v8, v2
	v_mul_f32_e32 v1, 0x4f7ffffe, v1
	v_cvt_u32_f32_e32 v1, v1
	v_xor_b32_e32 v3, s21, v8
	v_ashrrev_i32_e32 v3, 31, v3
	v_mul_lo_u32 v4, s6, v1
	v_mul_hi_u32 v4, v1, v4
	v_add_u32_e32 v1, v1, v4
	v_mul_hi_u32 v1, v2, v1
	v_mul_lo_u32 v4, v1, s1
	v_sub_u32_e32 v2, v2, v4
	v_add_u32_e32 v4, 1, v1
	v_cmp_le_u32_e32 vcc, s1, v2
	v_cndmask_b32_e32 v1, v1, v4, vcc
	v_subrev_u32_e32 v4, s1, v2
	v_cndmask_b32_e32 v2, v2, v4, vcc
	v_add_u32_e32 v4, 1, v1
	v_cmp_le_u32_e32 vcc, s1, v2
	v_cndmask_b32_e32 v1, v1, v4, vcc
	v_xor_b32_e32 v1, v1, v3
	v_sub_u32_e32 v2, v1, v3
	v_cmp_gt_i32_e32 vcc, s2, v2
	s_and_saveexec_b64 s[6:7], vcc
	s_cbranch_execz .LBB127_25
; %bb.1:
	v_and_b32_e32 v9, 31, v0
	v_mul_lo_u32 v0, v2, s21
	v_sub_u32_e32 v0, v8, v0
	s_load_dwordx2 s[16:17], s[4:5], 0x0
	v_lshlrev_b32_e32 v0, 1, v0
	v_add_u32_e32 v1, 2, v0
	v_sub_u32_e32 v3, s19, v0
	v_cmp_lt_i32_e32 vcc, s19, v1
	v_cndmask_b32_e32 v7, 2, v3, vcc
	s_lshl_b32 s2, s3, 1
	s_mul_i32 s20, s2, s0
	v_lshlrev_b32_e32 v10, 8, v12
	v_cmp_lt_i32_e64 s[0:1], 0, v7
	v_lshlrev_b32_e32 v11, 2, v9
	s_and_saveexec_b64 s[6:7], s[0:1]
	s_cbranch_execz .LBB127_9
; %bb.2:
	s_mov_b32 s18, 1
	v_lshlrev_b32_e32 v4, 1, v9
	v_cmp_ne_u32_e32 vcc, 1, v7
	s_mov_b64 s[10:11], -1
	v_mov_b32_e32 v1, 0
	s_and_saveexec_b64 s[8:9], vcc
	s_cbranch_execz .LBB127_6
; %bb.3:
	s_add_i32 s19, s19, s14
	s_add_i32 s10, s20, 0
	v_mul_lo_u32 v6, v2, s19
	s_mov_b32 s22, 0
	v_add3_u32 v13, s10, v10, v11
	v_mov_b32_e32 v1, v0
	s_mov_b32 s19, s12
	s_mov_b32 s23, s12
	v_mov_b32_e32 v3, v6
	v_mov_b32_e32 v5, v4
	v_and_b32_e32 v14, 0x7ffffffe, v7
	s_mov_b64 s[10:11], 0
	v_mov_b32_e32 v15, s12
	v_mov_b32_e32 v16, s12
	s_waitcnt lgkmcnt(0)
	v_mov_b32_e32 v17, s17
.LBB127_4:                              ; =>This Inner Loop Header: Depth=1
	v_add_u32_e32 v19, s18, v1
	v_add_u32_e32 v18, s22, v0
	v_cmp_le_i32_e32 vcc, s23, v19
	v_cndmask_b32_e32 v20, 0, v15, vcc
	v_cmp_le_i32_e32 vcc, s19, v18
	v_cndmask_b32_e32 v21, 0, v16, vcc
	v_sub_u32_e32 v18, v18, v21
	v_sub_u32_e32 v19, v19, v20
	v_add3_u32 v18, v6, v21, v18
	v_add3_u32 v19, v3, v20, v19
	v_lshl_or_b32 v18, v18, 6, v4
	v_lshl_or_b32 v20, v19, 6, v5
	v_ashrrev_i32_e32 v19, 31, v18
	v_lshlrev_b64 v[18:19], 1, v[18:19]
	v_ashrrev_i32_e32 v21, 31, v20
	v_add_co_u32_e32 v18, vcc, s16, v18
	v_lshlrev_b64 v[20:21], 1, v[20:21]
	v_addc_co_u32_e32 v19, vcc, v17, v19, vcc
	v_add_co_u32_e32 v20, vcc, s16, v20
	v_addc_co_u32_e32 v21, vcc, v17, v21, vcc
	global_load_dword v22, v[18:19], off
	global_load_dword v23, v[20:21], off
	v_add_u32_e32 v14, -2, v14
	v_lshl_add_u32 v18, s22, 7, v13
	v_lshl_add_u32 v19, s18, 7, v13
	s_add_i32 s22, s22, 2
	s_add_i32 s18, s18, 2
	v_cmp_eq_u32_e32 vcc, 0, v14
	s_or_b64 s[10:11], vcc, s[10:11]
	s_waitcnt vmcnt(1)
	ds_write_b32 v18, v22
	s_waitcnt vmcnt(0)
	ds_write_b32 v19, v23
	s_andn2_b64 exec, exec, s[10:11]
	s_cbranch_execnz .LBB127_4
; %bb.5:
	s_or_b64 exec, exec, s[10:11]
	v_and_b32_e32 v1, 0x7ffffffe, v7
	v_cmp_ne_u32_e32 vcc, v7, v1
	s_orn2_b64 s[10:11], vcc, exec
.LBB127_6:
	s_or_b64 exec, exec, s[8:9]
	s_and_b64 exec, exec, s[10:11]
	s_cbranch_execz .LBB127_9
; %bb.7:
	s_add_i32 s8, s14, s13
	s_add_i32 s8, s8, s12
	s_lshl_b32 s9, s21, 1
	s_sub_i32 s8, s8, s9
	v_mul_lo_u32 v3, s8, v2
	v_lshlrev_b32_e32 v5, 1, v8
	v_add3_u32 v3, v1, v3, v5
	v_lshl_or_b32 v4, v3, 6, v4
	v_lshlrev_b32_e32 v3, 7, v1
	v_add3_u32 v3, s20, v10, v3
	v_add3_u32 v3, v3, v11, 0
	s_mov_b64 s[8:9], 0
	s_waitcnt lgkmcnt(0)
	v_mov_b32_e32 v6, s17
.LBB127_8:                              ; =>This Inner Loop Header: Depth=1
	v_ashrrev_i32_e32 v5, 31, v4
	v_lshlrev_b64 v[14:15], 1, v[4:5]
	v_add_co_u32_e32 v14, vcc, s16, v14
	v_addc_co_u32_e32 v15, vcc, v6, v15, vcc
	global_load_dword v5, v[14:15], off
	v_add_u32_e32 v1, 1, v1
	v_cmp_ge_i32_e32 vcc, v1, v7
	v_add_u32_e32 v4, 64, v4
	s_or_b64 s[8:9], vcc, s[8:9]
	s_waitcnt vmcnt(0)
	ds_write_b32 v3, v5
	v_add_u32_e32 v3, 0x80, v3
	s_andn2_b64 exec, exec, s[8:9]
	s_cbranch_execnz .LBB127_8
.LBB127_9:
	s_or_b64 exec, exec, s[6:7]
	s_add_i32 s2, s2, 15
	s_load_dwordx8 s[4:11], s[4:5], 0x18
	s_ashr_i32 s18, s2, 31
	s_lshr_b32 s18, s18, 28
	s_add_i32 s2, s2, s18
	s_ashr_i32 s2, s2, 4
	v_cmp_gt_i32_e32 vcc, s2, v9
	v_mul_lo_u32 v12, v12, s3
	s_and_saveexec_b64 s[18:19], vcc
	s_cbranch_execz .LBB127_12
; %bb.10:
	v_ashrrev_i32_e32 v3, 31, v2
	v_lshlrev_b64 v[4:5], 3, v[2:3]
	s_waitcnt lgkmcnt(0)
	v_mov_b32_e32 v1, s11
	v_add_co_u32_e32 v4, vcc, s10, v4
	v_addc_co_u32_e32 v5, vcc, v1, v5, vcc
	global_load_dwordx2 v[4:5], v[4:5], off
	s_ashr_i32 s22, s3, 31
	v_lshlrev_b32_e32 v1, 1, v12
	v_lshlrev_b32_e32 v3, 4, v9
	v_add3_u32 v1, v1, v3, 0
	v_mov_b32_e32 v6, s9
	s_mov_b64 s[10:11], 0
	s_waitcnt vmcnt(0)
	v_mul_lo_u32 v13, v5, s3
	v_mul_lo_u32 v14, v4, s22
	v_mad_u64_u32 v[4:5], s[22:23], v4, s3, 0
	v_add3_u32 v5, v5, v14, v13
	v_lshlrev_b64 v[4:5], 1, v[4:5]
	v_add_co_u32_e32 v3, vcc, v4, v3
	v_addc_co_u32_e32 v5, vcc, 0, v5, vcc
	v_add_co_u32_e32 v4, vcc, s8, v3
	v_addc_co_u32_e32 v5, vcc, v6, v5, vcc
	v_mov_b32_e32 v3, v9
.LBB127_11:                             ; =>This Inner Loop Header: Depth=1
	global_load_dwordx4 v[14:17], v[4:5], off
	v_add_co_u32_e32 v4, vcc, 0x200, v4
	v_add_u32_e32 v3, 32, v3
	v_addc_co_u32_e32 v5, vcc, 0, v5, vcc
	v_cmp_le_i32_e32 vcc, s2, v3
	s_or_b64 s[10:11], vcc, s[10:11]
	s_waitcnt vmcnt(0)
	ds_write_b128 v1, v[14:17]
	v_add_u32_e32 v1, 0x200, v1
	s_andn2_b64 exec, exec, s[10:11]
	s_cbranch_execnz .LBB127_11
.LBB127_12:
	s_or_b64 exec, exec, s[18:19]
	s_and_b64 exec, exec, s[0:1]
	s_cbranch_execz .LBB127_25
; %bb.13:
	s_waitcnt lgkmcnt(0)
	global_load_dword v1, v11, s[4:5]
	global_load_dword v6, v11, s[6:7]
	v_mbcnt_lo_u32_b32 v4, -1, 0
	s_abs_i32 s4, s3
	s_lshr_b32 s0, s3, 31
	v_mbcnt_hi_u32_b32 v4, -1, v4
	v_cvt_f32_u32_e32 v14, s4
	v_lshl_add_u32 v3, v12, 1, 0
	s_add_i32 s1, s14, s13
	s_add_i32 s0, s3, s0
	v_and_b32_e32 v12, 0x60, v4
	s_add_i32 s7, s1, s12
	s_ashr_i32 s1, s0, 1
	s_and_b32 s0, s0, -2
	v_xor_b32_e32 v13, 16, v4
	v_add_u32_e32 v12, 32, v12
	v_xor_b32_e32 v15, 8, v4
	v_add_u32_e32 v21, s0, v3
	v_cmp_gt_i32_e32 vcc, s1, v9
	s_lshr_b32 s2, s1, 1
	v_cmp_lt_i32_e64 s[0:1], v13, v12
	v_xor_b32_e32 v16, 4, v4
	v_cndmask_b32_e64 v13, v4, v13, s[0:1]
	v_cmp_lt_i32_e64 s[0:1], v15, v12
	v_rcp_iflag_f32_e32 v22, v14
	v_xor_b32_e32 v17, 2, v4
	v_cndmask_b32_e64 v15, v4, v15, s[0:1]
	v_cmp_lt_i32_e64 s[0:1], v16, v12
	v_xor_b32_e32 v18, 1, v4
	v_cndmask_b32_e64 v16, v4, v16, s[0:1]
	v_cmp_lt_i32_e64 s[0:1], v17, v12
	v_cndmask_b32_e64 v17, v4, v17, s[0:1]
	v_cmp_lt_i32_e64 s[0:1], v18, v12
	v_cndmask_b32_e64 v18, v4, v18, s[0:1]
	v_lshlrev_b32_e32 v12, 2, v13
	v_lshlrev_b32_e32 v13, 2, v15
	v_lshlrev_b32_e32 v15, 2, v17
	v_mul_f32_e32 v17, 0x4f7ffffe, v22
	v_and_b32_e32 v19, 64, v4
	v_lshlrev_b32_e32 v14, 2, v16
	v_lshlrev_b32_e32 v16, 2, v18
	v_cvt_u32_f32_e32 v18, v17
	v_add_u32_e32 v19, 64, v19
	v_xor_b32_e32 v20, s2, v4
	v_cmp_gt_u32_e64 s[0:1], s2, v9
	v_cmp_lt_i32_e64 s[2:3], v20, v19
	s_sub_i32 s6, 0, s4
	v_cndmask_b32_e64 v4, v4, v20, s[2:3]
	v_lshlrev_b32_e32 v17, 2, v4
	v_mul_lo_u32 v4, s6, v18
	v_mul_hi_u32 v4, v18, v4
	v_add_u32_e32 v4, v18, v4
	v_or_b32_e32 v5, 2, v11
	v_mul_hi_u32 v18, v11, v4
	v_mul_hi_u32 v4, v5, v4
	v_mul_lo_u32 v18, v18, s4
	v_mul_lo_u32 v4, v4, s4
	v_sub_u32_e32 v18, v11, v18
	v_sub_u32_e32 v4, v5, v4
	v_subrev_u32_e32 v5, s4, v18
	v_cmp_le_u32_e64 s[2:3], s4, v18
	v_subrev_u32_e32 v19, s4, v4
	v_cndmask_b32_e64 v5, v18, v5, s[2:3]
	v_cmp_le_u32_e64 s[2:3], s4, v4
	v_cndmask_b32_e64 v4, v4, v19, s[2:3]
	v_subrev_u32_e32 v18, s4, v5
	v_cmp_le_u32_e64 s[2:3], s4, v5
	v_subrev_u32_e32 v19, s4, v4
	v_cndmask_b32_e64 v5, v5, v18, s[2:3]
	v_cmp_le_u32_e64 s[2:3], s4, v4
	s_lshl_b32 s5, s21, 1
	v_cndmask_b32_e64 v4, v4, v19, s[2:3]
	v_and_b32_e32 v5, -2, v5
	v_and_b32_e32 v4, -2, v4
	s_sub_i32 s2, s7, s5
	v_add_u32_e32 v18, v3, v5
	v_add_u32_e32 v20, v3, v4
	v_mul_lo_u32 v2, s2, v2
	v_lshlrev_b32_e32 v3, 7, v8
	v_lshl_add_u32 v2, v2, 6, v3
	v_add_u32_e32 v3, s20, v10
	s_mov_b32 s8, 0
	v_add_u32_e32 v19, v21, v5
	v_add_u32_e32 v21, v21, v4
	s_waitcnt vmcnt(1)
	v_lshrrev_b32_e32 v22, 16, v1
	s_waitcnt vmcnt(0)
	v_lshrrev_b32_e32 v23, 16, v6
	v_lshl_or_b32 v2, v9, 1, v2
	v_add3_u32 v8, v3, v11, 0
	s_mov_b64 s[6:7], 0
	s_mov_b32 s9, 0xffff0000
	v_mov_b32_e32 v9, s15
	s_mov_b32 s10, 0x800000
	s_mov_b32 s11, 0x7f800000
	s_movk_i32 s13, 0x7fff
	v_mov_b32_e32 v10, 0
	s_branch .LBB127_15
.LBB127_14:                             ;   in Loop: Header=BB127_15 Depth=1
	s_or_b64 exec, exec, s[4:5]
	v_lshrrev_b32_e32 v3, 16, v3
	v_and_or_b32 v11, v11, s9, v3
	v_ashrrev_i32_e32 v3, 31, v2
	v_lshlrev_b64 v[4:5], 1, v[2:3]
	v_mov_b32_e32 v3, s17
	v_add_co_u32_e64 v4, s[2:3], s16, v4
	v_addc_co_u32_e64 v5, s[2:3], v3, v5, s[2:3]
	s_add_i32 s8, s8, 1
	v_cmp_ge_i32_e64 s[2:3], s8, v7
	v_add_u32_e32 v2, 64, v2
	s_or_b64 s[6:7], s[2:3], s[6:7]
	v_add_u32_e32 v8, 0x80, v8
	global_store_dword v[4:5], v11, off
	s_andn2_b64 exec, exec, s[6:7]
	s_cbranch_execz .LBB127_25
.LBB127_15:                             ; =>This Inner Loop Header: Depth=1
	ds_read_b32 v3, v8
	v_mov_b32_e32 v11, v9
	s_waitcnt lgkmcnt(0)
	v_and_b32_e32 v24, 0xffff0000, v3
	v_lshlrev_b32_e32 v25, 16, v3
	v_pk_mul_f32 v[4:5], v[24:25], v[24:25]
	v_add_f32_e32 v3, v4, v5
	ds_bpermute_b32 v4, v12, v3
	v_add_u32_e32 v5, s8, v0
	v_cmp_gt_i32_e64 s[2:3], s12, v5
	v_cndmask_b32_e64 v5, v6, v1, s[2:3]
	s_waitcnt lgkmcnt(0)
	v_add_f32_e32 v3, v3, v4
	ds_bpermute_b32 v4, v13, v3
	s_waitcnt lgkmcnt(0)
	v_add_f32_e32 v3, v3, v4
	ds_bpermute_b32 v4, v14, v3
	;; [unrolled: 3-line block ×4, first 2 shown]
	s_waitcnt lgkmcnt(0)
	v_add_f32_e32 v3, v3, v4
	v_fmac_f32_e32 v11, 0x3c800000, v3
	v_mul_f32_e32 v3, 0x4b800000, v11
	v_cmp_gt_f32_e64 s[4:5], s10, v11
	v_cndmask_b32_e64 v3, v11, v3, s[4:5]
	v_rsq_f32_e32 v3, v3
	v_lshlrev_b32_e32 v4, 16, v5
	v_cndmask_b32_e64 v5, v23, v22, s[2:3]
	v_lshlrev_b32_e32 v5, 16, v5
	v_mul_f32_e32 v11, 0x45800000, v3
	v_cndmask_b32_e64 v3, v3, v11, s[4:5]
	v_mul_f32_e32 v4, v3, v4
	v_mul_f32_e32 v3, v3, v5
	;; [unrolled: 1-line block ×4, first 2 shown]
	s_and_saveexec_b64 s[2:3], vcc
	s_cbranch_execz .LBB127_17
; %bb.16:                               ;   in Loop: Header=BB127_15 Depth=1
	ds_bpermute_b32 v3, v17, v4
	; wave barrier
	ds_read_u16 v11, v18
	ds_read_u16 v24, v19
	ds_bpermute_b32 v25, v17, v5
	ds_read_u16 v26, v20
	ds_read_u16 v27, v21
	s_waitcnt lgkmcnt(5)
	v_cndmask_b32_e64 v3, v3, -v3, s[0:1]
	s_waitcnt lgkmcnt(4)
	v_lshlrev_b32_e32 v11, 16, v11
	s_waitcnt lgkmcnt(3)
	v_lshlrev_b32_e32 v24, 16, v24
	v_mul_f32_e32 v24, v3, v24
	v_fmac_f32_e32 v24, v4, v11
	s_waitcnt lgkmcnt(2)
	v_cndmask_b32_e64 v3, v25, -v25, s[0:1]
	s_waitcnt lgkmcnt(0)
	v_lshlrev_b32_e32 v11, 16, v27
	v_lshlrev_b32_e32 v4, 16, v26
	v_mul_f32_e32 v25, v3, v11
	v_fmac_f32_e32 v25, v5, v4
	v_pk_mov_b32 v[4:5], v[24:25], v[24:25] op_sel:[0,1]
	; wave barrier
.LBB127_17:                             ;   in Loop: Header=BB127_15 Depth=1
	s_or_b64 exec, exec, s[2:3]
	v_and_b32_e32 v3, 0x7f800000, v4
	v_cmp_ne_u32_e64 s[2:3], s11, v3
                                        ; implicit-def: $vgpr3
	s_and_saveexec_b64 s[4:5], s[2:3]
	s_xor_b64 s[2:3], exec, s[4:5]
; %bb.18:                               ;   in Loop: Header=BB127_15 Depth=1
	v_bfe_u32 v3, v4, 16, 1
	v_add3_u32 v3, v4, v3, s13
; %bb.19:                               ;   in Loop: Header=BB127_15 Depth=1
	s_andn2_saveexec_b64 s[4:5], s[2:3]
; %bb.20:                               ;   in Loop: Header=BB127_15 Depth=1
	v_or_b32_e32 v3, 0x10000, v4
	v_cmp_eq_u32_sdwa s[2:3], v4, v10 src0_sel:WORD_0 src1_sel:DWORD
	v_cndmask_b32_e64 v3, v3, v4, s[2:3]
; %bb.21:                               ;   in Loop: Header=BB127_15 Depth=1
	s_or_b64 exec, exec, s[4:5]
	v_and_b32_e32 v4, 0x7f800000, v5
	v_cmp_ne_u32_e64 s[2:3], s11, v4
                                        ; implicit-def: $vgpr11
	s_and_saveexec_b64 s[4:5], s[2:3]
	s_xor_b64 s[2:3], exec, s[4:5]
; %bb.22:                               ;   in Loop: Header=BB127_15 Depth=1
	v_bfe_u32 v4, v5, 16, 1
	v_add3_u32 v11, v5, v4, s13
                                        ; implicit-def: $vgpr4_vgpr5
; %bb.23:                               ;   in Loop: Header=BB127_15 Depth=1
	s_andn2_saveexec_b64 s[4:5], s[2:3]
	s_cbranch_execz .LBB127_14
; %bb.24:                               ;   in Loop: Header=BB127_15 Depth=1
	v_or_b32_e32 v4, 0x10000, v5
	v_cmp_eq_u32_sdwa s[2:3], v5, v10 src0_sel:WORD_0 src1_sel:DWORD
	v_cndmask_b32_e64 v11, v4, v5, s[2:3]
	s_branch .LBB127_14
.LBB127_25:
	s_endpgm
	.section	.rodata,"a",@progbits
	.p2align	6, 0x0
	.amdhsa_kernel _ZN12tensorrt_llm7kernels32fusedQKNormRopeKernelNTokenHeadsIN3c108BFloat16ES3_Li64ELb0ELi2EEEvPviiifPKvS6_S6_PKlii
		.amdhsa_group_segment_fixed_size 0
		.amdhsa_private_segment_fixed_size 0
		.amdhsa_kernarg_size 320
		.amdhsa_user_sgpr_count 6
		.amdhsa_user_sgpr_private_segment_buffer 1
		.amdhsa_user_sgpr_dispatch_ptr 0
		.amdhsa_user_sgpr_queue_ptr 0
		.amdhsa_user_sgpr_kernarg_segment_ptr 1
		.amdhsa_user_sgpr_dispatch_id 0
		.amdhsa_user_sgpr_flat_scratch_init 0
		.amdhsa_user_sgpr_kernarg_preload_length 0
		.amdhsa_user_sgpr_kernarg_preload_offset 0
		.amdhsa_user_sgpr_private_segment_size 0
		.amdhsa_uses_dynamic_stack 0
		.amdhsa_system_sgpr_private_segment_wavefront_offset 0
		.amdhsa_system_sgpr_workgroup_id_x 1
		.amdhsa_system_sgpr_workgroup_id_y 0
		.amdhsa_system_sgpr_workgroup_id_z 0
		.amdhsa_system_sgpr_workgroup_info 0
		.amdhsa_system_vgpr_workitem_id 0
		.amdhsa_next_free_vgpr 28
		.amdhsa_next_free_sgpr 24
		.amdhsa_accum_offset 28
		.amdhsa_reserve_vcc 1
		.amdhsa_reserve_flat_scratch 0
		.amdhsa_float_round_mode_32 0
		.amdhsa_float_round_mode_16_64 0
		.amdhsa_float_denorm_mode_32 3
		.amdhsa_float_denorm_mode_16_64 3
		.amdhsa_dx10_clamp 1
		.amdhsa_ieee_mode 1
		.amdhsa_fp16_overflow 0
		.amdhsa_tg_split 0
		.amdhsa_exception_fp_ieee_invalid_op 0
		.amdhsa_exception_fp_denorm_src 0
		.amdhsa_exception_fp_ieee_div_zero 0
		.amdhsa_exception_fp_ieee_overflow 0
		.amdhsa_exception_fp_ieee_underflow 0
		.amdhsa_exception_fp_ieee_inexact 0
		.amdhsa_exception_int_div_zero 0
	.end_amdhsa_kernel
	.section	.text._ZN12tensorrt_llm7kernels32fusedQKNormRopeKernelNTokenHeadsIN3c108BFloat16ES3_Li64ELb0ELi2EEEvPviiifPKvS6_S6_PKlii,"axG",@progbits,_ZN12tensorrt_llm7kernels32fusedQKNormRopeKernelNTokenHeadsIN3c108BFloat16ES3_Li64ELb0ELi2EEEvPviiifPKvS6_S6_PKlii,comdat
.Lfunc_end127:
	.size	_ZN12tensorrt_llm7kernels32fusedQKNormRopeKernelNTokenHeadsIN3c108BFloat16ES3_Li64ELb0ELi2EEEvPviiifPKvS6_S6_PKlii, .Lfunc_end127-_ZN12tensorrt_llm7kernels32fusedQKNormRopeKernelNTokenHeadsIN3c108BFloat16ES3_Li64ELb0ELi2EEEvPviiifPKvS6_S6_PKlii
                                        ; -- End function
	.section	.AMDGPU.csdata,"",@progbits
; Kernel info:
; codeLenInByte = 2168
; NumSgprs: 28
; NumVgprs: 28
; NumAgprs: 0
; TotalNumVgprs: 28
; ScratchSize: 0
; MemoryBound: 0
; FloatMode: 240
; IeeeMode: 1
; LDSByteSize: 0 bytes/workgroup (compile time only)
; SGPRBlocks: 3
; VGPRBlocks: 3
; NumSGPRsForWavesPerEU: 28
; NumVGPRsForWavesPerEU: 28
; AccumOffset: 28
; Occupancy: 8
; WaveLimiterHint : 0
; COMPUTE_PGM_RSRC2:SCRATCH_EN: 0
; COMPUTE_PGM_RSRC2:USER_SGPR: 6
; COMPUTE_PGM_RSRC2:TRAP_HANDLER: 0
; COMPUTE_PGM_RSRC2:TGID_X_EN: 1
; COMPUTE_PGM_RSRC2:TGID_Y_EN: 0
; COMPUTE_PGM_RSRC2:TGID_Z_EN: 0
; COMPUTE_PGM_RSRC2:TIDIG_COMP_CNT: 0
; COMPUTE_PGM_RSRC3_GFX90A:ACCUM_OFFSET: 6
; COMPUTE_PGM_RSRC3_GFX90A:TG_SPLIT: 0
	.section	.text._ZN12tensorrt_llm7kernels32fusedQKNormRopeKernelNTokenHeadsIN3c108BFloat16ES3_Li128ELb1ELi2EEEvPviiifPKvS6_S6_PKlii,"axG",@progbits,_ZN12tensorrt_llm7kernels32fusedQKNormRopeKernelNTokenHeadsIN3c108BFloat16ES3_Li128ELb1ELi2EEEvPviiifPKvS6_S6_PKlii,comdat
	.protected	_ZN12tensorrt_llm7kernels32fusedQKNormRopeKernelNTokenHeadsIN3c108BFloat16ES3_Li128ELb1ELi2EEEvPviiifPKvS6_S6_PKlii ; -- Begin function _ZN12tensorrt_llm7kernels32fusedQKNormRopeKernelNTokenHeadsIN3c108BFloat16ES3_Li128ELb1ELi2EEEvPviiifPKvS6_S6_PKlii
	.globl	_ZN12tensorrt_llm7kernels32fusedQKNormRopeKernelNTokenHeadsIN3c108BFloat16ES3_Li128ELb1ELi2EEEvPviiifPKvS6_S6_PKlii
	.p2align	8
	.type	_ZN12tensorrt_llm7kernels32fusedQKNormRopeKernelNTokenHeadsIN3c108BFloat16ES3_Li128ELb1ELi2EEEvPviiifPKvS6_S6_PKlii,@function
_ZN12tensorrt_llm7kernels32fusedQKNormRopeKernelNTokenHeadsIN3c108BFloat16ES3_Li128ELb1ELi2EEEvPviiifPKvS6_S6_PKlii: ; @_ZN12tensorrt_llm7kernels32fusedQKNormRopeKernelNTokenHeadsIN3c108BFloat16ES3_Li128ELb1ELi2EEEvPviiifPKvS6_S6_PKlii
; %bb.0:
	s_load_dwordx4 s[12:15], s[4:5], 0x8
	s_load_dwordx2 s[16:17], s[4:5], 0x38
	s_load_dword s1, s[4:5], 0x4c
	v_lshrrev_b32_e32 v2, 5, v0
	s_waitcnt lgkmcnt(0)
	s_add_i32 s0, s13, s12
	s_add_i32 s2, s0, 1
	s_lshr_b32 s3, s2, 31
	s_add_i32 s2, s2, s3
	s_ashr_i32 s20, s2, 1
	s_abs_i32 s2, s20
	v_cvt_f32_u32_e32 v1, s2
	s_bfe_u32 s1, s1, 0xb0005
	s_mul_i32 s6, s6, s1
	s_sub_i32 s3, 0, s2
	v_rcp_iflag_f32_e32 v3, v1
	v_add_u32_e32 v1, s6, v2
	v_sub_u32_e32 v4, 0, v1
	v_max_i32_e32 v4, v1, v4
	v_mul_f32_e32 v3, 0x4f7ffffe, v3
	v_cvt_u32_f32_e32 v3, v3
	v_xor_b32_e32 v5, s20, v1
	v_ashrrev_i32_e32 v5, 31, v5
	v_mul_lo_u32 v6, s3, v3
	v_mul_hi_u32 v6, v3, v6
	v_add_u32_e32 v3, v3, v6
	v_mul_hi_u32 v3, v4, v3
	v_mul_lo_u32 v6, v3, s2
	v_sub_u32_e32 v4, v4, v6
	v_add_u32_e32 v6, 1, v3
	v_cmp_le_u32_e32 vcc, s2, v4
	v_cndmask_b32_e32 v3, v3, v6, vcc
	v_subrev_u32_e32 v6, s2, v4
	v_cndmask_b32_e32 v4, v4, v6, vcc
	v_add_u32_e32 v6, 1, v3
	v_cmp_le_u32_e32 vcc, s2, v4
	v_cndmask_b32_e32 v3, v3, v6, vcc
	v_xor_b32_e32 v3, v3, v5
	v_sub_u32_e32 v4, v3, v5
	v_cmp_gt_i32_e32 vcc, s16, v4
	s_and_saveexec_b64 s[2:3], vcc
	s_cbranch_execz .LBB128_28
; %bb.1:
	v_and_b32_e32 v6, 31, v0
	v_mul_lo_u32 v0, v4, s20
	v_sub_u32_e32 v0, v1, v0
	s_load_dwordx2 s[2:3], s[4:5], 0x0
	v_lshlrev_b32_e32 v10, 1, v0
	v_add_u32_e32 v0, 2, v10
	v_sub_u32_e32 v3, s0, v10
	v_cmp_lt_i32_e32 vcc, s0, v0
	v_cndmask_b32_e32 v11, 2, v3, vcc
	s_lshl_b32 s18, s17, 1
	s_mul_i32 s16, s18, s1
	v_lshlrev_b32_e32 v9, 9, v2
	v_cmp_lt_i32_e64 s[0:1], 0, v11
	v_lshlrev_b32_e32 v8, 3, v6
	v_lshlrev_b32_e32 v7, 8, v1
	s_and_saveexec_b64 s[6:7], s[0:1]
	s_cbranch_execz .LBB128_4
; %bb.2:
	s_add_i32 s8, s16, 0
	v_add3_u32 v3, s8, v9, v8
	s_add_i32 s8, s14, s13
	s_add_i32 s8, s8, s12
	s_lshl_b32 s9, s20, 1
	s_sub_i32 s8, s8, s9
	v_mul_lo_u32 v0, s8, v4
	v_lshl_add_u32 v0, v0, 7, v7
	s_mov_b32 s10, 0
	v_lshl_or_b32 v0, v6, 2, v0
	s_mov_b64 s[8:9], 0
	s_waitcnt lgkmcnt(0)
	v_mov_b32_e32 v5, s3
.LBB128_3:                              ; =>This Inner Loop Header: Depth=1
	v_ashrrev_i32_e32 v1, 31, v0
	v_lshlrev_b64 v[12:13], 1, v[0:1]
	v_add_co_u32_e32 v12, vcc, s2, v12
	v_addc_co_u32_e32 v13, vcc, v5, v13, vcc
	global_load_dwordx2 v[12:13], v[12:13], off
	s_add_i32 s10, s10, 1
	v_cmp_ge_i32_e32 vcc, s10, v11
	v_add_u32_e32 v0, 0x80, v0
	s_or_b64 s[8:9], vcc, s[8:9]
	s_waitcnt vmcnt(0)
	ds_write_b64 v3, v[12:13]
	v_add_u32_e32 v3, 0x100, v3
	s_andn2_b64 exec, exec, s[8:9]
	s_cbranch_execnz .LBB128_3
.LBB128_4:
	s_or_b64 exec, exec, s[6:7]
	s_add_i32 s18, s18, 15
	s_load_dwordx8 s[4:11], s[4:5], 0x18
	s_ashr_i32 s19, s18, 31
	s_lshr_b32 s19, s19, 28
	s_add_i32 s18, s18, s19
	s_ashr_i32 s21, s18, 4
	v_mul_lo_u32 v0, v2, s17
	v_cmp_gt_i32_e32 vcc, s21, v6
	v_lshlrev_b32_e32 v13, 1, v0
	s_and_saveexec_b64 s[18:19], vcc
	s_cbranch_execz .LBB128_7
; %bb.5:
	v_ashrrev_i32_e32 v5, 31, v4
	v_lshlrev_b64 v[0:1], 3, v[4:5]
	s_waitcnt lgkmcnt(0)
	v_mov_b32_e32 v2, s11
	v_add_co_u32_e32 v0, vcc, s10, v0
	v_addc_co_u32_e32 v1, vcc, v2, v1, vcc
	global_load_dwordx2 v[0:1], v[0:1], off
	s_ashr_i32 s22, s17, 31
	v_lshlrev_b32_e32 v3, 4, v6
	v_mov_b32_e32 v5, s9
	s_mov_b64 s[10:11], 0
	v_add3_u32 v2, v13, v3, 0
	s_waitcnt vmcnt(0)
	v_mul_lo_u32 v12, v1, s17
	v_mul_lo_u32 v14, v0, s22
	v_mad_u64_u32 v[0:1], s[22:23], v0, s17, 0
	v_add3_u32 v1, v1, v14, v12
	v_lshlrev_b64 v[0:1], 1, v[0:1]
	v_add_co_u32_e32 v0, vcc, v0, v3
	v_addc_co_u32_e32 v1, vcc, 0, v1, vcc
	v_add_co_u32_e32 v0, vcc, s8, v0
	v_addc_co_u32_e32 v1, vcc, v5, v1, vcc
	v_mov_b32_e32 v3, v6
.LBB128_6:                              ; =>This Inner Loop Header: Depth=1
	global_load_dwordx4 v[14:17], v[0:1], off
	v_add_co_u32_e32 v0, vcc, 0x200, v0
	v_add_u32_e32 v3, 32, v3
	v_addc_co_u32_e32 v1, vcc, 0, v1, vcc
	v_cmp_le_i32_e32 vcc, s21, v3
	s_or_b64 s[10:11], vcc, s[10:11]
	s_waitcnt vmcnt(0)
	ds_write_b128 v2, v[14:17]
	v_add_u32_e32 v2, 0x200, v2
	s_andn2_b64 exec, exec, s[10:11]
	s_cbranch_execnz .LBB128_6
.LBB128_7:
	s_or_b64 exec, exec, s[18:19]
	s_and_b64 exec, exec, s[0:1]
	s_cbranch_execz .LBB128_28
; %bb.8:
	s_waitcnt lgkmcnt(0)
	global_load_dwordx2 v[0:1], v8, s[4:5]
	global_load_dwordx2 v[2:3], v8, s[6:7]
	v_mbcnt_lo_u32_b32 v14, -1, 0
	v_add_u32_e32 v9, s16, v9
	v_mbcnt_hi_u32_b32 v16, -1, v14
	v_add3_u32 v14, v9, v8, 0
	v_and_b32_e32 v8, 0x60, v16
	v_xor_b32_e32 v9, 16, v16
	v_add_u32_e32 v8, 32, v8
	v_xor_b32_e32 v17, 8, v16
	v_cmp_lt_i32_e32 vcc, v9, v8
	s_add_i32 s6, s14, s13
	v_xor_b32_e32 v18, 4, v16
	v_cndmask_b32_e32 v9, v16, v9, vcc
	v_cmp_lt_i32_e32 vcc, v17, v8
	s_ashr_i32 s1, s17, 31
	s_lshl_b32 s7, s20, 1
	s_add_i32 s6, s6, s12
	v_xor_b32_e32 v19, 2, v16
	v_cndmask_b32_e32 v17, v16, v17, vcc
	v_cmp_lt_i32_e32 vcc, v18, v8
	s_lshr_b32 s0, s17, 31
	s_lshr_b32 s1, s1, 30
	v_xor_b32_e32 v20, 1, v16
	s_sub_i32 s6, s6, s7
	v_cndmask_b32_e32 v18, v16, v18, vcc
	v_cmp_lt_i32_e32 vcc, v19, v8
	v_lshlrev_b32_e32 v5, 2, v6
	s_add_i32 s0, s17, s0
	s_add_i32 s1, s17, s1
	v_mul_lo_u32 v4, s6, v4
	v_cndmask_b32_e32 v19, v16, v19, vcc
	v_cmp_lt_i32_e32 vcc, v20, v8
	v_add3_u32 v13, 0, v13, v5
	s_and_b32 s0, s0, -2
	s_ashr_i32 s1, s1, 2
	v_cndmask_b32_e32 v8, v16, v20, vcc
	v_lshl_add_u32 v4, v4, 7, v7
	s_mov_b32 s8, 0
	s_mov_b64 s[4:5], 0
	s_mov_b32 s9, 0xffff0000
	v_mov_b32_e32 v12, s15
	s_mov_b32 s10, 0x800000
	s_mov_b32 s11, 0x7f800000
	s_movk_i32 s13, 0x7fff
	v_add_u32_e32 v15, s0, v13
	v_cmp_gt_i32_e32 vcc, s1, v6
	v_lshlrev_b32_e32 v16, 2, v9
	v_lshlrev_b32_e32 v17, 2, v17
	;; [unrolled: 1-line block ×5, first 2 shown]
	v_or_b32_e32 v4, v4, v5
	v_mov_b32_e32 v25, 0
	s_waitcnt vmcnt(1)
	v_lshrrev_b32_e32 v21, 16, v0
	s_waitcnt vmcnt(0)
	v_lshrrev_b32_e32 v22, 16, v2
	v_lshrrev_b32_e32 v23, 16, v1
	;; [unrolled: 1-line block ×3, first 2 shown]
	s_branch .LBB128_10
.LBB128_9:                              ;   in Loop: Header=BB128_10 Depth=1
	s_or_b64 exec, exec, s[6:7]
	v_lshrrev_b32_e32 v28, 16, v5
	v_ashrrev_i32_e32 v5, 31, v4
	v_lshlrev_b64 v[26:27], 1, v[4:5]
	v_mov_b32_e32 v5, s3
	v_add_co_u32_e64 v26, s[0:1], s2, v26
	v_addc_co_u32_e64 v27, s[0:1], v5, v27, s[0:1]
	s_add_i32 s8, s8, 1
	v_and_b32_e32 v5, 0xffff0000, v6
	v_cmp_ge_i32_e64 s[0:1], s8, v11
	v_or_b32_sdwa v7, v5, v9 dst_sel:DWORD dst_unused:UNUSED_PAD src0_sel:DWORD src1_sel:WORD_1
	v_and_or_b32 v6, v8, s9, v28
	v_add_u32_e32 v4, 0x80, v4
	s_or_b64 s[4:5], s[0:1], s[4:5]
	v_add_u32_e32 v14, 0x100, v14
	global_store_dwordx2 v[26:27], v[6:7], off
	s_andn2_b64 exec, exec, s[4:5]
	s_cbranch_execz .LBB128_28
.LBB128_10:                             ; =>This Inner Loop Header: Depth=1
	ds_read_b64 v[6:7], v14
	s_waitcnt lgkmcnt(0)
	v_alignbit_b32 v5, v7, v6, 16
	v_lshlrev_b32_e32 v8, 16, v6
	v_and_b32_e32 v9, 0xffff0000, v6
	v_and_b32_e32 v7, 0xffff0000, v7
	;; [unrolled: 1-line block ×3, first 2 shown]
	v_pk_mul_f32 v[26:27], v[8:9], v[8:9]
	v_pk_mul_f32 v[28:29], v[6:7], v[6:7]
	v_add_f32_e32 v5, v26, v27
	v_add_f32_e32 v5, v5, v28
	;; [unrolled: 1-line block ×3, first 2 shown]
	ds_bpermute_b32 v26, v16, v5
	v_add_u32_e32 v27, s8, v10
	v_mov_b32_e32 v28, v12
	v_cmp_gt_i32_e64 s[0:1], s12, v27
	v_cndmask_b32_e64 v27, v22, v21, s[0:1]
	s_waitcnt lgkmcnt(0)
	v_add_f32_e32 v5, v5, v26
	ds_bpermute_b32 v26, v17, v5
	v_cndmask_b32_e64 v29, v2, v0, s[0:1]
	v_cndmask_b32_e64 v30, v24, v23, s[0:1]
	v_cndmask_b32_e64 v31, v3, v1, s[0:1]
	v_lshlrev_b32_e32 v27, 16, v27
	s_waitcnt lgkmcnt(0)
	v_add_f32_e32 v5, v5, v26
	ds_bpermute_b32 v26, v18, v5
	s_waitcnt lgkmcnt(0)
	v_add_f32_e32 v5, v5, v26
	ds_bpermute_b32 v26, v19, v5
	;; [unrolled: 3-line block ×3, first 2 shown]
	s_waitcnt lgkmcnt(0)
	v_add_f32_e32 v5, v5, v26
	v_fmac_f32_e32 v28, 0x3c000000, v5
	v_mul_f32_e32 v5, 0x4b800000, v28
	v_cmp_gt_f32_e64 s[0:1], s10, v28
	v_cndmask_b32_e64 v5, v28, v5, s[0:1]
	v_rsq_f32_e32 v5, v5
	v_lshlrev_b32_e32 v26, 16, v29
	v_lshlrev_b32_e32 v29, 16, v30
	;; [unrolled: 1-line block ×3, first 2 shown]
	v_mul_f32_e32 v30, 0x45800000, v5
	v_cndmask_b32_e64 v30, v5, v30, s[0:1]
	v_pk_mul_f32 v[26:27], v[30:31], v[26:27] op_sel_hi:[0,1]
	v_pk_mul_f32 v[28:29], v[30:31], v[28:29] op_sel_hi:[0,1]
	v_pk_mul_f32 v[8:9], v[26:27], v[8:9]
	v_pk_mul_f32 v[6:7], v[28:29], v[6:7]
	s_and_saveexec_b64 s[0:1], vcc
	s_cbranch_execz .LBB128_12
; %bb.11:                               ;   in Loop: Header=BB128_10 Depth=1
	ds_read_u16 v5, v13
	ds_read_u16 v27, v15
	ds_read_u16 v32, v13 offset:2
	ds_read_u16 v33, v15 offset:2
	s_waitcnt lgkmcnt(3)
	v_lshlrev_b32_e32 v26, 16, v5
	s_waitcnt lgkmcnt(2)
	v_lshlrev_b32_e32 v28, 16, v27
	v_pk_mul_f32 v[28:29], v[8:9], v[28:29] op_sel_hi:[1,0]
	v_pk_mul_f32 v[30:31], v[8:9], v[26:27] op_sel_hi:[1,0]
	v_pk_fma_f32 v[8:9], v[8:9], v[26:27], v[28:29] op_sel:[0,0,1] op_sel_hi:[1,0,0]
	s_waitcnt lgkmcnt(1)
	v_lshlrev_b32_e32 v27, 16, v32
	s_waitcnt lgkmcnt(0)
	v_lshlrev_b32_e32 v26, 16, v33
	v_mov_b32_e32 v28, v7
	v_mov_b32_e32 v8, v27
	v_pk_mul_f32 v[32:33], v[28:29], v[26:27]
	v_pk_mul_f32 v[34:35], v[6:7], v[26:27]
	v_pk_fma_f32 v[32:33], v[6:7], v[8:9], v[32:33] op_sel_hi:[1,0,1] neg_lo:[0,0,1] neg_hi:[0,0,1]
	v_mov_b32_e32 v8, v35
	v_pk_fma_f32 v[26:27], v[6:7], v[26:27], v[8:9]
	v_sub_f32_e32 v8, v30, v29
	v_mov_b32_e32 v6, v32
	v_mov_b32_e32 v7, v26
.LBB128_12:                             ;   in Loop: Header=BB128_10 Depth=1
	s_or_b64 exec, exec, s[0:1]
	v_and_b32_e32 v5, 0x7f800000, v8
	v_cmp_ne_u32_e64 s[0:1], s11, v5
                                        ; implicit-def: $vgpr5
	s_and_saveexec_b64 s[6:7], s[0:1]
	s_xor_b64 s[0:1], exec, s[6:7]
; %bb.13:                               ;   in Loop: Header=BB128_10 Depth=1
	v_bfe_u32 v5, v8, 16, 1
	v_add3_u32 v5, v8, v5, s13
; %bb.14:                               ;   in Loop: Header=BB128_10 Depth=1
	s_andn2_saveexec_b64 s[6:7], s[0:1]
; %bb.15:                               ;   in Loop: Header=BB128_10 Depth=1
	v_or_b32_e32 v5, 0x10000, v8
	v_cmp_eq_u32_sdwa s[0:1], v8, v25 src0_sel:WORD_0 src1_sel:DWORD
	v_cndmask_b32_e64 v5, v5, v8, s[0:1]
; %bb.16:                               ;   in Loop: Header=BB128_10 Depth=1
	s_or_b64 exec, exec, s[6:7]
	v_and_b32_e32 v8, 0x7f800000, v9
	v_cmp_ne_u32_e64 s[0:1], s11, v8
                                        ; implicit-def: $vgpr8
	s_and_saveexec_b64 s[6:7], s[0:1]
	s_xor_b64 s[0:1], exec, s[6:7]
; %bb.17:                               ;   in Loop: Header=BB128_10 Depth=1
	v_bfe_u32 v8, v9, 16, 1
	v_add3_u32 v8, v9, v8, s13
                                        ; implicit-def: $vgpr9
; %bb.18:                               ;   in Loop: Header=BB128_10 Depth=1
	s_andn2_saveexec_b64 s[6:7], s[0:1]
; %bb.19:                               ;   in Loop: Header=BB128_10 Depth=1
	v_or_b32_e32 v8, 0x10000, v9
	v_cmp_eq_u32_sdwa s[0:1], v9, v25 src0_sel:WORD_0 src1_sel:DWORD
	v_cndmask_b32_e64 v8, v8, v9, s[0:1]
; %bb.20:                               ;   in Loop: Header=BB128_10 Depth=1
	s_or_b64 exec, exec, s[6:7]
	v_and_b32_e32 v9, 0x7f800000, v6
	v_cmp_ne_u32_e64 s[0:1], s11, v9
                                        ; implicit-def: $vgpr9
	s_and_saveexec_b64 s[6:7], s[0:1]
	s_xor_b64 s[0:1], exec, s[6:7]
; %bb.21:                               ;   in Loop: Header=BB128_10 Depth=1
	v_bfe_u32 v9, v6, 16, 1
	v_add3_u32 v9, v6, v9, s13
; %bb.22:                               ;   in Loop: Header=BB128_10 Depth=1
	s_andn2_saveexec_b64 s[6:7], s[0:1]
; %bb.23:                               ;   in Loop: Header=BB128_10 Depth=1
	v_or_b32_e32 v9, 0x10000, v6
	v_cmp_eq_u32_sdwa s[0:1], v6, v25 src0_sel:WORD_0 src1_sel:DWORD
	v_cndmask_b32_e64 v9, v9, v6, s[0:1]
; %bb.24:                               ;   in Loop: Header=BB128_10 Depth=1
	s_or_b64 exec, exec, s[6:7]
	v_and_b32_e32 v6, 0x7f800000, v7
	v_cmp_ne_u32_e64 s[0:1], s11, v6
                                        ; implicit-def: $vgpr6
	s_and_saveexec_b64 s[6:7], s[0:1]
	s_xor_b64 s[0:1], exec, s[6:7]
; %bb.25:                               ;   in Loop: Header=BB128_10 Depth=1
	v_bfe_u32 v6, v7, 16, 1
	v_add3_u32 v6, v7, v6, s13
                                        ; implicit-def: $vgpr7
; %bb.26:                               ;   in Loop: Header=BB128_10 Depth=1
	s_andn2_saveexec_b64 s[6:7], s[0:1]
	s_cbranch_execz .LBB128_9
; %bb.27:                               ;   in Loop: Header=BB128_10 Depth=1
	v_or_b32_e32 v6, 0x10000, v7
	v_cmp_eq_u32_sdwa s[0:1], v7, v25 src0_sel:WORD_0 src1_sel:DWORD
	v_cndmask_b32_e64 v6, v6, v7, s[0:1]
	s_branch .LBB128_9
.LBB128_28:
	s_endpgm
	.section	.rodata,"a",@progbits
	.p2align	6, 0x0
	.amdhsa_kernel _ZN12tensorrt_llm7kernels32fusedQKNormRopeKernelNTokenHeadsIN3c108BFloat16ES3_Li128ELb1ELi2EEEvPviiifPKvS6_S6_PKlii
		.amdhsa_group_segment_fixed_size 0
		.amdhsa_private_segment_fixed_size 0
		.amdhsa_kernarg_size 320
		.amdhsa_user_sgpr_count 6
		.amdhsa_user_sgpr_private_segment_buffer 1
		.amdhsa_user_sgpr_dispatch_ptr 0
		.amdhsa_user_sgpr_queue_ptr 0
		.amdhsa_user_sgpr_kernarg_segment_ptr 1
		.amdhsa_user_sgpr_dispatch_id 0
		.amdhsa_user_sgpr_flat_scratch_init 0
		.amdhsa_user_sgpr_kernarg_preload_length 0
		.amdhsa_user_sgpr_kernarg_preload_offset 0
		.amdhsa_user_sgpr_private_segment_size 0
		.amdhsa_uses_dynamic_stack 0
		.amdhsa_system_sgpr_private_segment_wavefront_offset 0
		.amdhsa_system_sgpr_workgroup_id_x 1
		.amdhsa_system_sgpr_workgroup_id_y 0
		.amdhsa_system_sgpr_workgroup_id_z 0
		.amdhsa_system_sgpr_workgroup_info 0
		.amdhsa_system_vgpr_workitem_id 0
		.amdhsa_next_free_vgpr 36
		.amdhsa_next_free_sgpr 24
		.amdhsa_accum_offset 36
		.amdhsa_reserve_vcc 1
		.amdhsa_reserve_flat_scratch 0
		.amdhsa_float_round_mode_32 0
		.amdhsa_float_round_mode_16_64 0
		.amdhsa_float_denorm_mode_32 3
		.amdhsa_float_denorm_mode_16_64 3
		.amdhsa_dx10_clamp 1
		.amdhsa_ieee_mode 1
		.amdhsa_fp16_overflow 0
		.amdhsa_tg_split 0
		.amdhsa_exception_fp_ieee_invalid_op 0
		.amdhsa_exception_fp_denorm_src 0
		.amdhsa_exception_fp_ieee_div_zero 0
		.amdhsa_exception_fp_ieee_overflow 0
		.amdhsa_exception_fp_ieee_underflow 0
		.amdhsa_exception_fp_ieee_inexact 0
		.amdhsa_exception_int_div_zero 0
	.end_amdhsa_kernel
	.section	.text._ZN12tensorrt_llm7kernels32fusedQKNormRopeKernelNTokenHeadsIN3c108BFloat16ES3_Li128ELb1ELi2EEEvPviiifPKvS6_S6_PKlii,"axG",@progbits,_ZN12tensorrt_llm7kernels32fusedQKNormRopeKernelNTokenHeadsIN3c108BFloat16ES3_Li128ELb1ELi2EEEvPviiifPKvS6_S6_PKlii,comdat
.Lfunc_end128:
	.size	_ZN12tensorrt_llm7kernels32fusedQKNormRopeKernelNTokenHeadsIN3c108BFloat16ES3_Li128ELb1ELi2EEEvPviiifPKvS6_S6_PKlii, .Lfunc_end128-_ZN12tensorrt_llm7kernels32fusedQKNormRopeKernelNTokenHeadsIN3c108BFloat16ES3_Li128ELb1ELi2EEEvPviiifPKvS6_S6_PKlii
                                        ; -- End function
	.section	.AMDGPU.csdata,"",@progbits
; Kernel info:
; codeLenInByte = 1844
; NumSgprs: 28
; NumVgprs: 36
; NumAgprs: 0
; TotalNumVgprs: 36
; ScratchSize: 0
; MemoryBound: 0
; FloatMode: 240
; IeeeMode: 1
; LDSByteSize: 0 bytes/workgroup (compile time only)
; SGPRBlocks: 3
; VGPRBlocks: 4
; NumSGPRsForWavesPerEU: 28
; NumVGPRsForWavesPerEU: 36
; AccumOffset: 36
; Occupancy: 8
; WaveLimiterHint : 0
; COMPUTE_PGM_RSRC2:SCRATCH_EN: 0
; COMPUTE_PGM_RSRC2:USER_SGPR: 6
; COMPUTE_PGM_RSRC2:TRAP_HANDLER: 0
; COMPUTE_PGM_RSRC2:TGID_X_EN: 1
; COMPUTE_PGM_RSRC2:TGID_Y_EN: 0
; COMPUTE_PGM_RSRC2:TGID_Z_EN: 0
; COMPUTE_PGM_RSRC2:TIDIG_COMP_CNT: 0
; COMPUTE_PGM_RSRC3_GFX90A:ACCUM_OFFSET: 8
; COMPUTE_PGM_RSRC3_GFX90A:TG_SPLIT: 0
	.section	.text._ZN12tensorrt_llm7kernels32fusedQKNormRopeKernelNTokenHeadsIN3c108BFloat16ES3_Li128ELb0ELi2EEEvPviiifPKvS6_S6_PKlii,"axG",@progbits,_ZN12tensorrt_llm7kernels32fusedQKNormRopeKernelNTokenHeadsIN3c108BFloat16ES3_Li128ELb0ELi2EEEvPviiifPKvS6_S6_PKlii,comdat
	.protected	_ZN12tensorrt_llm7kernels32fusedQKNormRopeKernelNTokenHeadsIN3c108BFloat16ES3_Li128ELb0ELi2EEEvPviiifPKvS6_S6_PKlii ; -- Begin function _ZN12tensorrt_llm7kernels32fusedQKNormRopeKernelNTokenHeadsIN3c108BFloat16ES3_Li128ELb0ELi2EEEvPviiifPKvS6_S6_PKlii
	.globl	_ZN12tensorrt_llm7kernels32fusedQKNormRopeKernelNTokenHeadsIN3c108BFloat16ES3_Li128ELb0ELi2EEEvPviiifPKvS6_S6_PKlii
	.p2align	8
	.type	_ZN12tensorrt_llm7kernels32fusedQKNormRopeKernelNTokenHeadsIN3c108BFloat16ES3_Li128ELb0ELi2EEEvPviiifPKvS6_S6_PKlii,@function
_ZN12tensorrt_llm7kernels32fusedQKNormRopeKernelNTokenHeadsIN3c108BFloat16ES3_Li128ELb0ELi2EEEvPviiifPKvS6_S6_PKlii: ; @_ZN12tensorrt_llm7kernels32fusedQKNormRopeKernelNTokenHeadsIN3c108BFloat16ES3_Li128ELb0ELi2EEEvPviiifPKvS6_S6_PKlii
; %bb.0:
	s_load_dwordx4 s[12:15], s[4:5], 0x8
	s_load_dwordx2 s[2:3], s[4:5], 0x38
	s_load_dword s1, s[4:5], 0x4c
	v_lshrrev_b32_e32 v3, 5, v0
	s_waitcnt lgkmcnt(0)
	s_add_i32 s0, s13, s12
	s_add_i32 s7, s0, 1
	s_lshr_b32 s8, s7, 31
	s_add_i32 s7, s7, s8
	s_ashr_i32 s20, s7, 1
	s_abs_i32 s7, s20
	v_cvt_f32_u32_e32 v1, s7
	s_bfe_u32 s1, s1, 0xb0005
	s_mul_i32 s6, s6, s1
	v_rcp_iflag_f32_e32 v2, v1
	v_add_u32_e32 v1, s6, v3
	s_sub_i32 s6, 0, s7
	v_sub_u32_e32 v4, 0, v1
	v_mul_f32_e32 v2, 0x4f7ffffe, v2
	v_cvt_u32_f32_e32 v2, v2
	v_max_i32_e32 v4, v1, v4
	v_xor_b32_e32 v5, s20, v1
	v_ashrrev_i32_e32 v5, 31, v5
	v_mul_lo_u32 v6, s6, v2
	v_mul_hi_u32 v6, v2, v6
	v_add_u32_e32 v2, v2, v6
	v_mul_hi_u32 v2, v4, v2
	v_mul_lo_u32 v6, v2, s7
	v_sub_u32_e32 v4, v4, v6
	v_add_u32_e32 v6, 1, v2
	v_cmp_le_u32_e32 vcc, s7, v4
	v_cndmask_b32_e32 v2, v2, v6, vcc
	v_subrev_u32_e32 v6, s7, v4
	v_cndmask_b32_e32 v4, v4, v6, vcc
	v_add_u32_e32 v6, 1, v2
	v_cmp_le_u32_e32 vcc, s7, v4
	v_cndmask_b32_e32 v2, v2, v6, vcc
	v_xor_b32_e32 v2, v2, v5
	v_sub_u32_e32 v2, v2, v5
	v_cmp_gt_i32_e32 vcc, s2, v2
	s_and_saveexec_b64 s[6:7], vcc
	s_cbranch_execz .LBB129_28
; %bb.1:
	v_and_b32_e32 v8, 31, v0
	v_mul_lo_u32 v0, v2, s20
	v_sub_u32_e32 v0, v1, v0
	s_load_dwordx2 s[16:17], s[4:5], 0x0
	v_lshlrev_b32_e32 v10, 1, v0
	v_add_u32_e32 v0, 2, v10
	v_sub_u32_e32 v4, s0, v10
	v_cmp_lt_i32_e32 vcc, s0, v0
	v_cndmask_b32_e32 v11, 2, v4, vcc
	s_lshl_b32 s2, s3, 1
	s_mul_i32 s21, s2, s1
	v_lshlrev_b32_e32 v9, 9, v3
	v_cmp_lt_i32_e64 s[0:1], 0, v11
	v_lshlrev_b32_e32 v28, 3, v8
	v_lshlrev_b32_e32 v29, 8, v1
	s_and_saveexec_b64 s[6:7], s[0:1]
	s_cbranch_execz .LBB129_4
; %bb.2:
	s_add_i32 s8, s21, 0
	v_add3_u32 v4, s8, v9, v28
	s_add_i32 s8, s14, s13
	s_add_i32 s8, s8, s12
	s_lshl_b32 s9, s20, 1
	s_sub_i32 s8, s8, s9
	v_mul_lo_u32 v0, s8, v2
	v_lshl_add_u32 v0, v0, 7, v29
	s_mov_b32 s10, 0
	v_lshl_or_b32 v0, v8, 2, v0
	s_mov_b64 s[8:9], 0
	s_waitcnt lgkmcnt(0)
	v_mov_b32_e32 v5, s17
.LBB129_3:                              ; =>This Inner Loop Header: Depth=1
	v_ashrrev_i32_e32 v1, 31, v0
	v_lshlrev_b64 v[6:7], 1, v[0:1]
	v_add_co_u32_e32 v6, vcc, s16, v6
	v_addc_co_u32_e32 v7, vcc, v5, v7, vcc
	global_load_dwordx2 v[6:7], v[6:7], off
	s_add_i32 s10, s10, 1
	v_cmp_ge_i32_e32 vcc, s10, v11
	v_add_u32_e32 v0, 0x80, v0
	s_or_b64 s[8:9], vcc, s[8:9]
	s_waitcnt vmcnt(0)
	ds_write_b64 v4, v[6:7]
	v_add_u32_e32 v4, 0x100, v4
	s_andn2_b64 exec, exec, s[8:9]
	s_cbranch_execnz .LBB129_3
.LBB129_4:
	s_or_b64 exec, exec, s[6:7]
	s_add_i32 s2, s2, 15
	s_load_dwordx8 s[4:11], s[4:5], 0x18
	s_ashr_i32 s18, s2, 31
	s_lshr_b32 s18, s18, 28
	s_add_i32 s2, s2, s18
	s_ashr_i32 s2, s2, 4
	v_cmp_gt_i32_e32 vcc, s2, v8
	v_mul_lo_u32 v12, v3, s3
	s_and_saveexec_b64 s[18:19], vcc
	s_cbranch_execz .LBB129_7
; %bb.5:
	v_ashrrev_i32_e32 v3, 31, v2
	v_lshlrev_b64 v[0:1], 3, v[2:3]
	s_waitcnt lgkmcnt(0)
	v_mov_b32_e32 v3, s11
	v_add_co_u32_e32 v0, vcc, s10, v0
	v_addc_co_u32_e32 v1, vcc, v3, v1, vcc
	global_load_dwordx2 v[0:1], v[0:1], off
	s_ashr_i32 s22, s3, 31
	v_lshlrev_b32_e32 v4, 4, v8
	v_lshlrev_b32_e32 v3, 1, v12
	v_mov_b32_e32 v5, s9
	s_mov_b64 s[10:11], 0
	v_add3_u32 v3, v3, v4, 0
	s_waitcnt vmcnt(0)
	v_mul_lo_u32 v6, v1, s3
	v_mul_lo_u32 v7, v0, s22
	v_mad_u64_u32 v[0:1], s[22:23], v0, s3, 0
	v_add3_u32 v1, v1, v7, v6
	v_lshlrev_b64 v[0:1], 1, v[0:1]
	v_add_co_u32_e32 v0, vcc, v0, v4
	v_addc_co_u32_e32 v1, vcc, 0, v1, vcc
	v_add_co_u32_e32 v0, vcc, s8, v0
	v_addc_co_u32_e32 v1, vcc, v5, v1, vcc
	v_mov_b32_e32 v4, v8
.LBB129_6:                              ; =>This Inner Loop Header: Depth=1
	global_load_dwordx4 v[14:17], v[0:1], off
	v_add_co_u32_e32 v0, vcc, 0x200, v0
	v_add_u32_e32 v4, 32, v4
	v_addc_co_u32_e32 v1, vcc, 0, v1, vcc
	v_cmp_le_i32_e32 vcc, s2, v4
	s_or_b64 s[10:11], vcc, s[10:11]
	s_waitcnt vmcnt(0)
	ds_write_b128 v3, v[14:17]
	v_add_u32_e32 v3, 0x200, v3
	s_andn2_b64 exec, exec, s[10:11]
	s_cbranch_execnz .LBB129_6
.LBB129_7:
	s_or_b64 exec, exec, s[18:19]
	s_and_b64 exec, exec, s[0:1]
	s_cbranch_execz .LBB129_28
; %bb.8:
	s_waitcnt lgkmcnt(0)
	global_load_dwordx2 v[4:5], v28, s[4:5]
	global_load_dwordx2 v[6:7], v28, s[6:7]
	v_mbcnt_lo_u32_b32 v1, -1, 0
	s_abs_i32 s4, s3
	v_mbcnt_hi_u32_b32 v1, -1, v1
	v_cvt_f32_u32_e32 v14, s4
	v_lshl_add_u32 v0, v12, 1, 0
	v_and_b32_e32 v12, 0x60, v1
	v_xor_b32_e32 v13, 16, v1
	v_add_u32_e32 v12, 32, v12
	v_xor_b32_e32 v15, 8, v1
	v_cmp_lt_i32_e32 vcc, v13, v12
	v_xor_b32_e32 v16, 4, v1
	v_cndmask_b32_e32 v13, v1, v13, vcc
	v_cmp_lt_i32_e32 vcc, v15, v12
	v_rcp_iflag_f32_e32 v21, v14
	v_xor_b32_e32 v17, 2, v1
	v_cndmask_b32_e32 v15, v1, v15, vcc
	v_cmp_lt_i32_e32 vcc, v16, v12
	s_ashr_i32 s1, s3, 31
	v_xor_b32_e32 v18, 1, v1
	v_cndmask_b32_e32 v16, v1, v16, vcc
	v_cmp_lt_i32_e32 vcc, v17, v12
	s_lshr_b32 s2, s1, 30
	s_lshr_b32 s1, s1, 29
	v_cndmask_b32_e32 v17, v1, v17, vcc
	v_cmp_lt_i32_e32 vcc, v18, v12
	s_lshr_b32 s0, s3, 31
	s_add_i32 s1, s3, s1
	v_cndmask_b32_e32 v18, v1, v18, vcc
	v_lshlrev_b32_e32 v12, 2, v13
	v_lshlrev_b32_e32 v13, 2, v15
	;; [unrolled: 1-line block ×3, first 2 shown]
	v_mul_f32_e32 v17, 0x4f7ffffe, v21
	s_add_i32 s0, s3, s0
	v_and_b32_e32 v19, 64, v1
	s_ashr_i32 s1, s1, 3
	v_lshlrev_b32_e32 v14, 2, v16
	v_lshlrev_b32_e32 v16, 2, v18
	v_cvt_u32_f32_e32 v18, v17
	s_and_b32 s0, s0, -2
	s_add_i32 s2, s3, s2
	v_add_u32_e32 v19, 64, v19
	v_xor_b32_e32 v20, s1, v1
	v_add_u32_e32 v31, s0, v0
	s_ashr_i32 s0, s2, 2
	v_cmp_lt_i32_e64 s[2:3], v20, v19
	s_sub_i32 s5, 0, s4
	v_cndmask_b32_e64 v1, v1, v20, s[2:3]
	v_lshlrev_b32_e32 v17, 2, v1
	v_mul_lo_u32 v1, s5, v18
	v_mul_hi_u32 v1, v18, v1
	v_add_u32_e32 v1, v18, v1
	v_or_b32_e32 v3, 2, v28
	v_mul_hi_u32 v18, v28, v1
	v_mul_hi_u32 v19, v3, v1
	v_mul_lo_u32 v18, v18, s4
	v_mul_lo_u32 v19, v19, s4
	v_sub_u32_e32 v18, v28, v18
	v_sub_u32_e32 v3, v3, v19
	v_subrev_u32_e32 v19, s4, v18
	v_cmp_le_u32_e64 s[2:3], s4, v18
	v_subrev_u32_e32 v20, s4, v3
	v_cndmask_b32_e64 v18, v18, v19, s[2:3]
	v_cmp_le_u32_e64 s[2:3], s4, v3
	v_cndmask_b32_e64 v3, v3, v20, s[2:3]
	v_subrev_u32_e32 v19, s4, v18
	v_cmp_le_u32_e64 s[2:3], s4, v18
	v_cndmask_b32_e64 v18, v18, v19, s[2:3]
	v_subrev_u32_e32 v24, s4, v3
	v_cmp_le_u32_e64 s[2:3], s4, v3
	v_cndmask_b32_e64 v3, v3, v24, s[2:3]
	v_or_b32_e32 v26, 4, v28
	v_and_b32_e32 v3, -2, v3
	v_add_u32_e32 v24, v0, v3
	v_add_u32_e32 v25, v31, v3
	v_mul_hi_u32 v3, v26, v1
	v_mul_lo_u32 v3, v3, s4
	v_sub_u32_e32 v3, v26, v3
	v_subrev_u32_e32 v26, s4, v3
	v_cmp_le_u32_e64 s[2:3], s4, v3
	v_or_b32_e32 v30, 6, v28
	v_cndmask_b32_e64 v3, v3, v26, s[2:3]
	v_subrev_u32_e32 v26, s4, v3
	v_cmp_le_u32_e64 s[2:3], s4, v3
	v_mul_hi_u32 v1, v30, v1
	v_cndmask_b32_e64 v3, v3, v26, s[2:3]
	v_mul_lo_u32 v1, v1, s4
	v_and_b32_e32 v3, -2, v3
	v_sub_u32_e32 v1, v30, v1
	v_add_u32_e32 v26, v0, v3
	v_add_u32_e32 v27, v31, v3
	v_subrev_u32_e32 v3, s4, v1
	v_cmp_le_u32_e64 s[2:3], s4, v1
	v_cndmask_b32_e64 v1, v1, v3, s[2:3]
	v_subrev_u32_e32 v3, s4, v1
	v_cmp_le_u32_e64 s[2:3], s4, v1
	v_cndmask_b32_e64 v1, v1, v3, s[2:3]
	s_add_i32 s2, s14, s13
	s_add_i32 s2, s2, s12
	s_lshl_b32 s3, s20, 1
	v_and_b32_e32 v19, -2, v18
	v_and_b32_e32 v1, -2, v1
	s_sub_i32 s2, s2, s3
	v_add_u32_e32 v18, v0, v19
	v_add_u32_e32 v30, v0, v1
	v_mul_lo_u32 v0, s2, v2
	v_lshl_add_u32 v0, v0, 7, v29
	v_cmp_gt_i32_e32 vcc, s0, v8
	v_cmp_gt_i32_e64 s[0:1], s1, v8
	v_lshl_or_b32 v8, v8, 2, v0
	v_add_u32_e32 v0, s21, v9
	s_mov_b32 s8, 0
	v_add_u32_e32 v19, v31, v19
	s_waitcnt vmcnt(1)
	v_lshrrev_b32_e32 v20, 16, v4
	v_lshrrev_b32_e32 v21, 16, v5
	s_waitcnt vmcnt(0)
	v_lshrrev_b32_e32 v22, 16, v6
	v_lshrrev_b32_e32 v23, 16, v7
	v_add_u32_e32 v31, v31, v1
	v_add3_u32 v28, v0, v28, 0
	s_mov_b64 s[4:5], 0
	s_mov_b32 s9, 0xffff0000
	s_mov_b32 s10, 0x800000
	;; [unrolled: 1-line block ×3, first 2 shown]
	s_movk_i32 s13, 0x7fff
	v_mov_b32_e32 v29, s15
	v_mov_b32_e32 v32, 0
	s_branch .LBB129_10
.LBB129_9:                              ;   in Loop: Header=BB129_10 Depth=1
	s_or_b64 exec, exec, s[6:7]
	v_lshrrev_b32_e32 v2, 16, v9
	v_ashrrev_i32_e32 v9, 31, v8
	v_lshlrev_b64 v[0:1], 1, v[8:9]
	v_mov_b32_e32 v3, s17
	v_add_co_u32_e64 v0, s[2:3], s16, v0
	v_addc_co_u32_e64 v1, s[2:3], v3, v1, s[2:3]
	s_add_i32 s8, s8, 1
	v_and_b32_e32 v3, 0xffff0000, v35
	v_cmp_ge_i32_e64 s[2:3], s8, v11
	v_or_b32_sdwa v3, v3, v34 dst_sel:DWORD dst_unused:UNUSED_PAD src0_sel:DWORD src1_sel:WORD_1
	v_and_or_b32 v2, v33, s9, v2
	v_add_u32_e32 v8, 0x80, v8
	s_or_b64 s[4:5], s[2:3], s[4:5]
	v_add_u32_e32 v28, 0x100, v28
	global_store_dwordx2 v[0:1], v[2:3], off
	s_andn2_b64 exec, exec, s[4:5]
	s_cbranch_execz .LBB129_28
.LBB129_10:                             ; =>This Inner Loop Header: Depth=1
	ds_read_b64 v[0:1], v28
	v_add_u32_e32 v34, s8, v10
	v_mov_b32_e32 v35, v29
	v_cmp_gt_i32_e64 s[2:3], s12, v34
	v_cndmask_b32_e64 v34, v6, v4, s[2:3]
	s_waitcnt lgkmcnt(0)
	v_and_b32_e32 v2, 0xffff0000, v0
	v_lshlrev_b32_e32 v3, 16, v0
	v_alignbit_b32 v0, v1, v0, 16
	v_and_b32_e32 v9, 0xffff0000, v1
	v_mul_f32_e32 v1, v2, v2
	v_and_b32_e32 v33, 0xffff0000, v0
	v_fmac_f32_e32 v1, v3, v3
	v_fmac_f32_e32 v1, v33, v33
	;; [unrolled: 1-line block ×3, first 2 shown]
	ds_bpermute_b32 v0, v12, v1
	v_cndmask_b32_e64 v36, v22, v20, s[2:3]
	v_cndmask_b32_e64 v37, v7, v5, s[2:3]
	;; [unrolled: 1-line block ×3, first 2 shown]
	v_lshlrev_b32_e32 v34, 16, v34
	s_waitcnt lgkmcnt(0)
	v_add_f32_e32 v0, v1, v0
	ds_bpermute_b32 v1, v13, v0
	s_waitcnt lgkmcnt(0)
	v_add_f32_e32 v0, v0, v1
	ds_bpermute_b32 v1, v14, v0
	;; [unrolled: 3-line block ×4, first 2 shown]
	s_waitcnt lgkmcnt(0)
	v_add_f32_e32 v0, v0, v1
	v_fmac_f32_e32 v35, 0x3c000000, v0
	v_mul_f32_e32 v0, 0x4b800000, v35
	v_cmp_gt_f32_e64 s[2:3], s10, v35
	v_cndmask_b32_e64 v0, v35, v0, s[2:3]
	v_rsq_f32_e32 v0, v0
	v_lshlrev_b32_e32 v35, 16, v37
	v_lshlrev_b32_e32 v1, 16, v36
	;; [unrolled: 1-line block ×3, first 2 shown]
	v_mul_f32_e32 v37, 0x45800000, v0
	v_cndmask_b32_e64 v0, v0, v37, s[2:3]
	v_mul_f32_e32 v34, v0, v34
	v_mul_f32_e32 v1, v0, v1
	;; [unrolled: 1-line block ×8, first 2 shown]
	s_and_saveexec_b64 s[2:3], vcc
	s_cbranch_execz .LBB129_12
; %bb.11:                               ;   in Loop: Header=BB129_10 Depth=1
	ds_bpermute_b32 v9, v17, v0
	ds_bpermute_b32 v33, v17, v1
	; wave barrier
	ds_read_u16 v34, v18
	ds_read_u16 v35, v19
	;; [unrolled: 1-line block ×8, first 2 shown]
	s_waitcnt lgkmcnt(9)
	v_cndmask_b32_e64 v9, v9, -v9, s[0:1]
	s_waitcnt lgkmcnt(7)
	v_lshlrev_b32_e32 v42, 16, v34
	s_waitcnt lgkmcnt(6)
	v_lshlrev_b32_e32 v34, 16, v35
	v_mul_f32_e32 v34, v9, v34
	v_fmac_f32_e32 v34, v0, v42
	v_cndmask_b32_e64 v0, v33, -v33, s[0:1]
	ds_bpermute_b32 v9, v17, v2
	s_waitcnt lgkmcnt(5)
	v_lshlrev_b32_e32 v35, 16, v37
	v_lshlrev_b32_e32 v33, 16, v36
	v_mul_f32_e32 v35, v0, v35
	v_fmac_f32_e32 v35, v1, v33
	ds_bpermute_b32 v1, v17, v3
	s_waitcnt lgkmcnt(1)
	v_cndmask_b32_e64 v0, v9, -v9, s[0:1]
	v_lshlrev_b32_e32 v33, 16, v39
	v_lshlrev_b32_e32 v9, 16, v38
	v_mul_f32_e32 v36, v0, v33
	v_fmac_f32_e32 v36, v2, v9
	s_waitcnt lgkmcnt(0)
	v_cndmask_b32_e64 v0, v1, -v1, s[0:1]
	v_lshlrev_b32_e32 v2, 16, v41
	v_lshlrev_b32_e32 v1, 16, v40
	v_mul_f32_e32 v37, v0, v2
	v_fmac_f32_e32 v37, v3, v1
	v_pk_mov_b32 v[0:1], v[34:35], v[34:35] op_sel:[0,1]
	v_pk_mov_b32 v[2:3], v[36:37], v[36:37] op_sel:[0,1]
	; wave barrier
.LBB129_12:                             ;   in Loop: Header=BB129_10 Depth=1
	s_or_b64 exec, exec, s[2:3]
	v_and_b32_e32 v9, 0x7f800000, v0
	v_cmp_ne_u32_e64 s[2:3], s11, v9
                                        ; implicit-def: $vgpr9
	s_and_saveexec_b64 s[6:7], s[2:3]
	s_xor_b64 s[2:3], exec, s[6:7]
; %bb.13:                               ;   in Loop: Header=BB129_10 Depth=1
	v_bfe_u32 v9, v0, 16, 1
	v_add3_u32 v9, v0, v9, s13
; %bb.14:                               ;   in Loop: Header=BB129_10 Depth=1
	s_andn2_saveexec_b64 s[6:7], s[2:3]
; %bb.15:                               ;   in Loop: Header=BB129_10 Depth=1
	v_or_b32_e32 v9, 0x10000, v0
	v_cmp_eq_u32_sdwa s[2:3], v0, v32 src0_sel:WORD_0 src1_sel:DWORD
	v_cndmask_b32_e64 v9, v9, v0, s[2:3]
; %bb.16:                               ;   in Loop: Header=BB129_10 Depth=1
	s_or_b64 exec, exec, s[6:7]
	v_and_b32_e32 v0, 0x7f800000, v1
	v_cmp_ne_u32_e64 s[2:3], s11, v0
                                        ; implicit-def: $vgpr33
	s_and_saveexec_b64 s[6:7], s[2:3]
	s_xor_b64 s[2:3], exec, s[6:7]
; %bb.17:                               ;   in Loop: Header=BB129_10 Depth=1
	v_bfe_u32 v0, v1, 16, 1
	v_add3_u32 v33, v1, v0, s13
; %bb.18:                               ;   in Loop: Header=BB129_10 Depth=1
	s_andn2_saveexec_b64 s[6:7], s[2:3]
; %bb.19:                               ;   in Loop: Header=BB129_10 Depth=1
	v_or_b32_e32 v0, 0x10000, v1
	v_cmp_eq_u32_sdwa s[2:3], v1, v32 src0_sel:WORD_0 src1_sel:DWORD
	v_cndmask_b32_e64 v33, v0, v1, s[2:3]
; %bb.20:                               ;   in Loop: Header=BB129_10 Depth=1
	s_or_b64 exec, exec, s[6:7]
	v_and_b32_e32 v0, 0x7f800000, v2
	v_cmp_ne_u32_e64 s[2:3], s11, v0
                                        ; implicit-def: $vgpr34
	s_and_saveexec_b64 s[6:7], s[2:3]
	s_xor_b64 s[2:3], exec, s[6:7]
; %bb.21:                               ;   in Loop: Header=BB129_10 Depth=1
	v_bfe_u32 v0, v2, 16, 1
	v_add3_u32 v34, v2, v0, s13
; %bb.22:                               ;   in Loop: Header=BB129_10 Depth=1
	s_andn2_saveexec_b64 s[6:7], s[2:3]
; %bb.23:                               ;   in Loop: Header=BB129_10 Depth=1
	v_or_b32_e32 v0, 0x10000, v2
	v_cmp_eq_u32_sdwa s[2:3], v2, v32 src0_sel:WORD_0 src1_sel:DWORD
	v_cndmask_b32_e64 v34, v0, v2, s[2:3]
; %bb.24:                               ;   in Loop: Header=BB129_10 Depth=1
	s_or_b64 exec, exec, s[6:7]
	v_and_b32_e32 v0, 0x7f800000, v3
	v_cmp_ne_u32_e64 s[2:3], s11, v0
                                        ; implicit-def: $vgpr35
	s_and_saveexec_b64 s[6:7], s[2:3]
	s_xor_b64 s[2:3], exec, s[6:7]
; %bb.25:                               ;   in Loop: Header=BB129_10 Depth=1
	v_bfe_u32 v0, v3, 16, 1
	v_add3_u32 v35, v3, v0, s13
                                        ; implicit-def: $vgpr0_vgpr1_vgpr2_vgpr3
; %bb.26:                               ;   in Loop: Header=BB129_10 Depth=1
	s_andn2_saveexec_b64 s[6:7], s[2:3]
	s_cbranch_execz .LBB129_9
; %bb.27:                               ;   in Loop: Header=BB129_10 Depth=1
	v_or_b32_e32 v0, 0x10000, v3
	v_cmp_eq_u32_sdwa s[2:3], v3, v32 src0_sel:WORD_0 src1_sel:DWORD
	v_cndmask_b32_e64 v35, v0, v3, s[2:3]
	s_branch .LBB129_9
.LBB129_28:
	s_endpgm
	.section	.rodata,"a",@progbits
	.p2align	6, 0x0
	.amdhsa_kernel _ZN12tensorrt_llm7kernels32fusedQKNormRopeKernelNTokenHeadsIN3c108BFloat16ES3_Li128ELb0ELi2EEEvPviiifPKvS6_S6_PKlii
		.amdhsa_group_segment_fixed_size 0
		.amdhsa_private_segment_fixed_size 0
		.amdhsa_kernarg_size 320
		.amdhsa_user_sgpr_count 6
		.amdhsa_user_sgpr_private_segment_buffer 1
		.amdhsa_user_sgpr_dispatch_ptr 0
		.amdhsa_user_sgpr_queue_ptr 0
		.amdhsa_user_sgpr_kernarg_segment_ptr 1
		.amdhsa_user_sgpr_dispatch_id 0
		.amdhsa_user_sgpr_flat_scratch_init 0
		.amdhsa_user_sgpr_kernarg_preload_length 0
		.amdhsa_user_sgpr_kernarg_preload_offset 0
		.amdhsa_user_sgpr_private_segment_size 0
		.amdhsa_uses_dynamic_stack 0
		.amdhsa_system_sgpr_private_segment_wavefront_offset 0
		.amdhsa_system_sgpr_workgroup_id_x 1
		.amdhsa_system_sgpr_workgroup_id_y 0
		.amdhsa_system_sgpr_workgroup_id_z 0
		.amdhsa_system_sgpr_workgroup_info 0
		.amdhsa_system_vgpr_workitem_id 0
		.amdhsa_next_free_vgpr 43
		.amdhsa_next_free_sgpr 24
		.amdhsa_accum_offset 44
		.amdhsa_reserve_vcc 1
		.amdhsa_reserve_flat_scratch 0
		.amdhsa_float_round_mode_32 0
		.amdhsa_float_round_mode_16_64 0
		.amdhsa_float_denorm_mode_32 3
		.amdhsa_float_denorm_mode_16_64 3
		.amdhsa_dx10_clamp 1
		.amdhsa_ieee_mode 1
		.amdhsa_fp16_overflow 0
		.amdhsa_tg_split 0
		.amdhsa_exception_fp_ieee_invalid_op 0
		.amdhsa_exception_fp_denorm_src 0
		.amdhsa_exception_fp_ieee_div_zero 0
		.amdhsa_exception_fp_ieee_overflow 0
		.amdhsa_exception_fp_ieee_underflow 0
		.amdhsa_exception_fp_ieee_inexact 0
		.amdhsa_exception_int_div_zero 0
	.end_amdhsa_kernel
	.section	.text._ZN12tensorrt_llm7kernels32fusedQKNormRopeKernelNTokenHeadsIN3c108BFloat16ES3_Li128ELb0ELi2EEEvPviiifPKvS6_S6_PKlii,"axG",@progbits,_ZN12tensorrt_llm7kernels32fusedQKNormRopeKernelNTokenHeadsIN3c108BFloat16ES3_Li128ELb0ELi2EEEvPviiifPKvS6_S6_PKlii,comdat
.Lfunc_end129:
	.size	_ZN12tensorrt_llm7kernels32fusedQKNormRopeKernelNTokenHeadsIN3c108BFloat16ES3_Li128ELb0ELi2EEEvPviiifPKvS6_S6_PKlii, .Lfunc_end129-_ZN12tensorrt_llm7kernels32fusedQKNormRopeKernelNTokenHeadsIN3c108BFloat16ES3_Li128ELb0ELi2EEEvPviiifPKvS6_S6_PKlii
                                        ; -- End function
	.section	.AMDGPU.csdata,"",@progbits
; Kernel info:
; codeLenInByte = 2320
; NumSgprs: 28
; NumVgprs: 43
; NumAgprs: 0
; TotalNumVgprs: 43
; ScratchSize: 0
; MemoryBound: 0
; FloatMode: 240
; IeeeMode: 1
; LDSByteSize: 0 bytes/workgroup (compile time only)
; SGPRBlocks: 3
; VGPRBlocks: 5
; NumSGPRsForWavesPerEU: 28
; NumVGPRsForWavesPerEU: 43
; AccumOffset: 44
; Occupancy: 8
; WaveLimiterHint : 0
; COMPUTE_PGM_RSRC2:SCRATCH_EN: 0
; COMPUTE_PGM_RSRC2:USER_SGPR: 6
; COMPUTE_PGM_RSRC2:TRAP_HANDLER: 0
; COMPUTE_PGM_RSRC2:TGID_X_EN: 1
; COMPUTE_PGM_RSRC2:TGID_Y_EN: 0
; COMPUTE_PGM_RSRC2:TGID_Z_EN: 0
; COMPUTE_PGM_RSRC2:TIDIG_COMP_CNT: 0
; COMPUTE_PGM_RSRC3_GFX90A:ACCUM_OFFSET: 10
; COMPUTE_PGM_RSRC3_GFX90A:TG_SPLIT: 0
	.section	.text._ZN12tensorrt_llm7kernels32fusedQKNormRopeKernelNTokenHeadsIN3c108BFloat16ES3_Li256ELb1ELi2EEEvPviiifPKvS6_S6_PKlii,"axG",@progbits,_ZN12tensorrt_llm7kernels32fusedQKNormRopeKernelNTokenHeadsIN3c108BFloat16ES3_Li256ELb1ELi2EEEvPviiifPKvS6_S6_PKlii,comdat
	.protected	_ZN12tensorrt_llm7kernels32fusedQKNormRopeKernelNTokenHeadsIN3c108BFloat16ES3_Li256ELb1ELi2EEEvPviiifPKvS6_S6_PKlii ; -- Begin function _ZN12tensorrt_llm7kernels32fusedQKNormRopeKernelNTokenHeadsIN3c108BFloat16ES3_Li256ELb1ELi2EEEvPviiifPKvS6_S6_PKlii
	.globl	_ZN12tensorrt_llm7kernels32fusedQKNormRopeKernelNTokenHeadsIN3c108BFloat16ES3_Li256ELb1ELi2EEEvPviiifPKvS6_S6_PKlii
	.p2align	8
	.type	_ZN12tensorrt_llm7kernels32fusedQKNormRopeKernelNTokenHeadsIN3c108BFloat16ES3_Li256ELb1ELi2EEEvPviiifPKvS6_S6_PKlii,@function
_ZN12tensorrt_llm7kernels32fusedQKNormRopeKernelNTokenHeadsIN3c108BFloat16ES3_Li256ELb1ELi2EEEvPviiifPKvS6_S6_PKlii: ; @_ZN12tensorrt_llm7kernels32fusedQKNormRopeKernelNTokenHeadsIN3c108BFloat16ES3_Li256ELb1ELi2EEEvPviiifPKvS6_S6_PKlii
; %bb.0:
	s_load_dwordx4 s[12:15], s[4:5], 0x8
	s_load_dwordx2 s[2:3], s[4:5], 0x38
	s_load_dword s1, s[4:5], 0x4c
	v_lshrrev_b32_e32 v1, 5, v0
	s_waitcnt lgkmcnt(0)
	s_add_i32 s0, s13, s12
	s_add_i32 s7, s0, 1
	s_lshr_b32 s8, s7, 31
	s_add_i32 s7, s7, s8
	s_ashr_i32 s20, s7, 1
	s_abs_i32 s7, s20
	v_cvt_f32_u32_e32 v2, s7
	s_bfe_u32 s1, s1, 0xb0005
	s_mul_i32 s6, s6, s1
	v_rcp_iflag_f32_e32 v3, v2
	v_add_u32_e32 v2, s6, v1
	s_sub_i32 s6, 0, s7
	v_sub_u32_e32 v4, 0, v2
	v_mul_f32_e32 v3, 0x4f7ffffe, v3
	v_cvt_u32_f32_e32 v3, v3
	v_max_i32_e32 v4, v2, v4
	v_xor_b32_e32 v5, s20, v2
	v_ashrrev_i32_e32 v5, 31, v5
	v_mul_lo_u32 v6, s6, v3
	v_mul_hi_u32 v6, v3, v6
	v_add_u32_e32 v3, v3, v6
	v_mul_hi_u32 v3, v4, v3
	v_mul_lo_u32 v6, v3, s7
	v_sub_u32_e32 v4, v4, v6
	v_add_u32_e32 v6, 1, v3
	v_cmp_le_u32_e32 vcc, s7, v4
	v_cndmask_b32_e32 v3, v3, v6, vcc
	v_subrev_u32_e32 v6, s7, v4
	v_cndmask_b32_e32 v4, v4, v6, vcc
	v_add_u32_e32 v6, 1, v3
	v_cmp_le_u32_e32 vcc, s7, v4
	v_cndmask_b32_e32 v3, v3, v6, vcc
	v_xor_b32_e32 v3, v3, v5
	v_sub_u32_e32 v8, v3, v5
	v_cmp_gt_i32_e32 vcc, s2, v8
	s_and_saveexec_b64 s[6:7], vcc
	s_cbranch_execz .LBB130_44
; %bb.1:
	v_mul_lo_u32 v3, v8, s20
	v_sub_u32_e32 v3, v2, v3
	s_load_dwordx2 s[16:17], s[4:5], 0x0
	v_lshlrev_b32_e32 v18, 1, v3
	v_add_u32_e32 v3, 2, v18
	v_sub_u32_e32 v4, s0, v18
	v_cmp_lt_i32_e32 vcc, s0, v3
	v_and_b32_e32 v10, 31, v0
	v_cndmask_b32_e32 v19, 2, v4, vcc
	s_lshl_b32 s18, s3, 1
	s_mul_i32 s2, s18, s1
	v_lshlrev_b32_e32 v13, 10, v1
	v_cmp_lt_i32_e64 s[0:1], 0, v19
	v_lshlrev_b32_e32 v12, 4, v10
	v_lshlrev_b32_e32 v11, 9, v2
	s_and_saveexec_b64 s[6:7], s[0:1]
	s_cbranch_execz .LBB130_4
; %bb.2:
	s_add_i32 s8, s2, 0
	v_add3_u32 v4, s8, v13, v12
	s_add_i32 s8, s14, s13
	s_add_i32 s8, s8, s12
	s_lshl_b32 s9, s20, 1
	s_sub_i32 s8, s8, s9
	v_mul_lo_u32 v2, s8, v8
	v_lshl_add_u32 v2, v2, 8, v11
	s_mov_b32 s10, 0
	v_lshl_or_b32 v2, v10, 3, v2
	s_mov_b64 s[8:9], 0
	s_waitcnt lgkmcnt(0)
	v_mov_b32_e32 v5, s17
.LBB130_3:                              ; =>This Inner Loop Header: Depth=1
	v_ashrrev_i32_e32 v3, 31, v2
	v_lshlrev_b64 v[6:7], 1, v[2:3]
	v_add_co_u32_e32 v6, vcc, s16, v6
	v_addc_co_u32_e32 v7, vcc, v5, v7, vcc
	global_load_dwordx4 v[14:17], v[6:7], off
	s_add_i32 s10, s10, 1
	v_cmp_ge_i32_e32 vcc, s10, v19
	v_add_u32_e32 v2, 0x100, v2
	s_or_b64 s[8:9], vcc, s[8:9]
	s_waitcnt vmcnt(0)
	ds_write_b128 v4, v[14:17]
	v_add_u32_e32 v4, 0x200, v4
	s_andn2_b64 exec, exec, s[8:9]
	s_cbranch_execnz .LBB130_3
.LBB130_4:
	s_or_b64 exec, exec, s[6:7]
	s_add_i32 s18, s18, 15
	s_load_dwordx8 s[4:11], s[4:5], 0x18
	s_ashr_i32 s19, s18, 31
	s_lshr_b32 s19, s19, 28
	s_add_i32 s18, s18, s19
	s_ashr_i32 s21, s18, 4
	v_mul_lo_u32 v1, v1, s3
	v_cmp_gt_i32_e32 vcc, s21, v10
	v_lshlrev_b32_e32 v14, 1, v1
	s_and_saveexec_b64 s[18:19], vcc
	s_cbranch_execz .LBB130_7
; %bb.5:
	v_ashrrev_i32_e32 v9, 31, v8
	v_lshlrev_b64 v[2:3], 3, v[8:9]
	s_waitcnt lgkmcnt(0)
	v_mov_b32_e32 v1, s11
	v_add_co_u32_e32 v2, vcc, s10, v2
	v_addc_co_u32_e32 v3, vcc, v1, v3, vcc
	global_load_dwordx2 v[4:5], v[2:3], off
	s_ashr_i32 s22, s3, 31
	v_and_b32_e32 v0, 31, v0
	v_lshlrev_b32_e32 v6, 4, v0
	v_mov_b32_e32 v3, s9
	v_add3_u32 v2, v14, v12, 0
	s_mov_b64 s[10:11], 0
	s_waitcnt vmcnt(0)
	v_mul_lo_u32 v5, v5, s3
	v_mul_lo_u32 v7, v4, s22
	v_mad_u64_u32 v[0:1], s[22:23], v4, s3, 0
	v_add3_u32 v1, v1, v7, v5
	v_lshlrev_b64 v[0:1], 1, v[0:1]
	v_add_co_u32_e32 v0, vcc, v0, v6
	v_addc_co_u32_e32 v1, vcc, 0, v1, vcc
	v_add_co_u32_e32 v0, vcc, s8, v0
	v_addc_co_u32_e32 v1, vcc, v3, v1, vcc
	v_mov_b32_e32 v3, v10
.LBB130_6:                              ; =>This Inner Loop Header: Depth=1
	global_load_dwordx4 v[4:7], v[0:1], off
	v_add_co_u32_e32 v0, vcc, 0x200, v0
	v_add_u32_e32 v3, 32, v3
	v_addc_co_u32_e32 v1, vcc, 0, v1, vcc
	v_cmp_le_i32_e32 vcc, s21, v3
	s_or_b64 s[10:11], vcc, s[10:11]
	s_waitcnt vmcnt(0)
	ds_write_b128 v2, v[4:7]
	v_add_u32_e32 v2, 0x200, v2
	s_andn2_b64 exec, exec, s[10:11]
	s_cbranch_execnz .LBB130_6
.LBB130_7:
	s_or_b64 exec, exec, s[18:19]
	s_and_b64 exec, exec, s[0:1]
	s_cbranch_execz .LBB130_44
; %bb.8:
	s_waitcnt lgkmcnt(0)
	global_load_dwordx4 v[0:3], v12, s[4:5]
	global_load_dwordx4 v[4:7], v12, s[6:7]
	v_mbcnt_lo_u32_b32 v15, -1, 0
	v_add_u32_e32 v13, s2, v13
	v_mbcnt_hi_u32_b32 v15, -1, v15
	v_add3_u32 v22, v13, v12, 0
	v_and_b32_e32 v12, 0x60, v15
	v_lshlrev_b32_e32 v9, 3, v10
	v_xor_b32_e32 v13, 16, v15
	v_add_u32_e32 v12, 32, v12
	v_add3_u32 v21, 0, v14, v9
	v_xor_b32_e32 v14, 8, v15
	v_cmp_lt_i32_e32 vcc, v13, v12
	s_add_i32 s11, s14, s13
	v_xor_b32_e32 v16, 4, v15
	v_cndmask_b32_e32 v13, v15, v13, vcc
	v_cmp_lt_i32_e32 vcc, v14, v12
	s_ashr_i32 s1, s3, 31
	s_lshl_b32 s13, s20, 1
	s_add_i32 s11, s11, s12
	v_xor_b32_e32 v17, 2, v15
	v_cndmask_b32_e32 v14, v15, v14, vcc
	v_cmp_lt_i32_e32 vcc, v16, v12
	s_lshr_b32 s0, s3, 31
	s_lshr_b32 s1, s1, 29
	v_xor_b32_e32 v24, 1, v15
	s_sub_i32 s2, s11, s13
	v_cndmask_b32_e32 v16, v15, v16, vcc
	v_cmp_lt_i32_e32 vcc, v17, v12
	s_add_i32 s0, s3, s0
	s_add_i32 s1, s3, s1
	v_mul_lo_u32 v8, s2, v8
	v_cndmask_b32_e32 v17, v15, v17, vcc
	v_cmp_lt_i32_e32 vcc, v24, v12
	s_and_b32 s0, s0, -2
	s_ashr_i32 s1, s1, 3
	v_cndmask_b32_e32 v12, v15, v24, vcc
	v_lshl_add_u32 v8, v8, 8, v11
	s_mov_b32 s6, 0
	s_mov_b64 s[4:5], 0
	v_mov_b32_e32 v20, s15
	s_mov_b32 s7, 0x800000
	s_mov_b32 s8, 0x7f800000
	s_movk_i32 s9, 0x7fff
	s_mov_b32 s10, 0x7060302
	v_add_u32_e32 v23, s0, v21
	v_cmp_gt_i32_e32 vcc, s1, v10
	v_lshlrev_b32_e32 v24, 2, v13
	v_lshlrev_b32_e32 v25, 2, v14
	;; [unrolled: 1-line block ×5, first 2 shown]
	v_or_b32_e32 v8, v8, v9
	v_mov_b32_e32 v37, 0
	s_waitcnt vmcnt(1)
	v_lshrrev_b32_e32 v29, 16, v0
	s_waitcnt vmcnt(0)
	v_lshrrev_b32_e32 v30, 16, v4
	v_lshrrev_b32_e32 v31, 16, v1
	;; [unrolled: 1-line block ×7, first 2 shown]
	s_branch .LBB130_10
.LBB130_9:                              ;   in Loop: Header=BB130_10 Depth=1
	s_or_b64 exec, exec, s[2:3]
	v_ashrrev_i32_e32 v9, 31, v8
	v_lshlrev_b64 v[40:41], 1, v[8:9]
	v_mov_b32_e32 v9, s17
	v_add_co_u32_e64 v40, s[0:1], s16, v40
	v_addc_co_u32_e64 v41, s[0:1], v9, v41, s[0:1]
	s_add_i32 s6, s6, 1
	v_cmp_ge_i32_e64 s[0:1], s6, v19
	v_perm_b32 v13, v10, v13, s10
	v_perm_b32 v12, v12, v15, s10
	v_perm_b32 v11, v14, v17, s10
	v_perm_b32 v10, v16, v38, s10
	v_add_u32_e32 v8, 0x100, v8
	s_or_b64 s[4:5], s[0:1], s[4:5]
	v_add_u32_e32 v22, 0x200, v22
	global_store_dwordx4 v[40:41], v[10:13], off
	s_andn2_b64 exec, exec, s[4:5]
	s_cbranch_execz .LBB130_44
.LBB130_10:                             ; =>This Inner Loop Header: Depth=1
	ds_read_b128 v[10:13], v22
	s_waitcnt lgkmcnt(0)
	v_and_b32_e32 v15, 0xffff0000, v10
	v_lshlrev_b32_e32 v14, 16, v10
	v_pk_mul_f32 v[40:41], v[14:15], v[14:15]
	v_and_b32_e32 v43, 0xffff0000, v11
	v_lshlrev_b32_e32 v42, 16, v11
	v_pk_mul_f32 v[10:11], v[42:43], v[42:43]
	v_add_f32_e32 v9, v40, v41
	v_and_b32_e32 v39, 0xffff0000, v13
	v_lshlrev_b32_e32 v38, 16, v13
	v_and_b32_e32 v13, 0xffff0000, v12
	v_lshlrev_b32_e32 v12, 16, v12
	v_add_f32_e32 v9, v9, v10
	v_pk_mul_f32 v[44:45], v[12:13], v[12:13]
	v_add_f32_e32 v9, v9, v11
	v_add_f32_e32 v9, v9, v44
	v_pk_mul_f32 v[16:17], v[38:39], v[38:39]
	v_add_f32_e32 v9, v9, v45
	v_add_f32_e32 v9, v9, v16
	v_add_f32_e32 v9, v9, v17
	ds_bpermute_b32 v10, v24, v9
	v_mov_b32_e32 v16, v20
	v_add_u32_e32 v11, s6, v18
	v_cmp_gt_i32_e64 s[0:1], s12, v11
	v_cndmask_b32_e64 v11, v30, v29, s[0:1]
	s_waitcnt lgkmcnt(0)
	v_add_f32_e32 v9, v9, v10
	ds_bpermute_b32 v10, v25, v9
	v_cndmask_b32_e64 v17, v4, v0, s[0:1]
	v_lshlrev_b32_e32 v11, 16, v11
	v_cndmask_b32_e64 v40, v32, v31, s[0:1]
	v_cndmask_b32_e64 v41, v5, v1, s[0:1]
	s_waitcnt lgkmcnt(0)
	v_add_f32_e32 v9, v9, v10
	ds_bpermute_b32 v10, v26, v9
	v_cndmask_b32_e64 v45, v34, v33, s[0:1]
	v_cndmask_b32_e64 v46, v6, v2, s[0:1]
	s_waitcnt lgkmcnt(0)
	v_add_f32_e32 v9, v9, v10
	ds_bpermute_b32 v10, v27, v9
	s_waitcnt lgkmcnt(0)
	v_add_f32_e32 v9, v9, v10
	ds_bpermute_b32 v44, v28, v9
	v_lshlrev_b32_e32 v10, 16, v17
	v_lshlrev_b32_e32 v17, 16, v40
	;; [unrolled: 1-line block ×3, first 2 shown]
	s_waitcnt lgkmcnt(0)
	v_add_f32_e32 v9, v9, v44
	v_fmac_f32_e32 v16, 0x3b800000, v9
	v_mul_f32_e32 v9, 0x4b800000, v16
	v_cmp_gt_f32_e64 s[2:3], s7, v16
	v_cndmask_b32_e64 v9, v16, v9, s[2:3]
	v_rsq_f32_e32 v9, v9
	v_lshlrev_b32_e32 v16, 16, v41
	v_lshlrev_b32_e32 v41, 16, v45
	v_mul_f32_e32 v44, 0x45800000, v9
	v_cndmask_b32_e64 v44, v9, v44, s[2:3]
	v_pk_mul_f32 v[10:11], v[44:45], v[10:11] op_sel_hi:[0,1]
	v_pk_mul_f32 v[46:47], v[44:45], v[16:17] op_sel_hi:[0,1]
	v_pk_mul_f32 v[16:17], v[10:11], v[14:15]
	v_pk_mul_f32 v[10:11], v[44:45], v[40:41] op_sel_hi:[0,1]
	v_pk_mul_f32 v[12:13], v[10:11], v[12:13]
	v_cndmask_b32_e64 v9, v36, v35, s[0:1]
	v_cndmask_b32_e64 v10, v7, v3, s[0:1]
	v_lshlrev_b32_e32 v11, 16, v9
	v_lshlrev_b32_e32 v10, 16, v10
	v_pk_mul_f32 v[10:11], v[44:45], v[10:11] op_sel_hi:[0,1]
	v_pk_mul_f32 v[14:15], v[46:47], v[42:43]
	v_pk_mul_f32 v[10:11], v[10:11], v[38:39]
	s_and_saveexec_b64 s[0:1], vcc
	s_cbranch_execz .LBB130_12
; %bb.11:                               ;   in Loop: Header=BB130_10 Depth=1
	ds_read_b64 v[38:39], v21
	ds_read_b64 v[40:41], v23
	s_waitcnt lgkmcnt(1)
	v_lshlrev_b32_e32 v42, 16, v38
	s_waitcnt lgkmcnt(0)
	v_lshlrev_b32_e32 v44, 16, v40
	v_pk_mul_f32 v[44:45], v[16:17], v[44:45] op_sel_hi:[1,0]
	v_pk_mul_f32 v[46:47], v[16:17], v[42:43] op_sel_hi:[1,0]
	v_pk_fma_f32 v[16:17], v[16:17], v[42:43], v[44:45] op_sel:[0,0,1] op_sel_hi:[1,0,0]
	v_and_b32_e32 v16, 0xffff0000, v40
	v_and_b32_e32 v38, 0xffff0000, v38
	v_pk_mul_f32 v[42:43], v[14:15], v[16:17] op_sel_hi:[1,0]
	v_pk_fma_f32 v[48:49], v[14:15], v[38:39], v[42:43] op_sel:[0,0,1] op_sel_hi:[1,0,0] neg_lo:[0,0,1] neg_hi:[0,0,1]
	v_pk_fma_f32 v[14:15], v[14:15], v[38:39], v[42:43] op_sel:[0,0,1] op_sel_hi:[1,0,0]
	v_lshlrev_b32_e32 v16, 16, v41
	v_lshlrev_b32_e32 v14, 16, v39
	v_pk_mul_f32 v[42:43], v[12:13], v[16:17] op_sel_hi:[1,0]
	v_pk_fma_f32 v[50:51], v[12:13], v[14:15], v[42:43] op_sel:[0,0,1] op_sel_hi:[1,0,0] neg_lo:[0,0,1] neg_hi:[0,0,1]
	v_pk_fma_f32 v[12:13], v[12:13], v[14:15], v[42:43] op_sel:[0,0,1] op_sel_hi:[1,0,0]
	v_and_b32_e32 v39, 0xffff0000, v39
	v_and_b32_e32 v38, 0xffff0000, v41
	v_mov_b32_e32 v14, v11
	v_mov_b32_e32 v12, v39
	v_pk_mul_f32 v[40:41], v[14:15], v[38:39]
	v_pk_mul_f32 v[42:43], v[10:11], v[38:39]
	v_pk_fma_f32 v[40:41], v[10:11], v[12:13], v[40:41] op_sel_hi:[1,0,1] neg_lo:[0,0,1] neg_hi:[0,0,1]
	v_mov_b32_e32 v12, v43
	v_pk_fma_f32 v[38:39], v[10:11], v[38:39], v[12:13]
	v_sub_f32_e32 v16, v46, v45
	v_mov_b32_e32 v14, v48
	v_mov_b32_e32 v12, v50
	;; [unrolled: 1-line block ×4, first 2 shown]
.LBB130_12:                             ;   in Loop: Header=BB130_10 Depth=1
	s_or_b64 exec, exec, s[0:1]
	v_and_b32_e32 v9, 0x7f800000, v16
	v_cmp_ne_u32_e64 s[0:1], s8, v9
                                        ; implicit-def: $vgpr38
	s_and_saveexec_b64 s[2:3], s[0:1]
	s_xor_b64 s[0:1], exec, s[2:3]
; %bb.13:                               ;   in Loop: Header=BB130_10 Depth=1
	v_bfe_u32 v9, v16, 16, 1
	v_add3_u32 v38, v16, v9, s9
; %bb.14:                               ;   in Loop: Header=BB130_10 Depth=1
	s_andn2_saveexec_b64 s[2:3], s[0:1]
; %bb.15:                               ;   in Loop: Header=BB130_10 Depth=1
	v_or_b32_e32 v9, 0x10000, v16
	v_cmp_eq_u32_sdwa s[0:1], v16, v37 src0_sel:WORD_0 src1_sel:DWORD
	v_cndmask_b32_e64 v38, v9, v16, s[0:1]
; %bb.16:                               ;   in Loop: Header=BB130_10 Depth=1
	s_or_b64 exec, exec, s[2:3]
	v_and_b32_e32 v9, 0x7f800000, v17
	v_cmp_ne_u32_e64 s[0:1], s8, v9
                                        ; implicit-def: $vgpr16
	s_and_saveexec_b64 s[2:3], s[0:1]
	s_xor_b64 s[0:1], exec, s[2:3]
; %bb.17:                               ;   in Loop: Header=BB130_10 Depth=1
	v_bfe_u32 v9, v17, 16, 1
	v_add3_u32 v16, v17, v9, s9
                                        ; implicit-def: $vgpr17
; %bb.18:                               ;   in Loop: Header=BB130_10 Depth=1
	s_andn2_saveexec_b64 s[2:3], s[0:1]
; %bb.19:                               ;   in Loop: Header=BB130_10 Depth=1
	v_or_b32_e32 v9, 0x10000, v17
	v_cmp_eq_u32_sdwa s[0:1], v17, v37 src0_sel:WORD_0 src1_sel:DWORD
	v_cndmask_b32_e64 v16, v9, v17, s[0:1]
; %bb.20:                               ;   in Loop: Header=BB130_10 Depth=1
	s_or_b64 exec, exec, s[2:3]
	v_and_b32_e32 v9, 0x7f800000, v14
	v_cmp_ne_u32_e64 s[0:1], s8, v9
                                        ; implicit-def: $vgpr17
	s_and_saveexec_b64 s[2:3], s[0:1]
	s_xor_b64 s[0:1], exec, s[2:3]
; %bb.21:                               ;   in Loop: Header=BB130_10 Depth=1
	v_bfe_u32 v9, v14, 16, 1
	v_add3_u32 v17, v14, v9, s9
; %bb.22:                               ;   in Loop: Header=BB130_10 Depth=1
	s_andn2_saveexec_b64 s[2:3], s[0:1]
; %bb.23:                               ;   in Loop: Header=BB130_10 Depth=1
	v_or_b32_e32 v9, 0x10000, v14
	v_cmp_eq_u32_sdwa s[0:1], v14, v37 src0_sel:WORD_0 src1_sel:DWORD
	v_cndmask_b32_e64 v17, v9, v14, s[0:1]
; %bb.24:                               ;   in Loop: Header=BB130_10 Depth=1
	s_or_b64 exec, exec, s[2:3]
	v_and_b32_e32 v9, 0x7f800000, v15
	v_cmp_ne_u32_e64 s[0:1], s8, v9
                                        ; implicit-def: $vgpr14
	s_and_saveexec_b64 s[2:3], s[0:1]
	s_xor_b64 s[0:1], exec, s[2:3]
; %bb.25:                               ;   in Loop: Header=BB130_10 Depth=1
	v_bfe_u32 v9, v15, 16, 1
	v_add3_u32 v14, v15, v9, s9
                                        ; implicit-def: $vgpr15
; %bb.26:                               ;   in Loop: Header=BB130_10 Depth=1
	s_andn2_saveexec_b64 s[2:3], s[0:1]
; %bb.27:                               ;   in Loop: Header=BB130_10 Depth=1
	v_or_b32_e32 v9, 0x10000, v15
	v_cmp_eq_u32_sdwa s[0:1], v15, v37 src0_sel:WORD_0 src1_sel:DWORD
	v_cndmask_b32_e64 v14, v9, v15, s[0:1]
; %bb.28:                               ;   in Loop: Header=BB130_10 Depth=1
	s_or_b64 exec, exec, s[2:3]
	v_and_b32_e32 v9, 0x7f800000, v12
	v_cmp_ne_u32_e64 s[0:1], s8, v9
                                        ; implicit-def: $vgpr15
	s_and_saveexec_b64 s[2:3], s[0:1]
	s_xor_b64 s[0:1], exec, s[2:3]
; %bb.29:                               ;   in Loop: Header=BB130_10 Depth=1
	v_bfe_u32 v9, v12, 16, 1
	v_add3_u32 v15, v12, v9, s9
; %bb.30:                               ;   in Loop: Header=BB130_10 Depth=1
	s_andn2_saveexec_b64 s[2:3], s[0:1]
; %bb.31:                               ;   in Loop: Header=BB130_10 Depth=1
	v_or_b32_e32 v9, 0x10000, v12
	v_cmp_eq_u32_sdwa s[0:1], v12, v37 src0_sel:WORD_0 src1_sel:DWORD
	v_cndmask_b32_e64 v15, v9, v12, s[0:1]
; %bb.32:                               ;   in Loop: Header=BB130_10 Depth=1
	s_or_b64 exec, exec, s[2:3]
	v_and_b32_e32 v9, 0x7f800000, v13
	v_cmp_ne_u32_e64 s[0:1], s8, v9
                                        ; implicit-def: $vgpr12
	s_and_saveexec_b64 s[2:3], s[0:1]
	s_xor_b64 s[0:1], exec, s[2:3]
; %bb.33:                               ;   in Loop: Header=BB130_10 Depth=1
	v_bfe_u32 v9, v13, 16, 1
	v_add3_u32 v12, v13, v9, s9
                                        ; implicit-def: $vgpr13
; %bb.34:                               ;   in Loop: Header=BB130_10 Depth=1
	s_andn2_saveexec_b64 s[2:3], s[0:1]
; %bb.35:                               ;   in Loop: Header=BB130_10 Depth=1
	v_or_b32_e32 v9, 0x10000, v13
	v_cmp_eq_u32_sdwa s[0:1], v13, v37 src0_sel:WORD_0 src1_sel:DWORD
	v_cndmask_b32_e64 v12, v9, v13, s[0:1]
; %bb.36:                               ;   in Loop: Header=BB130_10 Depth=1
	s_or_b64 exec, exec, s[2:3]
	v_and_b32_e32 v9, 0x7f800000, v10
	v_cmp_ne_u32_e64 s[0:1], s8, v9
                                        ; implicit-def: $vgpr13
	s_and_saveexec_b64 s[2:3], s[0:1]
	s_xor_b64 s[0:1], exec, s[2:3]
; %bb.37:                               ;   in Loop: Header=BB130_10 Depth=1
	v_bfe_u32 v9, v10, 16, 1
	v_add3_u32 v13, v10, v9, s9
; %bb.38:                               ;   in Loop: Header=BB130_10 Depth=1
	s_andn2_saveexec_b64 s[2:3], s[0:1]
; %bb.39:                               ;   in Loop: Header=BB130_10 Depth=1
	v_or_b32_e32 v9, 0x10000, v10
	v_cmp_eq_u32_sdwa s[0:1], v10, v37 src0_sel:WORD_0 src1_sel:DWORD
	v_cndmask_b32_e64 v13, v9, v10, s[0:1]
; %bb.40:                               ;   in Loop: Header=BB130_10 Depth=1
	s_or_b64 exec, exec, s[2:3]
	v_and_b32_e32 v9, 0x7f800000, v11
	v_cmp_ne_u32_e64 s[0:1], s8, v9
                                        ; implicit-def: $vgpr10
	s_and_saveexec_b64 s[2:3], s[0:1]
	s_xor_b64 s[0:1], exec, s[2:3]
; %bb.41:                               ;   in Loop: Header=BB130_10 Depth=1
	v_bfe_u32 v9, v11, 16, 1
	v_add3_u32 v10, v11, v9, s9
                                        ; implicit-def: $vgpr11
; %bb.42:                               ;   in Loop: Header=BB130_10 Depth=1
	s_andn2_saveexec_b64 s[2:3], s[0:1]
	s_cbranch_execz .LBB130_9
; %bb.43:                               ;   in Loop: Header=BB130_10 Depth=1
	v_or_b32_e32 v9, 0x10000, v11
	v_cmp_eq_u32_sdwa s[0:1], v11, v37 src0_sel:WORD_0 src1_sel:DWORD
	v_cndmask_b32_e64 v10, v9, v11, s[0:1]
	s_branch .LBB130_9
.LBB130_44:
	s_endpgm
	.section	.rodata,"a",@progbits
	.p2align	6, 0x0
	.amdhsa_kernel _ZN12tensorrt_llm7kernels32fusedQKNormRopeKernelNTokenHeadsIN3c108BFloat16ES3_Li256ELb1ELi2EEEvPviiifPKvS6_S6_PKlii
		.amdhsa_group_segment_fixed_size 0
		.amdhsa_private_segment_fixed_size 0
		.amdhsa_kernarg_size 320
		.amdhsa_user_sgpr_count 6
		.amdhsa_user_sgpr_private_segment_buffer 1
		.amdhsa_user_sgpr_dispatch_ptr 0
		.amdhsa_user_sgpr_queue_ptr 0
		.amdhsa_user_sgpr_kernarg_segment_ptr 1
		.amdhsa_user_sgpr_dispatch_id 0
		.amdhsa_user_sgpr_flat_scratch_init 0
		.amdhsa_user_sgpr_kernarg_preload_length 0
		.amdhsa_user_sgpr_kernarg_preload_offset 0
		.amdhsa_user_sgpr_private_segment_size 0
		.amdhsa_uses_dynamic_stack 0
		.amdhsa_system_sgpr_private_segment_wavefront_offset 0
		.amdhsa_system_sgpr_workgroup_id_x 1
		.amdhsa_system_sgpr_workgroup_id_y 0
		.amdhsa_system_sgpr_workgroup_id_z 0
		.amdhsa_system_sgpr_workgroup_info 0
		.amdhsa_system_vgpr_workitem_id 0
		.amdhsa_next_free_vgpr 52
		.amdhsa_next_free_sgpr 24
		.amdhsa_accum_offset 52
		.amdhsa_reserve_vcc 1
		.amdhsa_reserve_flat_scratch 0
		.amdhsa_float_round_mode_32 0
		.amdhsa_float_round_mode_16_64 0
		.amdhsa_float_denorm_mode_32 3
		.amdhsa_float_denorm_mode_16_64 3
		.amdhsa_dx10_clamp 1
		.amdhsa_ieee_mode 1
		.amdhsa_fp16_overflow 0
		.amdhsa_tg_split 0
		.amdhsa_exception_fp_ieee_invalid_op 0
		.amdhsa_exception_fp_denorm_src 0
		.amdhsa_exception_fp_ieee_div_zero 0
		.amdhsa_exception_fp_ieee_overflow 0
		.amdhsa_exception_fp_ieee_underflow 0
		.amdhsa_exception_fp_ieee_inexact 0
		.amdhsa_exception_int_div_zero 0
	.end_amdhsa_kernel
	.section	.text._ZN12tensorrt_llm7kernels32fusedQKNormRopeKernelNTokenHeadsIN3c108BFloat16ES3_Li256ELb1ELi2EEEvPviiifPKvS6_S6_PKlii,"axG",@progbits,_ZN12tensorrt_llm7kernels32fusedQKNormRopeKernelNTokenHeadsIN3c108BFloat16ES3_Li256ELb1ELi2EEEvPviiifPKvS6_S6_PKlii,comdat
.Lfunc_end130:
	.size	_ZN12tensorrt_llm7kernels32fusedQKNormRopeKernelNTokenHeadsIN3c108BFloat16ES3_Li256ELb1ELi2EEEvPviiifPKvS6_S6_PKlii, .Lfunc_end130-_ZN12tensorrt_llm7kernels32fusedQKNormRopeKernelNTokenHeadsIN3c108BFloat16ES3_Li256ELb1ELi2EEEvPviiifPKvS6_S6_PKlii
                                        ; -- End function
	.section	.AMDGPU.csdata,"",@progbits
; Kernel info:
; codeLenInByte = 2344
; NumSgprs: 28
; NumVgprs: 52
; NumAgprs: 0
; TotalNumVgprs: 52
; ScratchSize: 0
; MemoryBound: 0
; FloatMode: 240
; IeeeMode: 1
; LDSByteSize: 0 bytes/workgroup (compile time only)
; SGPRBlocks: 3
; VGPRBlocks: 6
; NumSGPRsForWavesPerEU: 28
; NumVGPRsForWavesPerEU: 52
; AccumOffset: 52
; Occupancy: 8
; WaveLimiterHint : 0
; COMPUTE_PGM_RSRC2:SCRATCH_EN: 0
; COMPUTE_PGM_RSRC2:USER_SGPR: 6
; COMPUTE_PGM_RSRC2:TRAP_HANDLER: 0
; COMPUTE_PGM_RSRC2:TGID_X_EN: 1
; COMPUTE_PGM_RSRC2:TGID_Y_EN: 0
; COMPUTE_PGM_RSRC2:TGID_Z_EN: 0
; COMPUTE_PGM_RSRC2:TIDIG_COMP_CNT: 0
; COMPUTE_PGM_RSRC3_GFX90A:ACCUM_OFFSET: 12
; COMPUTE_PGM_RSRC3_GFX90A:TG_SPLIT: 0
	.section	.text._ZN12tensorrt_llm7kernels32fusedQKNormRopeKernelNTokenHeadsIN3c108BFloat16ES3_Li256ELb0ELi2EEEvPviiifPKvS6_S6_PKlii,"axG",@progbits,_ZN12tensorrt_llm7kernels32fusedQKNormRopeKernelNTokenHeadsIN3c108BFloat16ES3_Li256ELb0ELi2EEEvPviiifPKvS6_S6_PKlii,comdat
	.protected	_ZN12tensorrt_llm7kernels32fusedQKNormRopeKernelNTokenHeadsIN3c108BFloat16ES3_Li256ELb0ELi2EEEvPviiifPKvS6_S6_PKlii ; -- Begin function _ZN12tensorrt_llm7kernels32fusedQKNormRopeKernelNTokenHeadsIN3c108BFloat16ES3_Li256ELb0ELi2EEEvPviiifPKvS6_S6_PKlii
	.globl	_ZN12tensorrt_llm7kernels32fusedQKNormRopeKernelNTokenHeadsIN3c108BFloat16ES3_Li256ELb0ELi2EEEvPviiifPKvS6_S6_PKlii
	.p2align	8
	.type	_ZN12tensorrt_llm7kernels32fusedQKNormRopeKernelNTokenHeadsIN3c108BFloat16ES3_Li256ELb0ELi2EEEvPviiifPKvS6_S6_PKlii,@function
_ZN12tensorrt_llm7kernels32fusedQKNormRopeKernelNTokenHeadsIN3c108BFloat16ES3_Li256ELb0ELi2EEEvPviiifPKvS6_S6_PKlii: ; @_ZN12tensorrt_llm7kernels32fusedQKNormRopeKernelNTokenHeadsIN3c108BFloat16ES3_Li256ELb0ELi2EEEvPviiifPKvS6_S6_PKlii
; %bb.0:
	s_load_dwordx4 s[12:15], s[4:5], 0x8
	s_load_dwordx2 s[2:3], s[4:5], 0x38
	s_load_dword s1, s[4:5], 0x4c
	v_lshrrev_b32_e32 v1, 5, v0
	s_waitcnt lgkmcnt(0)
	s_add_i32 s0, s13, s12
	s_add_i32 s7, s0, 1
	s_lshr_b32 s8, s7, 31
	s_add_i32 s7, s7, s8
	s_ashr_i32 s20, s7, 1
	s_abs_i32 s7, s20
	v_cvt_f32_u32_e32 v2, s7
	s_bfe_u32 s1, s1, 0xb0005
	s_mul_i32 s6, s6, s1
	v_add_u32_e32 v3, s6, v1
	v_rcp_iflag_f32_e32 v2, v2
	s_sub_i32 s6, 0, s7
	v_sub_u32_e32 v4, 0, v3
	v_max_i32_e32 v4, v3, v4
	v_mul_f32_e32 v2, 0x4f7ffffe, v2
	v_cvt_u32_f32_e32 v2, v2
	v_xor_b32_e32 v5, s20, v3
	v_ashrrev_i32_e32 v5, 31, v5
	v_mul_lo_u32 v6, s6, v2
	v_mul_hi_u32 v6, v2, v6
	v_add_u32_e32 v2, v2, v6
	v_mul_hi_u32 v2, v4, v2
	v_mul_lo_u32 v6, v2, s7
	v_sub_u32_e32 v4, v4, v6
	v_add_u32_e32 v6, 1, v2
	v_cmp_le_u32_e32 vcc, s7, v4
	v_cndmask_b32_e32 v2, v2, v6, vcc
	v_subrev_u32_e32 v6, s7, v4
	v_cndmask_b32_e32 v4, v4, v6, vcc
	v_add_u32_e32 v6, 1, v2
	v_cmp_le_u32_e32 vcc, s7, v4
	v_cndmask_b32_e32 v2, v2, v6, vcc
	v_xor_b32_e32 v2, v2, v5
	v_sub_u32_e32 v2, v2, v5
	v_cmp_gt_i32_e32 vcc, s2, v2
	s_and_saveexec_b64 s[6:7], vcc
	s_cbranch_execz .LBB131_44
; %bb.1:
	v_mul_lo_u32 v4, v2, s20
	v_sub_u32_e32 v4, v3, v4
	s_load_dwordx2 s[16:17], s[4:5], 0x0
	v_lshlrev_b32_e32 v18, 1, v4
	v_add_u32_e32 v4, 2, v18
	v_sub_u32_e32 v5, s0, v18
	v_cmp_lt_i32_e32 vcc, s0, v4
	v_and_b32_e32 v6, 31, v0
	v_cndmask_b32_e32 v19, 2, v5, vcc
	s_lshl_b32 s2, s3, 1
	s_mul_i32 s21, s2, s1
	v_lshlrev_b32_e32 v7, 10, v1
	v_cmp_lt_i32_e64 s[0:1], 0, v19
	v_lshlrev_b32_e32 v17, 4, v6
	v_lshlrev_b32_e32 v16, 9, v3
	s_and_saveexec_b64 s[6:7], s[0:1]
	s_cbranch_execz .LBB131_4
; %bb.2:
	s_add_i32 s8, s21, 0
	v_add3_u32 v3, s8, v7, v17
	s_add_i32 s8, s14, s13
	s_add_i32 s8, s8, s12
	s_lshl_b32 s9, s20, 1
	s_sub_i32 s8, s8, s9
	v_mul_lo_u32 v4, s8, v2
	v_lshl_add_u32 v4, v4, 8, v16
	s_mov_b32 s10, 0
	v_lshl_or_b32 v4, v6, 3, v4
	s_mov_b64 s[8:9], 0
	s_waitcnt lgkmcnt(0)
	v_mov_b32_e32 v8, s17
.LBB131_3:                              ; =>This Inner Loop Header: Depth=1
	v_ashrrev_i32_e32 v5, 31, v4
	v_lshlrev_b64 v[10:11], 1, v[4:5]
	v_add_co_u32_e32 v10, vcc, s16, v10
	v_addc_co_u32_e32 v11, vcc, v8, v11, vcc
	global_load_dwordx4 v[10:13], v[10:11], off
	s_add_i32 s10, s10, 1
	v_cmp_ge_i32_e32 vcc, s10, v19
	v_add_u32_e32 v4, 0x100, v4
	s_or_b64 s[8:9], vcc, s[8:9]
	s_waitcnt vmcnt(0)
	ds_write_b128 v3, v[10:13]
	v_add_u32_e32 v3, 0x200, v3
	s_andn2_b64 exec, exec, s[8:9]
	s_cbranch_execnz .LBB131_3
.LBB131_4:
	s_or_b64 exec, exec, s[6:7]
	s_add_i32 s2, s2, 15
	s_load_dwordx8 s[4:11], s[4:5], 0x18
	s_ashr_i32 s18, s2, 31
	s_lshr_b32 s18, s18, 28
	s_add_i32 s2, s2, s18
	s_ashr_i32 s2, s2, 4
	v_cmp_gt_i32_e32 vcc, s2, v6
	v_mul_lo_u32 v4, v1, s3
	s_and_saveexec_b64 s[18:19], vcc
	s_cbranch_execz .LBB131_7
; %bb.5:
	v_ashrrev_i32_e32 v3, 31, v2
	v_lshlrev_b64 v[8:9], 3, v[2:3]
	s_waitcnt lgkmcnt(0)
	v_mov_b32_e32 v1, s11
	v_add_co_u32_e32 v8, vcc, s10, v8
	v_addc_co_u32_e32 v9, vcc, v1, v9, vcc
	global_load_dwordx2 v[8:9], v[8:9], off
	s_ashr_i32 s22, s3, 31
	v_lshlrev_b32_e32 v1, 1, v4
	v_and_b32_e32 v0, 31, v0
	v_add3_u32 v3, v1, v17, 0
	v_lshlrev_b32_e32 v10, 4, v0
	v_mov_b32_e32 v5, s9
	s_mov_b64 s[10:11], 0
	s_waitcnt vmcnt(0)
	v_mul_lo_u32 v9, v9, s3
	v_mul_lo_u32 v11, v8, s22
	v_mad_u64_u32 v[0:1], s[22:23], v8, s3, 0
	v_add3_u32 v1, v1, v11, v9
	v_lshlrev_b64 v[0:1], 1, v[0:1]
	v_add_co_u32_e32 v0, vcc, v0, v10
	v_addc_co_u32_e32 v1, vcc, 0, v1, vcc
	v_add_co_u32_e32 v0, vcc, s8, v0
	v_addc_co_u32_e32 v1, vcc, v5, v1, vcc
	v_mov_b32_e32 v5, v6
.LBB131_6:                              ; =>This Inner Loop Header: Depth=1
	global_load_dwordx4 v[8:11], v[0:1], off
	v_add_co_u32_e32 v0, vcc, 0x200, v0
	v_add_u32_e32 v5, 32, v5
	v_addc_co_u32_e32 v1, vcc, 0, v1, vcc
	v_cmp_le_i32_e32 vcc, s2, v5
	s_or_b64 s[10:11], vcc, s[10:11]
	s_waitcnt vmcnt(0)
	ds_write_b128 v3, v[8:11]
	v_add_u32_e32 v3, 0x200, v3
	s_andn2_b64 exec, exec, s[10:11]
	s_cbranch_execnz .LBB131_6
.LBB131_7:
	s_or_b64 exec, exec, s[18:19]
	s_and_b64 exec, exec, s[0:1]
	s_cbranch_execz .LBB131_44
; %bb.8:
	s_waitcnt lgkmcnt(0)
	global_load_dwordx4 v[8:11], v17, s[4:5]
	global_load_dwordx4 v[12:15], v17, s[6:7]
	v_mbcnt_lo_u32_b32 v1, -1, 0
	s_abs_i32 s4, s3
	v_mbcnt_hi_u32_b32 v1, -1, v1
	v_cvt_f32_u32_e32 v22, s4
	v_and_b32_e32 v20, 0x60, v1
	v_xor_b32_e32 v21, 16, v1
	v_add_u32_e32 v20, 32, v20
	v_xor_b32_e32 v23, 8, v1
	v_cmp_lt_i32_e32 vcc, v21, v20
	v_xor_b32_e32 v24, 4, v1
	v_cndmask_b32_e32 v21, v1, v21, vcc
	v_cmp_lt_i32_e32 vcc, v23, v20
	v_rcp_iflag_f32_e32 v29, v22
	v_xor_b32_e32 v25, 2, v1
	v_cndmask_b32_e32 v23, v1, v23, vcc
	v_cmp_lt_i32_e32 vcc, v24, v20
	s_ashr_i32 s1, s3, 31
	v_xor_b32_e32 v26, 1, v1
	v_cndmask_b32_e32 v24, v1, v24, vcc
	v_cmp_lt_i32_e32 vcc, v25, v20
	s_lshr_b32 s2, s1, 29
	s_lshr_b32 s1, s1, 28
	v_cndmask_b32_e32 v25, v1, v25, vcc
	v_cmp_lt_i32_e32 vcc, v26, v20
	s_lshr_b32 s0, s3, 31
	s_add_i32 s1, s3, s1
	v_cndmask_b32_e32 v26, v1, v26, vcc
	v_lshlrev_b32_e32 v20, 2, v21
	v_lshlrev_b32_e32 v21, 2, v23
	;; [unrolled: 1-line block ×3, first 2 shown]
	v_mul_f32_e32 v25, 0x4f7ffffe, v29
	s_add_i32 s0, s3, s0
	v_and_b32_e32 v27, 64, v1
	s_ashr_i32 s1, s1, 4
	v_lshlrev_b32_e32 v22, 2, v24
	v_lshlrev_b32_e32 v24, 2, v26
	v_cvt_u32_f32_e32 v26, v25
	v_lshl_add_u32 v0, v4, 1, 0
	s_and_b32 s0, s0, -2
	s_add_i32 s2, s3, s2
	v_add_u32_e32 v27, 64, v27
	v_xor_b32_e32 v28, s1, v1
	v_add_u32_e32 v49, s0, v0
	s_ashr_i32 s0, s2, 3
	v_cmp_lt_i32_e64 s[2:3], v28, v27
	s_sub_i32 s5, 0, s4
	v_cndmask_b32_e64 v1, v1, v28, s[2:3]
	v_lshlrev_b32_e32 v25, 2, v1
	v_mul_lo_u32 v1, s5, v26
	v_mul_hi_u32 v1, v26, v1
	v_add_u32_e32 v1, v26, v1
	v_mul_hi_u32 v26, v17, v1
	v_mul_lo_u32 v26, v26, s4
	v_or_b32_e32 v3, 2, v17
	v_sub_u32_e32 v26, v17, v26
	v_subrev_u32_e32 v27, s4, v26
	v_cmp_le_u32_e64 s[2:3], s4, v26
	v_mul_hi_u32 v36, v3, v1
	v_cndmask_b32_e64 v26, v26, v27, s[2:3]
	v_mul_lo_u32 v36, v36, s4
	v_subrev_u32_e32 v27, s4, v26
	v_cmp_le_u32_e64 s[2:3], s4, v26
	v_sub_u32_e32 v3, v3, v36
	v_cndmask_b32_e64 v26, v26, v27, s[2:3]
	v_subrev_u32_e32 v36, s4, v3
	v_cmp_le_u32_e64 s[2:3], s4, v3
	v_cndmask_b32_e64 v3, v3, v36, s[2:3]
	v_subrev_u32_e32 v36, s4, v3
	v_cmp_le_u32_e64 s[2:3], s4, v3
	v_cndmask_b32_e64 v3, v3, v36, s[2:3]
	v_or_b32_e32 v4, 4, v17
	v_and_b32_e32 v3, -2, v3
	v_add_u32_e32 v36, v0, v3
	v_add_u32_e32 v37, v49, v3
	v_mul_hi_u32 v3, v4, v1
	v_mul_lo_u32 v3, v3, s4
	v_sub_u32_e32 v3, v4, v3
	v_subrev_u32_e32 v4, s4, v3
	v_cmp_le_u32_e64 s[2:3], s4, v3
	v_cndmask_b32_e64 v3, v3, v4, s[2:3]
	v_subrev_u32_e32 v4, s4, v3
	v_cmp_le_u32_e64 s[2:3], s4, v3
	v_cndmask_b32_e64 v3, v3, v4, s[2:3]
	v_or_b32_e32 v5, 6, v17
	v_and_b32_e32 v3, -2, v3
	v_add_u32_e32 v38, v0, v3
	v_add_u32_e32 v39, v49, v3
	v_mul_hi_u32 v3, v5, v1
	v_mul_lo_u32 v3, v3, s4
	v_sub_u32_e32 v3, v5, v3
	;; [unrolled: 13-line block ×5, first 2 shown]
	v_subrev_u32_e32 v4, s4, v3
	v_cmp_le_u32_e64 s[2:3], s4, v3
	v_or_b32_e32 v48, 14, v17
	v_cndmask_b32_e64 v3, v3, v4, s[2:3]
	v_subrev_u32_e32 v4, s4, v3
	v_cmp_le_u32_e64 s[2:3], s4, v3
	v_mul_hi_u32 v1, v48, v1
	v_cndmask_b32_e64 v3, v3, v4, s[2:3]
	v_mul_lo_u32 v1, v1, s4
	v_and_b32_e32 v3, -2, v3
	v_sub_u32_e32 v1, v48, v1
	v_add_u32_e32 v46, v0, v3
	v_add_u32_e32 v47, v49, v3
	v_subrev_u32_e32 v3, s4, v1
	v_cmp_le_u32_e64 s[2:3], s4, v1
	v_cndmask_b32_e64 v1, v1, v3, s[2:3]
	v_subrev_u32_e32 v3, s4, v1
	v_cmp_le_u32_e64 s[2:3], s4, v1
	v_cndmask_b32_e64 v1, v1, v3, s[2:3]
	s_add_i32 s2, s14, s13
	s_add_i32 s2, s2, s12
	s_lshl_b32 s3, s20, 1
	v_and_b32_e32 v35, -2, v26
	v_and_b32_e32 v1, -2, v1
	s_sub_i32 s2, s2, s3
	v_add_u32_e32 v34, v0, v35
	v_add_u32_e32 v48, v0, v1
	v_mul_lo_u32 v0, s2, v2
	v_lshl_add_u32 v0, v0, 8, v16
	v_lshl_or_b32 v16, v6, 3, v0
	v_add_u32_e32 v0, s21, v7
	s_mov_b32 s8, 0
	v_cmp_gt_i32_e32 vcc, s0, v6
	v_cmp_gt_i32_e64 s[0:1], s1, v6
	s_waitcnt vmcnt(1)
	v_lshrrev_b32_e32 v26, 16, v8
	v_lshrrev_b32_e32 v27, 16, v9
	;; [unrolled: 1-line block ×4, first 2 shown]
	s_waitcnt vmcnt(0)
	v_lshrrev_b32_e32 v30, 16, v12
	v_lshrrev_b32_e32 v31, 16, v13
	;; [unrolled: 1-line block ×4, first 2 shown]
	v_add_u32_e32 v35, v49, v35
	v_add_u32_e32 v49, v49, v1
	v_add3_u32 v50, v0, v17, 0
	s_mov_b64 s[6:7], 0
	s_mov_b32 s9, 0x800000
	s_mov_b32 s10, 0x7f800000
	s_movk_i32 s11, 0x7fff
	s_mov_b32 s13, 0x7060302
	v_mov_b32_e32 v51, 0
	s_branch .LBB131_10
.LBB131_9:                              ;   in Loop: Header=BB131_10 Depth=1
	s_or_b64 exec, exec, s[4:5]
	v_ashrrev_i32_e32 v17, 31, v16
	v_lshlrev_b64 v[0:1], 1, v[16:17]
	v_mov_b32_e32 v2, s17
	v_add_co_u32_e64 v4, s[2:3], s16, v0
	v_addc_co_u32_e64 v5, s[2:3], v2, v1, s[2:3]
	s_add_i32 s8, s8, 1
	v_cmp_ge_i32_e64 s[2:3], s8, v19
	v_perm_b32 v3, v59, v58, s13
	v_perm_b32 v2, v57, v56, s13
	;; [unrolled: 1-line block ×4, first 2 shown]
	v_add_u32_e32 v16, 0x100, v16
	s_or_b64 s[6:7], s[2:3], s[6:7]
	v_add_u32_e32 v50, 0x200, v50
	global_store_dwordx4 v[4:5], v[0:3], off
	s_andn2_b64 exec, exec, s[6:7]
	s_cbranch_execz .LBB131_44
.LBB131_10:                             ; =>This Inner Loop Header: Depth=1
	ds_read_b128 v[0:3], v50
	s_waitcnt lgkmcnt(0)
	v_and_b32_e32 v54, 0xffff0000, v0
	v_lshlrev_b32_e32 v17, 16, v0
	v_and_b32_e32 v5, 0xffff0000, v1
	v_lshlrev_b32_e32 v4, 16, v1
	v_mul_f32_e32 v6, v54, v54
	v_pk_mul_f32 v[0:1], v[4:5], v[4:5]
	v_fmac_f32_e32 v6, v17, v17
	v_add_f32_e32 v0, v6, v0
	v_and_b32_e32 v7, 0xffff0000, v2
	v_lshlrev_b32_e32 v6, 16, v2
	v_add_f32_e32 v52, v0, v1
	v_pk_mul_f32 v[0:1], v[6:7], v[6:7]
	v_add_f32_e32 v0, v52, v0
	v_and_b32_e32 v53, 0xffff0000, v3
	v_lshlrev_b32_e32 v52, 16, v3
	v_add_f32_e32 v2, v0, v1
	v_pk_mul_f32 v[0:1], v[52:53], v[52:53]
	v_add_f32_e32 v0, v2, v0
	v_add_f32_e32 v0, v0, v1
	ds_bpermute_b32 v1, v20, v0
	v_mov_b32_e32 v3, s15
	v_add_u32_e32 v2, s8, v18
	v_cmp_gt_i32_e64 s[2:3], s12, v2
	v_cndmask_b32_e64 v56, v13, v9, s[2:3]
	s_waitcnt lgkmcnt(0)
	v_add_f32_e32 v0, v0, v1
	ds_bpermute_b32 v1, v21, v0
	v_cndmask_b32_e64 v2, v12, v8, s[2:3]
	v_cndmask_b32_e64 v55, v30, v26, s[2:3]
	;; [unrolled: 1-line block ×3, first 2 shown]
	v_lshlrev_b32_e32 v2, 16, v2
	s_waitcnt lgkmcnt(0)
	v_add_f32_e32 v0, v0, v1
	ds_bpermute_b32 v1, v22, v0
	s_waitcnt lgkmcnt(0)
	v_add_f32_e32 v0, v0, v1
	ds_bpermute_b32 v1, v23, v0
	;; [unrolled: 3-line block ×3, first 2 shown]
	s_waitcnt lgkmcnt(0)
	v_add_f32_e32 v0, v0, v1
	v_fmac_f32_e32 v3, 0x3b800000, v0
	v_mul_f32_e32 v0, 0x4b800000, v3
	v_cmp_gt_f32_e64 s[4:5], s9, v3
	v_cndmask_b32_e64 v0, v3, v0, s[4:5]
	v_rsq_f32_e32 v0, v0
	v_lshlrev_b32_e32 v3, 16, v56
	v_lshlrev_b32_e32 v1, 16, v55
	;; [unrolled: 1-line block ×3, first 2 shown]
	v_mul_f32_e32 v56, 0x45800000, v0
	v_cndmask_b32_e64 v56, v0, v56, s[4:5]
	v_mul_f32_e32 v0, v56, v2
	v_mul_f32_e32 v2, v56, v3
	;; [unrolled: 1-line block ×5, first 2 shown]
	v_cndmask_b32_e64 v4, v14, v10, s[2:3]
	v_cndmask_b32_e64 v5, v32, v28, s[2:3]
	v_lshlrev_b32_e32 v4, 16, v4
	v_lshlrev_b32_e32 v5, 16, v5
	v_mul_f32_e32 v4, v56, v4
	v_mul_f32_e32 v5, v56, v5
	;; [unrolled: 1-line block ×4, first 2 shown]
	v_cndmask_b32_e64 v6, v15, v11, s[2:3]
	v_cndmask_b32_e64 v7, v33, v29, s[2:3]
	v_lshlrev_b32_e32 v6, 16, v6
	v_lshlrev_b32_e32 v7, 16, v7
	v_mul_f32_e32 v1, v56, v1
	v_mul_f32_e32 v6, v56, v6
	;; [unrolled: 1-line block ×7, first 2 shown]
	s_and_saveexec_b64 s[2:3], vcc
	s_cbranch_execz .LBB131_12
; %bb.11:                               ;   in Loop: Header=BB131_10 Depth=1
	ds_bpermute_b32 v17, v25, v0
	ds_bpermute_b32 v53, v25, v1
	; wave barrier
	ds_read_u16 v52, v34
	ds_read_u16 v54, v35
	;; [unrolled: 1-line block ×8, first 2 shown]
	s_waitcnt lgkmcnt(9)
	v_cndmask_b32_e64 v17, v17, -v17, s[0:1]
	s_waitcnt lgkmcnt(7)
	v_lshlrev_b32_e32 v61, 16, v52
	s_waitcnt lgkmcnt(6)
	v_lshlrev_b32_e32 v52, 16, v54
	v_mul_f32_e32 v52, v17, v52
	v_fmac_f32_e32 v52, v0, v61
	v_cndmask_b32_e64 v0, v53, -v53, s[0:1]
	s_waitcnt lgkmcnt(4)
	v_lshlrev_b32_e32 v53, 16, v56
	ds_bpermute_b32 v17, v25, v2
	v_lshlrev_b32_e32 v54, 16, v55
	v_mul_f32_e32 v53, v0, v53
	v_fmac_f32_e32 v53, v1, v54
	ds_bpermute_b32 v1, v25, v3
	s_waitcnt lgkmcnt(1)
	v_cndmask_b32_e64 v0, v17, -v17, s[0:1]
	v_lshlrev_b32_e32 v54, 16, v58
	v_mul_f32_e32 v54, v0, v54
	v_lshlrev_b32_e32 v17, 16, v57
	s_waitcnt lgkmcnt(0)
	v_cndmask_b32_e64 v0, v1, -v1, s[0:1]
	ds_bpermute_b32 v1, v25, v4
	v_fmac_f32_e32 v54, v2, v17
	v_lshlrev_b32_e32 v17, 16, v60
	v_mul_f32_e32 v55, v0, v17
	v_lshlrev_b32_e32 v2, 16, v59
	s_waitcnt lgkmcnt(0)
	v_cndmask_b32_e64 v0, v1, -v1, s[0:1]
	ds_bpermute_b32 v1, v25, v5
	v_fmac_f32_e32 v55, v3, v2
	ds_read_u16 v2, v42
	ds_read_u16 v3, v43
	;; [unrolled: 1-line block ×8, first 2 shown]
	s_waitcnt lgkmcnt(6)
	v_lshlrev_b32_e32 v3, 16, v3
	v_mul_f32_e32 v56, v0, v3
	v_cndmask_b32_e64 v0, v1, -v1, s[0:1]
	ds_bpermute_b32 v1, v25, v6
	s_waitcnt lgkmcnt(5)
	v_lshlrev_b32_e32 v3, 16, v57
	v_mul_f32_e32 v57, v0, v3
	v_lshlrev_b32_e32 v2, 16, v2
	v_fmac_f32_e32 v56, v4, v2
	s_waitcnt lgkmcnt(0)
	v_cndmask_b32_e64 v0, v1, -v1, s[0:1]
	ds_bpermute_b32 v1, v25, v7
	v_lshlrev_b32_e32 v2, 16, v17
	v_lshlrev_b32_e32 v3, 16, v59
	v_fmac_f32_e32 v57, v5, v2
	v_lshlrev_b32_e32 v2, 16, v58
	v_mul_f32_e32 v58, v0, v3
	v_fmac_f32_e32 v58, v6, v2
	s_waitcnt lgkmcnt(0)
	v_cndmask_b32_e64 v0, v1, -v1, s[0:1]
	v_lshlrev_b32_e32 v2, 16, v61
	v_lshlrev_b32_e32 v1, 16, v60
	v_mul_f32_e32 v59, v0, v2
	v_fmac_f32_e32 v59, v7, v1
	v_pk_mov_b32 v[0:1], v[52:53], v[52:53] op_sel:[0,1]
	v_pk_mov_b32 v[2:3], v[54:55], v[54:55] op_sel:[0,1]
	;; [unrolled: 1-line block ×4, first 2 shown]
	; wave barrier
.LBB131_12:                             ;   in Loop: Header=BB131_10 Depth=1
	s_or_b64 exec, exec, s[2:3]
	v_and_b32_e32 v17, 0x7f800000, v0
	v_cmp_ne_u32_e64 s[2:3], s10, v17
                                        ; implicit-def: $vgpr52
	s_and_saveexec_b64 s[4:5], s[2:3]
	s_xor_b64 s[2:3], exec, s[4:5]
; %bb.13:                               ;   in Loop: Header=BB131_10 Depth=1
	v_bfe_u32 v17, v0, 16, 1
	v_add3_u32 v52, v0, v17, s11
; %bb.14:                               ;   in Loop: Header=BB131_10 Depth=1
	s_andn2_saveexec_b64 s[4:5], s[2:3]
; %bb.15:                               ;   in Loop: Header=BB131_10 Depth=1
	v_or_b32_e32 v17, 0x10000, v0
	v_cmp_eq_u32_sdwa s[2:3], v0, v51 src0_sel:WORD_0 src1_sel:DWORD
	v_cndmask_b32_e64 v52, v17, v0, s[2:3]
; %bb.16:                               ;   in Loop: Header=BB131_10 Depth=1
	s_or_b64 exec, exec, s[4:5]
	v_and_b32_e32 v0, 0x7f800000, v1
	v_cmp_ne_u32_e64 s[2:3], s10, v0
                                        ; implicit-def: $vgpr53
	s_and_saveexec_b64 s[4:5], s[2:3]
	s_xor_b64 s[2:3], exec, s[4:5]
; %bb.17:                               ;   in Loop: Header=BB131_10 Depth=1
	v_bfe_u32 v0, v1, 16, 1
	v_add3_u32 v53, v1, v0, s11
; %bb.18:                               ;   in Loop: Header=BB131_10 Depth=1
	s_andn2_saveexec_b64 s[4:5], s[2:3]
; %bb.19:                               ;   in Loop: Header=BB131_10 Depth=1
	v_or_b32_e32 v0, 0x10000, v1
	v_cmp_eq_u32_sdwa s[2:3], v1, v51 src0_sel:WORD_0 src1_sel:DWORD
	v_cndmask_b32_e64 v53, v0, v1, s[2:3]
; %bb.20:                               ;   in Loop: Header=BB131_10 Depth=1
	s_or_b64 exec, exec, s[4:5]
	v_and_b32_e32 v0, 0x7f800000, v2
	v_cmp_ne_u32_e64 s[2:3], s10, v0
                                        ; implicit-def: $vgpr54
	s_and_saveexec_b64 s[4:5], s[2:3]
	s_xor_b64 s[2:3], exec, s[4:5]
; %bb.21:                               ;   in Loop: Header=BB131_10 Depth=1
	v_bfe_u32 v0, v2, 16, 1
	v_add3_u32 v54, v2, v0, s11
; %bb.22:                               ;   in Loop: Header=BB131_10 Depth=1
	s_andn2_saveexec_b64 s[4:5], s[2:3]
; %bb.23:                               ;   in Loop: Header=BB131_10 Depth=1
	v_or_b32_e32 v0, 0x10000, v2
	v_cmp_eq_u32_sdwa s[2:3], v2, v51 src0_sel:WORD_0 src1_sel:DWORD
	v_cndmask_b32_e64 v54, v0, v2, s[2:3]
; %bb.24:                               ;   in Loop: Header=BB131_10 Depth=1
	s_or_b64 exec, exec, s[4:5]
	v_and_b32_e32 v0, 0x7f800000, v3
	v_cmp_ne_u32_e64 s[2:3], s10, v0
                                        ; implicit-def: $vgpr55
	s_and_saveexec_b64 s[4:5], s[2:3]
	s_xor_b64 s[2:3], exec, s[4:5]
; %bb.25:                               ;   in Loop: Header=BB131_10 Depth=1
	v_bfe_u32 v0, v3, 16, 1
	v_add3_u32 v55, v3, v0, s11
; %bb.26:                               ;   in Loop: Header=BB131_10 Depth=1
	s_andn2_saveexec_b64 s[4:5], s[2:3]
; %bb.27:                               ;   in Loop: Header=BB131_10 Depth=1
	v_or_b32_e32 v0, 0x10000, v3
	v_cmp_eq_u32_sdwa s[2:3], v3, v51 src0_sel:WORD_0 src1_sel:DWORD
	v_cndmask_b32_e64 v55, v0, v3, s[2:3]
; %bb.28:                               ;   in Loop: Header=BB131_10 Depth=1
	s_or_b64 exec, exec, s[4:5]
	v_and_b32_e32 v0, 0x7f800000, v4
	v_cmp_ne_u32_e64 s[2:3], s10, v0
                                        ; implicit-def: $vgpr56
	s_and_saveexec_b64 s[4:5], s[2:3]
	s_xor_b64 s[2:3], exec, s[4:5]
; %bb.29:                               ;   in Loop: Header=BB131_10 Depth=1
	v_bfe_u32 v0, v4, 16, 1
	v_add3_u32 v56, v4, v0, s11
; %bb.30:                               ;   in Loop: Header=BB131_10 Depth=1
	s_andn2_saveexec_b64 s[4:5], s[2:3]
; %bb.31:                               ;   in Loop: Header=BB131_10 Depth=1
	v_or_b32_e32 v0, 0x10000, v4
	v_cmp_eq_u32_sdwa s[2:3], v4, v51 src0_sel:WORD_0 src1_sel:DWORD
	v_cndmask_b32_e64 v56, v0, v4, s[2:3]
; %bb.32:                               ;   in Loop: Header=BB131_10 Depth=1
	s_or_b64 exec, exec, s[4:5]
	v_and_b32_e32 v0, 0x7f800000, v5
	v_cmp_ne_u32_e64 s[2:3], s10, v0
                                        ; implicit-def: $vgpr57
	s_and_saveexec_b64 s[4:5], s[2:3]
	s_xor_b64 s[2:3], exec, s[4:5]
; %bb.33:                               ;   in Loop: Header=BB131_10 Depth=1
	v_bfe_u32 v0, v5, 16, 1
	v_add3_u32 v57, v5, v0, s11
; %bb.34:                               ;   in Loop: Header=BB131_10 Depth=1
	s_andn2_saveexec_b64 s[4:5], s[2:3]
; %bb.35:                               ;   in Loop: Header=BB131_10 Depth=1
	v_or_b32_e32 v0, 0x10000, v5
	v_cmp_eq_u32_sdwa s[2:3], v5, v51 src0_sel:WORD_0 src1_sel:DWORD
	v_cndmask_b32_e64 v57, v0, v5, s[2:3]
; %bb.36:                               ;   in Loop: Header=BB131_10 Depth=1
	s_or_b64 exec, exec, s[4:5]
	v_and_b32_e32 v0, 0x7f800000, v6
	v_cmp_ne_u32_e64 s[2:3], s10, v0
                                        ; implicit-def: $vgpr58
	s_and_saveexec_b64 s[4:5], s[2:3]
	s_xor_b64 s[2:3], exec, s[4:5]
; %bb.37:                               ;   in Loop: Header=BB131_10 Depth=1
	v_bfe_u32 v0, v6, 16, 1
	v_add3_u32 v58, v6, v0, s11
; %bb.38:                               ;   in Loop: Header=BB131_10 Depth=1
	s_andn2_saveexec_b64 s[4:5], s[2:3]
; %bb.39:                               ;   in Loop: Header=BB131_10 Depth=1
	v_or_b32_e32 v0, 0x10000, v6
	v_cmp_eq_u32_sdwa s[2:3], v6, v51 src0_sel:WORD_0 src1_sel:DWORD
	v_cndmask_b32_e64 v58, v0, v6, s[2:3]
; %bb.40:                               ;   in Loop: Header=BB131_10 Depth=1
	s_or_b64 exec, exec, s[4:5]
	v_and_b32_e32 v0, 0x7f800000, v7
	v_cmp_ne_u32_e64 s[2:3], s10, v0
                                        ; implicit-def: $vgpr59
	s_and_saveexec_b64 s[4:5], s[2:3]
	s_xor_b64 s[2:3], exec, s[4:5]
; %bb.41:                               ;   in Loop: Header=BB131_10 Depth=1
	v_bfe_u32 v0, v7, 16, 1
	v_add3_u32 v59, v7, v0, s11
                                        ; implicit-def: $vgpr0_vgpr1_vgpr2_vgpr3_vgpr4_vgpr5_vgpr6_vgpr7
; %bb.42:                               ;   in Loop: Header=BB131_10 Depth=1
	s_andn2_saveexec_b64 s[4:5], s[2:3]
	s_cbranch_execz .LBB131_9
; %bb.43:                               ;   in Loop: Header=BB131_10 Depth=1
	v_or_b32_e32 v0, 0x10000, v7
	v_cmp_eq_u32_sdwa s[2:3], v7, v51 src0_sel:WORD_0 src1_sel:DWORD
	v_cndmask_b32_e64 v59, v0, v7, s[2:3]
	s_branch .LBB131_9
.LBB131_44:
	s_endpgm
	.section	.rodata,"a",@progbits
	.p2align	6, 0x0
	.amdhsa_kernel _ZN12tensorrt_llm7kernels32fusedQKNormRopeKernelNTokenHeadsIN3c108BFloat16ES3_Li256ELb0ELi2EEEvPviiifPKvS6_S6_PKlii
		.amdhsa_group_segment_fixed_size 0
		.amdhsa_private_segment_fixed_size 0
		.amdhsa_kernarg_size 320
		.amdhsa_user_sgpr_count 6
		.amdhsa_user_sgpr_private_segment_buffer 1
		.amdhsa_user_sgpr_dispatch_ptr 0
		.amdhsa_user_sgpr_queue_ptr 0
		.amdhsa_user_sgpr_kernarg_segment_ptr 1
		.amdhsa_user_sgpr_dispatch_id 0
		.amdhsa_user_sgpr_flat_scratch_init 0
		.amdhsa_user_sgpr_kernarg_preload_length 0
		.amdhsa_user_sgpr_kernarg_preload_offset 0
		.amdhsa_user_sgpr_private_segment_size 0
		.amdhsa_uses_dynamic_stack 0
		.amdhsa_system_sgpr_private_segment_wavefront_offset 0
		.amdhsa_system_sgpr_workgroup_id_x 1
		.amdhsa_system_sgpr_workgroup_id_y 0
		.amdhsa_system_sgpr_workgroup_id_z 0
		.amdhsa_system_sgpr_workgroup_info 0
		.amdhsa_system_vgpr_workitem_id 0
		.amdhsa_next_free_vgpr 62
		.amdhsa_next_free_sgpr 24
		.amdhsa_accum_offset 64
		.amdhsa_reserve_vcc 1
		.amdhsa_reserve_flat_scratch 0
		.amdhsa_float_round_mode_32 0
		.amdhsa_float_round_mode_16_64 0
		.amdhsa_float_denorm_mode_32 3
		.amdhsa_float_denorm_mode_16_64 3
		.amdhsa_dx10_clamp 1
		.amdhsa_ieee_mode 1
		.amdhsa_fp16_overflow 0
		.amdhsa_tg_split 0
		.amdhsa_exception_fp_ieee_invalid_op 0
		.amdhsa_exception_fp_denorm_src 0
		.amdhsa_exception_fp_ieee_div_zero 0
		.amdhsa_exception_fp_ieee_overflow 0
		.amdhsa_exception_fp_ieee_underflow 0
		.amdhsa_exception_fp_ieee_inexact 0
		.amdhsa_exception_int_div_zero 0
	.end_amdhsa_kernel
	.section	.text._ZN12tensorrt_llm7kernels32fusedQKNormRopeKernelNTokenHeadsIN3c108BFloat16ES3_Li256ELb0ELi2EEEvPviiifPKvS6_S6_PKlii,"axG",@progbits,_ZN12tensorrt_llm7kernels32fusedQKNormRopeKernelNTokenHeadsIN3c108BFloat16ES3_Li256ELb0ELi2EEEvPviiifPKvS6_S6_PKlii,comdat
.Lfunc_end131:
	.size	_ZN12tensorrt_llm7kernels32fusedQKNormRopeKernelNTokenHeadsIN3c108BFloat16ES3_Li256ELb0ELi2EEEvPviiifPKvS6_S6_PKlii, .Lfunc_end131-_ZN12tensorrt_llm7kernels32fusedQKNormRopeKernelNTokenHeadsIN3c108BFloat16ES3_Li256ELb0ELi2EEEvPviiifPKvS6_S6_PKlii
                                        ; -- End function
	.section	.AMDGPU.csdata,"",@progbits
; Kernel info:
; codeLenInByte = 3292
; NumSgprs: 28
; NumVgprs: 62
; NumAgprs: 0
; TotalNumVgprs: 62
; ScratchSize: 0
; MemoryBound: 0
; FloatMode: 240
; IeeeMode: 1
; LDSByteSize: 0 bytes/workgroup (compile time only)
; SGPRBlocks: 3
; VGPRBlocks: 7
; NumSGPRsForWavesPerEU: 28
; NumVGPRsForWavesPerEU: 62
; AccumOffset: 64
; Occupancy: 8
; WaveLimiterHint : 0
; COMPUTE_PGM_RSRC2:SCRATCH_EN: 0
; COMPUTE_PGM_RSRC2:USER_SGPR: 6
; COMPUTE_PGM_RSRC2:TRAP_HANDLER: 0
; COMPUTE_PGM_RSRC2:TGID_X_EN: 1
; COMPUTE_PGM_RSRC2:TGID_Y_EN: 0
; COMPUTE_PGM_RSRC2:TGID_Z_EN: 0
; COMPUTE_PGM_RSRC2:TIDIG_COMP_CNT: 0
; COMPUTE_PGM_RSRC3_GFX90A:ACCUM_OFFSET: 15
; COMPUTE_PGM_RSRC3_GFX90A:TG_SPLIT: 0
	.section	.text._ZN12tensorrt_llm7kernels32fusedQKNormRopeKernelNTokenHeadsIN3c108BFloat16ES3_Li64ELb1ELi4EEEvPviiifPKvS6_S6_PKlii,"axG",@progbits,_ZN12tensorrt_llm7kernels32fusedQKNormRopeKernelNTokenHeadsIN3c108BFloat16ES3_Li64ELb1ELi4EEEvPviiifPKvS6_S6_PKlii,comdat
	.protected	_ZN12tensorrt_llm7kernels32fusedQKNormRopeKernelNTokenHeadsIN3c108BFloat16ES3_Li64ELb1ELi4EEEvPviiifPKvS6_S6_PKlii ; -- Begin function _ZN12tensorrt_llm7kernels32fusedQKNormRopeKernelNTokenHeadsIN3c108BFloat16ES3_Li64ELb1ELi4EEEvPviiifPKvS6_S6_PKlii
	.globl	_ZN12tensorrt_llm7kernels32fusedQKNormRopeKernelNTokenHeadsIN3c108BFloat16ES3_Li64ELb1ELi4EEEvPviiifPKvS6_S6_PKlii
	.p2align	8
	.type	_ZN12tensorrt_llm7kernels32fusedQKNormRopeKernelNTokenHeadsIN3c108BFloat16ES3_Li64ELb1ELi4EEEvPviiifPKvS6_S6_PKlii,@function
_ZN12tensorrt_llm7kernels32fusedQKNormRopeKernelNTokenHeadsIN3c108BFloat16ES3_Li64ELb1ELi4EEEvPviiifPKvS6_S6_PKlii: ; @_ZN12tensorrt_llm7kernels32fusedQKNormRopeKernelNTokenHeadsIN3c108BFloat16ES3_Li64ELb1ELi4EEEvPviiifPKvS6_S6_PKlii
; %bb.0:
	s_load_dwordx4 s[12:15], s[4:5], 0x8
	s_load_dwordx2 s[2:3], s[4:5], 0x38
	s_load_dword s0, s[4:5], 0x4c
	v_lshrrev_b32_e32 v13, 5, v0
	s_waitcnt lgkmcnt(0)
	s_add_i32 s21, s13, s12
	s_add_i32 s1, s21, 3
	s_ashr_i32 s7, s1, 31
	s_lshr_b32 s7, s7, 30
	s_add_i32 s1, s1, s7
	s_ashr_i32 s20, s1, 2
	s_abs_i32 s1, s20
	v_cvt_f32_u32_e32 v1, s1
	s_bfe_u32 s0, s0, 0xb0005
	s_mul_i32 s6, s6, s0
	v_add_u32_e32 v9, s6, v13
	v_rcp_iflag_f32_e32 v1, v1
	s_sub_i32 s6, 0, s1
	v_sub_u32_e32 v2, 0, v9
	v_max_i32_e32 v2, v9, v2
	v_mul_f32_e32 v1, 0x4f7ffffe, v1
	v_cvt_u32_f32_e32 v1, v1
	v_xor_b32_e32 v3, s20, v9
	v_ashrrev_i32_e32 v3, 31, v3
	v_mul_lo_u32 v4, s6, v1
	v_mul_hi_u32 v4, v1, v4
	v_add_u32_e32 v1, v1, v4
	v_mul_hi_u32 v1, v2, v1
	v_mul_lo_u32 v4, v1, s1
	v_sub_u32_e32 v2, v2, v4
	v_add_u32_e32 v4, 1, v1
	v_cmp_le_u32_e32 vcc, s1, v2
	v_cndmask_b32_e32 v1, v1, v4, vcc
	v_subrev_u32_e32 v4, s1, v2
	v_cndmask_b32_e32 v2, v2, v4, vcc
	v_add_u32_e32 v4, 1, v1
	v_cmp_le_u32_e32 vcc, s1, v2
	v_cndmask_b32_e32 v1, v1, v4, vcc
	v_xor_b32_e32 v1, v1, v3
	v_sub_u32_e32 v2, v1, v3
	v_cmp_gt_i32_e32 vcc, s2, v2
	s_and_saveexec_b64 s[6:7], vcc
	s_cbranch_execz .LBB132_25
; %bb.1:
	v_and_b32_e32 v10, 31, v0
	v_mul_lo_u32 v0, v2, s20
	v_sub_u32_e32 v0, v9, v0
	s_load_dwordx2 s[16:17], s[4:5], 0x0
	v_lshlrev_b32_e32 v0, 2, v0
	v_add_u32_e32 v1, 4, v0
	v_sub_u32_e32 v3, s21, v0
	v_cmp_lt_i32_e32 vcc, s21, v1
	v_cndmask_b32_e32 v8, 4, v3, vcc
	s_lshl_b32 s18, s3, 1
	s_mul_i32 s2, s18, s0
	v_lshlrev_b32_e32 v12, 9, v13
	v_cmp_lt_i32_e64 s[0:1], 0, v8
	v_lshlrev_b32_e32 v4, 1, v10
	v_lshlrev_b32_e32 v11, 2, v10
	s_and_saveexec_b64 s[6:7], s[0:1]
	s_cbranch_execz .LBB132_9
; %bb.2:
	s_mov_b32 s19, 1
	v_cmp_ne_u32_e32 vcc, 1, v8
	s_mov_b64 s[10:11], -1
	v_mov_b32_e32 v1, 0
	s_and_saveexec_b64 s[8:9], vcc
	s_cbranch_execz .LBB132_6
; %bb.3:
	s_add_i32 s21, s21, s14
	s_add_i32 s10, s2, 0
	v_mul_lo_u32 v6, v2, s21
	s_mov_b32 s22, 0
	v_add3_u32 v7, s10, v12, v11
	v_mov_b32_e32 v1, v0
	s_mov_b32 s21, s12
	s_mov_b32 s23, s12
	v_mov_b32_e32 v3, v6
	v_mov_b32_e32 v5, v4
	v_and_b32_e32 v14, 0x7ffffffe, v8
	s_mov_b64 s[10:11], 0
	v_mov_b32_e32 v15, s12
	v_mov_b32_e32 v16, s12
	s_waitcnt lgkmcnt(0)
	v_mov_b32_e32 v17, s17
.LBB132_4:                              ; =>This Inner Loop Header: Depth=1
	v_add_u32_e32 v19, s19, v1
	v_add_u32_e32 v18, s22, v0
	v_cmp_le_i32_e32 vcc, s23, v19
	v_cndmask_b32_e32 v20, 0, v15, vcc
	v_cmp_le_i32_e32 vcc, s21, v18
	v_cndmask_b32_e32 v21, 0, v16, vcc
	v_sub_u32_e32 v18, v18, v21
	v_sub_u32_e32 v19, v19, v20
	v_add3_u32 v18, v6, v21, v18
	v_add3_u32 v19, v3, v20, v19
	v_lshl_or_b32 v18, v18, 6, v4
	v_lshl_or_b32 v20, v19, 6, v5
	v_ashrrev_i32_e32 v19, 31, v18
	v_lshlrev_b64 v[18:19], 1, v[18:19]
	v_ashrrev_i32_e32 v21, 31, v20
	v_add_co_u32_e32 v18, vcc, s16, v18
	v_lshlrev_b64 v[20:21], 1, v[20:21]
	v_addc_co_u32_e32 v19, vcc, v17, v19, vcc
	v_add_co_u32_e32 v20, vcc, s16, v20
	v_addc_co_u32_e32 v21, vcc, v17, v21, vcc
	global_load_dword v22, v[18:19], off
	global_load_dword v23, v[20:21], off
	v_add_u32_e32 v14, -2, v14
	v_lshl_add_u32 v18, s22, 7, v7
	v_lshl_add_u32 v19, s19, 7, v7
	s_add_i32 s22, s22, 2
	s_add_i32 s19, s19, 2
	v_cmp_eq_u32_e32 vcc, 0, v14
	s_or_b64 s[10:11], vcc, s[10:11]
	s_waitcnt vmcnt(1)
	ds_write_b32 v18, v22
	s_waitcnt vmcnt(0)
	ds_write_b32 v19, v23
	s_andn2_b64 exec, exec, s[10:11]
	s_cbranch_execnz .LBB132_4
; %bb.5:
	s_or_b64 exec, exec, s[10:11]
	v_and_b32_e32 v1, 0x7ffffffe, v8
	v_cmp_ne_u32_e32 vcc, v8, v1
	s_orn2_b64 s[10:11], vcc, exec
.LBB132_6:
	s_or_b64 exec, exec, s[8:9]
	s_and_b64 exec, exec, s[10:11]
	s_cbranch_execz .LBB132_9
; %bb.7:
	s_add_i32 s8, s14, s13
	s_add_i32 s8, s8, s12
	s_lshl_b32 s9, s20, 2
	s_sub_i32 s8, s8, s9
	v_mul_lo_u32 v3, s8, v2
	v_lshlrev_b32_e32 v5, 2, v9
	v_add3_u32 v3, v1, v3, v5
	v_lshl_or_b32 v6, v3, 6, v4
	v_lshlrev_b32_e32 v3, 7, v1
	v_add3_u32 v3, s2, v12, v3
	v_add3_u32 v3, v3, v11, 0
	s_mov_b64 s[8:9], 0
	s_waitcnt lgkmcnt(0)
	v_mov_b32_e32 v5, s17
.LBB132_8:                              ; =>This Inner Loop Header: Depth=1
	v_ashrrev_i32_e32 v7, 31, v6
	v_lshlrev_b64 v[14:15], 1, v[6:7]
	v_add_co_u32_e32 v14, vcc, s16, v14
	v_addc_co_u32_e32 v15, vcc, v5, v15, vcc
	global_load_dword v7, v[14:15], off
	v_add_u32_e32 v1, 1, v1
	v_cmp_ge_i32_e32 vcc, v1, v8
	v_add_u32_e32 v6, 64, v6
	s_or_b64 s[8:9], vcc, s[8:9]
	s_waitcnt vmcnt(0)
	ds_write_b32 v3, v7
	v_add_u32_e32 v3, 0x80, v3
	s_andn2_b64 exec, exec, s[8:9]
	s_cbranch_execnz .LBB132_8
.LBB132_9:
	s_or_b64 exec, exec, s[6:7]
	s_add_i32 s18, s18, 15
	s_load_dwordx8 s[4:11], s[4:5], 0x18
	s_ashr_i32 s19, s18, 31
	s_lshr_b32 s19, s19, 28
	s_add_i32 s18, s18, s19
	s_ashr_i32 s21, s18, 4
	v_mul_lo_u32 v1, v13, s3
	v_cmp_gt_i32_e32 vcc, s21, v10
	v_lshlrev_b32_e32 v5, 1, v1
	s_and_saveexec_b64 s[18:19], vcc
	s_cbranch_execz .LBB132_12
; %bb.10:
	v_ashrrev_i32_e32 v3, 31, v2
	v_lshlrev_b64 v[6:7], 3, v[2:3]
	s_waitcnt lgkmcnt(0)
	v_mov_b32_e32 v1, s11
	v_add_co_u32_e32 v6, vcc, s10, v6
	v_addc_co_u32_e32 v7, vcc, v1, v7, vcc
	global_load_dwordx2 v[6:7], v[6:7], off
	s_ashr_i32 s22, s3, 31
	v_lshlrev_b32_e32 v3, 4, v10
	v_add3_u32 v1, v5, v3, 0
	v_mov_b32_e32 v13, s9
	s_mov_b64 s[10:11], 0
	s_waitcnt vmcnt(0)
	v_mul_lo_u32 v14, v7, s3
	v_mul_lo_u32 v15, v6, s22
	v_mad_u64_u32 v[6:7], s[22:23], v6, s3, 0
	v_add3_u32 v7, v7, v15, v14
	v_lshlrev_b64 v[6:7], 1, v[6:7]
	v_add_co_u32_e32 v3, vcc, v6, v3
	v_addc_co_u32_e32 v7, vcc, 0, v7, vcc
	v_add_co_u32_e32 v6, vcc, s8, v3
	v_addc_co_u32_e32 v7, vcc, v13, v7, vcc
	v_mov_b32_e32 v3, v10
.LBB132_11:                             ; =>This Inner Loop Header: Depth=1
	global_load_dwordx4 v[14:17], v[6:7], off
	v_add_co_u32_e32 v6, vcc, 0x200, v6
	v_add_u32_e32 v3, 32, v3
	v_addc_co_u32_e32 v7, vcc, 0, v7, vcc
	v_cmp_le_i32_e32 vcc, s21, v3
	s_or_b64 s[10:11], vcc, s[10:11]
	s_waitcnt vmcnt(0)
	ds_write_b128 v1, v[14:17]
	v_add_u32_e32 v1, 0x200, v1
	s_andn2_b64 exec, exec, s[10:11]
	s_cbranch_execnz .LBB132_11
.LBB132_12:
	s_or_b64 exec, exec, s[18:19]
	s_and_b64 exec, exec, s[0:1]
	s_cbranch_execz .LBB132_25
; %bb.13:
	s_waitcnt lgkmcnt(0)
	global_load_dword v1, v11, s[4:5]
	global_load_dword v6, v11, s[6:7]
	v_mbcnt_lo_u32_b32 v3, -1, 0
	s_lshr_b32 s0, s3, 31
	s_add_i32 s1, s14, s13
	v_add_u32_e32 v13, s2, v12
	v_mbcnt_hi_u32_b32 v3, -1, v3
	s_lshl_b32 s11, s20, 2
	s_add_i32 s0, s3, s0
	s_add_i32 s1, s1, s12
	v_add3_u32 v11, v13, v11, 0
	v_and_b32_e32 v13, 0x60, v3
	v_add3_u32 v7, 0, v5, v4
	s_ashr_i32 s2, s0, 1
	s_and_b32 s0, s0, -2
	v_xor_b32_e32 v14, 16, v3
	s_sub_i32 s1, s1, s11
	v_add_u32_e32 v13, 32, v13
	v_xor_b32_e32 v15, 8, v3
	v_cmp_gt_i32_e32 vcc, s2, v10
	v_add_u32_e32 v10, s0, v7
	v_mul_lo_u32 v2, s1, v2
	v_cmp_lt_i32_e64 s[0:1], v14, v13
	v_xor_b32_e32 v16, 4, v3
	v_cndmask_b32_e64 v14, v3, v14, s[0:1]
	v_cmp_lt_i32_e64 s[0:1], v15, v13
	v_xor_b32_e32 v17, 2, v3
	v_cndmask_b32_e64 v15, v3, v15, s[0:1]
	;; [unrolled: 3-line block ×3, first 2 shown]
	v_cmp_lt_i32_e64 s[0:1], v17, v13
	v_lshlrev_b32_e32 v5, 8, v9
	v_cndmask_b32_e64 v17, v3, v17, s[0:1]
	v_cmp_lt_i32_e64 s[0:1], v18, v13
	v_cndmask_b32_e64 v3, v3, v18, s[0:1]
	v_lshl_add_u32 v2, v2, 6, v5
	s_mov_b32 s6, 0
	s_mov_b64 s[4:5], 0
	s_mov_b32 s7, 0xffff0000
	v_mov_b32_e32 v9, s15
	s_mov_b32 s8, 0x800000
	s_mov_b32 s9, 0x7f800000
	s_movk_i32 s10, 0x7fff
	v_mov_b32_e32 v12, s17
	v_lshlrev_b32_e32 v13, 2, v14
	v_lshlrev_b32_e32 v14, 2, v15
	;; [unrolled: 1-line block ×5, first 2 shown]
	v_or_b32_e32 v2, v2, v4
	v_mov_b32_e32 v20, 0
	s_waitcnt vmcnt(1)
	v_lshrrev_b32_e32 v18, 16, v1
	s_waitcnt vmcnt(0)
	v_lshrrev_b32_e32 v19, 16, v6
	s_branch .LBB132_15
.LBB132_14:                             ;   in Loop: Header=BB132_15 Depth=1
	s_or_b64 exec, exec, s[2:3]
	v_lshrrev_b32_e32 v3, 16, v3
	v_and_or_b32 v21, v4, s7, v3
	v_ashrrev_i32_e32 v3, 31, v2
	v_lshlrev_b64 v[4:5], 1, v[2:3]
	v_add_co_u32_e64 v4, s[0:1], s16, v4
	v_addc_co_u32_e64 v5, s[0:1], v12, v5, s[0:1]
	s_add_i32 s6, s6, 1
	v_cmp_ge_i32_e64 s[0:1], s6, v8
	v_add_u32_e32 v2, 64, v2
	s_or_b64 s[4:5], s[0:1], s[4:5]
	v_add_u32_e32 v11, 0x80, v11
	global_store_dword v[4:5], v21, off
	s_andn2_b64 exec, exec, s[4:5]
	s_cbranch_execz .LBB132_25
.LBB132_15:                             ; =>This Inner Loop Header: Depth=1
	ds_read_b32 v3, v11
	s_waitcnt lgkmcnt(0)
	v_and_b32_e32 v5, 0xffff0000, v3
	v_lshlrev_b32_e32 v4, 16, v3
	v_pk_mul_f32 v[22:23], v[4:5], v[4:5]
	v_add_f32_e32 v3, v23, v22
	ds_bpermute_b32 v21, v13, v3
	v_mov_b32_e32 v23, v9
	v_add_u32_e32 v22, s6, v0
	v_cmp_gt_i32_e64 s[2:3], s12, v22
	v_cndmask_b32_e64 v22, v6, v1, s[2:3]
	s_waitcnt lgkmcnt(0)
	v_add_f32_e32 v3, v3, v21
	ds_bpermute_b32 v21, v14, v3
	v_lshlrev_b32_e32 v22, 16, v22
	s_waitcnt lgkmcnt(0)
	v_add_f32_e32 v3, v3, v21
	ds_bpermute_b32 v21, v15, v3
	s_waitcnt lgkmcnt(0)
	v_add_f32_e32 v3, v3, v21
	ds_bpermute_b32 v21, v16, v3
	;; [unrolled: 3-line block ×3, first 2 shown]
	s_waitcnt lgkmcnt(0)
	v_add_f32_e32 v3, v3, v21
	v_fmac_f32_e32 v23, 0x3c800000, v3
	v_mul_f32_e32 v3, 0x4b800000, v23
	v_cmp_gt_f32_e64 s[0:1], s8, v23
	v_cndmask_b32_e64 v3, v23, v3, s[0:1]
	v_rsq_f32_e32 v3, v3
	v_cndmask_b32_e64 v21, v19, v18, s[2:3]
	v_lshlrev_b32_e32 v23, 16, v21
	v_mul_f32_e32 v21, 0x45800000, v3
	v_cndmask_b32_e64 v24, v3, v21, s[0:1]
	v_pk_mul_f32 v[22:23], v[24:25], v[22:23] op_sel_hi:[0,1]
	v_pk_mul_f32 v[4:5], v[22:23], v[4:5]
	s_and_saveexec_b64 s[0:1], vcc
	s_cbranch_execz .LBB132_17
; %bb.16:                               ;   in Loop: Header=BB132_15 Depth=1
	ds_read_u16 v3, v7
	ds_read_u16 v21, v10
	s_waitcnt lgkmcnt(1)
	v_lshlrev_b32_e32 v23, 16, v3
	s_waitcnt lgkmcnt(0)
	v_lshlrev_b32_e32 v22, 16, v21
	v_pk_mul_f32 v[24:25], v[4:5], v[22:23]
	v_mov_b32_e32 v3, v24
	v_mul_f32_e32 v21, v4, v23
	v_pk_fma_f32 v[24:25], v[4:5], v[22:23], v[2:3]
	v_fma_f32 v4, -v5, v22, v21
	v_mov_b32_e32 v5, v25
.LBB132_17:                             ;   in Loop: Header=BB132_15 Depth=1
	s_or_b64 exec, exec, s[0:1]
	v_and_b32_e32 v3, 0x7f800000, v4
	v_cmp_ne_u32_e64 s[0:1], s9, v3
                                        ; implicit-def: $vgpr3
	s_and_saveexec_b64 s[2:3], s[0:1]
	s_xor_b64 s[0:1], exec, s[2:3]
; %bb.18:                               ;   in Loop: Header=BB132_15 Depth=1
	v_bfe_u32 v3, v4, 16, 1
	v_add3_u32 v3, v4, v3, s10
; %bb.19:                               ;   in Loop: Header=BB132_15 Depth=1
	s_andn2_saveexec_b64 s[2:3], s[0:1]
; %bb.20:                               ;   in Loop: Header=BB132_15 Depth=1
	v_or_b32_e32 v3, 0x10000, v4
	v_cmp_eq_u32_sdwa s[0:1], v4, v20 src0_sel:WORD_0 src1_sel:DWORD
	v_cndmask_b32_e64 v3, v3, v4, s[0:1]
; %bb.21:                               ;   in Loop: Header=BB132_15 Depth=1
	s_or_b64 exec, exec, s[2:3]
	v_and_b32_e32 v4, 0x7f800000, v5
	v_cmp_ne_u32_e64 s[0:1], s9, v4
                                        ; implicit-def: $vgpr4
	s_and_saveexec_b64 s[2:3], s[0:1]
	s_xor_b64 s[0:1], exec, s[2:3]
; %bb.22:                               ;   in Loop: Header=BB132_15 Depth=1
	v_bfe_u32 v4, v5, 16, 1
	v_add3_u32 v4, v5, v4, s10
                                        ; implicit-def: $vgpr5
; %bb.23:                               ;   in Loop: Header=BB132_15 Depth=1
	s_andn2_saveexec_b64 s[2:3], s[0:1]
	s_cbranch_execz .LBB132_14
; %bb.24:                               ;   in Loop: Header=BB132_15 Depth=1
	v_or_b32_e32 v4, 0x10000, v5
	v_cmp_eq_u32_sdwa s[0:1], v5, v20 src0_sel:WORD_0 src1_sel:DWORD
	v_cndmask_b32_e64 v4, v4, v5, s[0:1]
	s_branch .LBB132_14
.LBB132_25:
	s_endpgm
	.section	.rodata,"a",@progbits
	.p2align	6, 0x0
	.amdhsa_kernel _ZN12tensorrt_llm7kernels32fusedQKNormRopeKernelNTokenHeadsIN3c108BFloat16ES3_Li64ELb1ELi4EEEvPviiifPKvS6_S6_PKlii
		.amdhsa_group_segment_fixed_size 0
		.amdhsa_private_segment_fixed_size 0
		.amdhsa_kernarg_size 320
		.amdhsa_user_sgpr_count 6
		.amdhsa_user_sgpr_private_segment_buffer 1
		.amdhsa_user_sgpr_dispatch_ptr 0
		.amdhsa_user_sgpr_queue_ptr 0
		.amdhsa_user_sgpr_kernarg_segment_ptr 1
		.amdhsa_user_sgpr_dispatch_id 0
		.amdhsa_user_sgpr_flat_scratch_init 0
		.amdhsa_user_sgpr_kernarg_preload_length 0
		.amdhsa_user_sgpr_kernarg_preload_offset 0
		.amdhsa_user_sgpr_private_segment_size 0
		.amdhsa_uses_dynamic_stack 0
		.amdhsa_system_sgpr_private_segment_wavefront_offset 0
		.amdhsa_system_sgpr_workgroup_id_x 1
		.amdhsa_system_sgpr_workgroup_id_y 0
		.amdhsa_system_sgpr_workgroup_id_z 0
		.amdhsa_system_sgpr_workgroup_info 0
		.amdhsa_system_vgpr_workitem_id 0
		.amdhsa_next_free_vgpr 26
		.amdhsa_next_free_sgpr 24
		.amdhsa_accum_offset 28
		.amdhsa_reserve_vcc 1
		.amdhsa_reserve_flat_scratch 0
		.amdhsa_float_round_mode_32 0
		.amdhsa_float_round_mode_16_64 0
		.amdhsa_float_denorm_mode_32 3
		.amdhsa_float_denorm_mode_16_64 3
		.amdhsa_dx10_clamp 1
		.amdhsa_ieee_mode 1
		.amdhsa_fp16_overflow 0
		.amdhsa_tg_split 0
		.amdhsa_exception_fp_ieee_invalid_op 0
		.amdhsa_exception_fp_denorm_src 0
		.amdhsa_exception_fp_ieee_div_zero 0
		.amdhsa_exception_fp_ieee_overflow 0
		.amdhsa_exception_fp_ieee_underflow 0
		.amdhsa_exception_fp_ieee_inexact 0
		.amdhsa_exception_int_div_zero 0
	.end_amdhsa_kernel
	.section	.text._ZN12tensorrt_llm7kernels32fusedQKNormRopeKernelNTokenHeadsIN3c108BFloat16ES3_Li64ELb1ELi4EEEvPviiifPKvS6_S6_PKlii,"axG",@progbits,_ZN12tensorrt_llm7kernels32fusedQKNormRopeKernelNTokenHeadsIN3c108BFloat16ES3_Li64ELb1ELi4EEEvPviiifPKvS6_S6_PKlii,comdat
.Lfunc_end132:
	.size	_ZN12tensorrt_llm7kernels32fusedQKNormRopeKernelNTokenHeadsIN3c108BFloat16ES3_Li64ELb1ELi4EEEvPviiifPKvS6_S6_PKlii, .Lfunc_end132-_ZN12tensorrt_llm7kernels32fusedQKNormRopeKernelNTokenHeadsIN3c108BFloat16ES3_Li64ELb1ELi4EEEvPviiifPKvS6_S6_PKlii
                                        ; -- End function
	.section	.AMDGPU.csdata,"",@progbits
; Kernel info:
; codeLenInByte = 1872
; NumSgprs: 28
; NumVgprs: 26
; NumAgprs: 0
; TotalNumVgprs: 26
; ScratchSize: 0
; MemoryBound: 0
; FloatMode: 240
; IeeeMode: 1
; LDSByteSize: 0 bytes/workgroup (compile time only)
; SGPRBlocks: 3
; VGPRBlocks: 3
; NumSGPRsForWavesPerEU: 28
; NumVGPRsForWavesPerEU: 26
; AccumOffset: 28
; Occupancy: 8
; WaveLimiterHint : 0
; COMPUTE_PGM_RSRC2:SCRATCH_EN: 0
; COMPUTE_PGM_RSRC2:USER_SGPR: 6
; COMPUTE_PGM_RSRC2:TRAP_HANDLER: 0
; COMPUTE_PGM_RSRC2:TGID_X_EN: 1
; COMPUTE_PGM_RSRC2:TGID_Y_EN: 0
; COMPUTE_PGM_RSRC2:TGID_Z_EN: 0
; COMPUTE_PGM_RSRC2:TIDIG_COMP_CNT: 0
; COMPUTE_PGM_RSRC3_GFX90A:ACCUM_OFFSET: 6
; COMPUTE_PGM_RSRC3_GFX90A:TG_SPLIT: 0
	.section	.text._ZN12tensorrt_llm7kernels32fusedQKNormRopeKernelNTokenHeadsIN3c108BFloat16ES3_Li64ELb0ELi4EEEvPviiifPKvS6_S6_PKlii,"axG",@progbits,_ZN12tensorrt_llm7kernels32fusedQKNormRopeKernelNTokenHeadsIN3c108BFloat16ES3_Li64ELb0ELi4EEEvPviiifPKvS6_S6_PKlii,comdat
	.protected	_ZN12tensorrt_llm7kernels32fusedQKNormRopeKernelNTokenHeadsIN3c108BFloat16ES3_Li64ELb0ELi4EEEvPviiifPKvS6_S6_PKlii ; -- Begin function _ZN12tensorrt_llm7kernels32fusedQKNormRopeKernelNTokenHeadsIN3c108BFloat16ES3_Li64ELb0ELi4EEEvPviiifPKvS6_S6_PKlii
	.globl	_ZN12tensorrt_llm7kernels32fusedQKNormRopeKernelNTokenHeadsIN3c108BFloat16ES3_Li64ELb0ELi4EEEvPviiifPKvS6_S6_PKlii
	.p2align	8
	.type	_ZN12tensorrt_llm7kernels32fusedQKNormRopeKernelNTokenHeadsIN3c108BFloat16ES3_Li64ELb0ELi4EEEvPviiifPKvS6_S6_PKlii,@function
_ZN12tensorrt_llm7kernels32fusedQKNormRopeKernelNTokenHeadsIN3c108BFloat16ES3_Li64ELb0ELi4EEEvPviiifPKvS6_S6_PKlii: ; @_ZN12tensorrt_llm7kernels32fusedQKNormRopeKernelNTokenHeadsIN3c108BFloat16ES3_Li64ELb0ELi4EEEvPviiifPKvS6_S6_PKlii
; %bb.0:
	s_load_dwordx4 s[12:15], s[4:5], 0x8
	s_load_dwordx2 s[2:3], s[4:5], 0x38
	s_load_dword s0, s[4:5], 0x4c
	v_lshrrev_b32_e32 v12, 5, v0
	s_waitcnt lgkmcnt(0)
	s_add_i32 s19, s13, s12
	s_add_i32 s1, s19, 3
	s_ashr_i32 s7, s1, 31
	s_lshr_b32 s7, s7, 30
	s_add_i32 s1, s1, s7
	s_ashr_i32 s21, s1, 2
	s_abs_i32 s1, s21
	v_cvt_f32_u32_e32 v1, s1
	s_bfe_u32 s0, s0, 0xb0005
	s_mul_i32 s6, s6, s0
	v_add_u32_e32 v8, s6, v12
	v_rcp_iflag_f32_e32 v1, v1
	s_sub_i32 s6, 0, s1
	v_sub_u32_e32 v2, 0, v8
	v_max_i32_e32 v2, v8, v2
	v_mul_f32_e32 v1, 0x4f7ffffe, v1
	v_cvt_u32_f32_e32 v1, v1
	v_xor_b32_e32 v3, s21, v8
	v_ashrrev_i32_e32 v3, 31, v3
	v_mul_lo_u32 v4, s6, v1
	v_mul_hi_u32 v4, v1, v4
	v_add_u32_e32 v1, v1, v4
	v_mul_hi_u32 v1, v2, v1
	v_mul_lo_u32 v4, v1, s1
	v_sub_u32_e32 v2, v2, v4
	v_add_u32_e32 v4, 1, v1
	v_cmp_le_u32_e32 vcc, s1, v2
	v_cndmask_b32_e32 v1, v1, v4, vcc
	v_subrev_u32_e32 v4, s1, v2
	v_cndmask_b32_e32 v2, v2, v4, vcc
	v_add_u32_e32 v4, 1, v1
	v_cmp_le_u32_e32 vcc, s1, v2
	v_cndmask_b32_e32 v1, v1, v4, vcc
	v_xor_b32_e32 v1, v1, v3
	v_sub_u32_e32 v2, v1, v3
	v_cmp_gt_i32_e32 vcc, s2, v2
	s_and_saveexec_b64 s[6:7], vcc
	s_cbranch_execz .LBB133_25
; %bb.1:
	v_and_b32_e32 v9, 31, v0
	v_mul_lo_u32 v0, v2, s21
	v_sub_u32_e32 v0, v8, v0
	s_load_dwordx2 s[16:17], s[4:5], 0x0
	v_lshlrev_b32_e32 v0, 2, v0
	v_add_u32_e32 v1, 4, v0
	v_sub_u32_e32 v3, s19, v0
	v_cmp_lt_i32_e32 vcc, s19, v1
	v_cndmask_b32_e32 v7, 4, v3, vcc
	s_lshl_b32 s2, s3, 1
	s_mul_i32 s20, s2, s0
	v_lshlrev_b32_e32 v10, 9, v12
	v_cmp_lt_i32_e64 s[0:1], 0, v7
	v_lshlrev_b32_e32 v11, 2, v9
	s_and_saveexec_b64 s[6:7], s[0:1]
	s_cbranch_execz .LBB133_9
; %bb.2:
	s_mov_b32 s18, 1
	v_lshlrev_b32_e32 v4, 1, v9
	v_cmp_ne_u32_e32 vcc, 1, v7
	s_mov_b64 s[10:11], -1
	v_mov_b32_e32 v1, 0
	s_and_saveexec_b64 s[8:9], vcc
	s_cbranch_execz .LBB133_6
; %bb.3:
	s_add_i32 s19, s19, s14
	s_add_i32 s10, s20, 0
	v_mul_lo_u32 v6, v2, s19
	s_mov_b32 s22, 0
	v_add3_u32 v13, s10, v10, v11
	v_mov_b32_e32 v1, v0
	s_mov_b32 s19, s12
	s_mov_b32 s23, s12
	v_mov_b32_e32 v3, v6
	v_mov_b32_e32 v5, v4
	v_and_b32_e32 v14, 0x7ffffffe, v7
	s_mov_b64 s[10:11], 0
	v_mov_b32_e32 v15, s12
	v_mov_b32_e32 v16, s12
	s_waitcnt lgkmcnt(0)
	v_mov_b32_e32 v17, s17
.LBB133_4:                              ; =>This Inner Loop Header: Depth=1
	v_add_u32_e32 v19, s18, v1
	v_add_u32_e32 v18, s22, v0
	v_cmp_le_i32_e32 vcc, s23, v19
	v_cndmask_b32_e32 v20, 0, v15, vcc
	v_cmp_le_i32_e32 vcc, s19, v18
	v_cndmask_b32_e32 v21, 0, v16, vcc
	v_sub_u32_e32 v18, v18, v21
	v_sub_u32_e32 v19, v19, v20
	v_add3_u32 v18, v6, v21, v18
	v_add3_u32 v19, v3, v20, v19
	v_lshl_or_b32 v18, v18, 6, v4
	v_lshl_or_b32 v20, v19, 6, v5
	v_ashrrev_i32_e32 v19, 31, v18
	v_lshlrev_b64 v[18:19], 1, v[18:19]
	v_ashrrev_i32_e32 v21, 31, v20
	v_add_co_u32_e32 v18, vcc, s16, v18
	v_lshlrev_b64 v[20:21], 1, v[20:21]
	v_addc_co_u32_e32 v19, vcc, v17, v19, vcc
	v_add_co_u32_e32 v20, vcc, s16, v20
	v_addc_co_u32_e32 v21, vcc, v17, v21, vcc
	global_load_dword v22, v[18:19], off
	global_load_dword v23, v[20:21], off
	v_add_u32_e32 v14, -2, v14
	v_lshl_add_u32 v18, s22, 7, v13
	v_lshl_add_u32 v19, s18, 7, v13
	s_add_i32 s22, s22, 2
	s_add_i32 s18, s18, 2
	v_cmp_eq_u32_e32 vcc, 0, v14
	s_or_b64 s[10:11], vcc, s[10:11]
	s_waitcnt vmcnt(1)
	ds_write_b32 v18, v22
	s_waitcnt vmcnt(0)
	ds_write_b32 v19, v23
	s_andn2_b64 exec, exec, s[10:11]
	s_cbranch_execnz .LBB133_4
; %bb.5:
	s_or_b64 exec, exec, s[10:11]
	v_and_b32_e32 v1, 0x7ffffffe, v7
	v_cmp_ne_u32_e32 vcc, v7, v1
	s_orn2_b64 s[10:11], vcc, exec
.LBB133_6:
	s_or_b64 exec, exec, s[8:9]
	s_and_b64 exec, exec, s[10:11]
	s_cbranch_execz .LBB133_9
; %bb.7:
	s_add_i32 s8, s14, s13
	s_add_i32 s8, s8, s12
	s_lshl_b32 s9, s21, 2
	s_sub_i32 s8, s8, s9
	v_mul_lo_u32 v3, s8, v2
	v_lshlrev_b32_e32 v5, 2, v8
	v_add3_u32 v3, v1, v3, v5
	v_lshl_or_b32 v4, v3, 6, v4
	v_lshlrev_b32_e32 v3, 7, v1
	v_add3_u32 v3, s20, v10, v3
	v_add3_u32 v3, v3, v11, 0
	s_mov_b64 s[8:9], 0
	s_waitcnt lgkmcnt(0)
	v_mov_b32_e32 v6, s17
.LBB133_8:                              ; =>This Inner Loop Header: Depth=1
	v_ashrrev_i32_e32 v5, 31, v4
	v_lshlrev_b64 v[14:15], 1, v[4:5]
	v_add_co_u32_e32 v14, vcc, s16, v14
	v_addc_co_u32_e32 v15, vcc, v6, v15, vcc
	global_load_dword v5, v[14:15], off
	v_add_u32_e32 v1, 1, v1
	v_cmp_ge_i32_e32 vcc, v1, v7
	v_add_u32_e32 v4, 64, v4
	s_or_b64 s[8:9], vcc, s[8:9]
	s_waitcnt vmcnt(0)
	ds_write_b32 v3, v5
	v_add_u32_e32 v3, 0x80, v3
	s_andn2_b64 exec, exec, s[8:9]
	s_cbranch_execnz .LBB133_8
.LBB133_9:
	s_or_b64 exec, exec, s[6:7]
	s_add_i32 s2, s2, 15
	s_load_dwordx8 s[4:11], s[4:5], 0x18
	s_ashr_i32 s18, s2, 31
	s_lshr_b32 s18, s18, 28
	s_add_i32 s2, s2, s18
	s_ashr_i32 s2, s2, 4
	v_cmp_gt_i32_e32 vcc, s2, v9
	v_mul_lo_u32 v12, v12, s3
	s_and_saveexec_b64 s[18:19], vcc
	s_cbranch_execz .LBB133_12
; %bb.10:
	v_ashrrev_i32_e32 v3, 31, v2
	v_lshlrev_b64 v[4:5], 3, v[2:3]
	s_waitcnt lgkmcnt(0)
	v_mov_b32_e32 v1, s11
	v_add_co_u32_e32 v4, vcc, s10, v4
	v_addc_co_u32_e32 v5, vcc, v1, v5, vcc
	global_load_dwordx2 v[4:5], v[4:5], off
	s_ashr_i32 s22, s3, 31
	v_lshlrev_b32_e32 v1, 1, v12
	v_lshlrev_b32_e32 v3, 4, v9
	v_add3_u32 v1, v1, v3, 0
	v_mov_b32_e32 v6, s9
	s_mov_b64 s[10:11], 0
	s_waitcnt vmcnt(0)
	v_mul_lo_u32 v13, v5, s3
	v_mul_lo_u32 v14, v4, s22
	v_mad_u64_u32 v[4:5], s[22:23], v4, s3, 0
	v_add3_u32 v5, v5, v14, v13
	v_lshlrev_b64 v[4:5], 1, v[4:5]
	v_add_co_u32_e32 v3, vcc, v4, v3
	v_addc_co_u32_e32 v5, vcc, 0, v5, vcc
	v_add_co_u32_e32 v4, vcc, s8, v3
	v_addc_co_u32_e32 v5, vcc, v6, v5, vcc
	v_mov_b32_e32 v3, v9
.LBB133_11:                             ; =>This Inner Loop Header: Depth=1
	global_load_dwordx4 v[14:17], v[4:5], off
	v_add_co_u32_e32 v4, vcc, 0x200, v4
	v_add_u32_e32 v3, 32, v3
	v_addc_co_u32_e32 v5, vcc, 0, v5, vcc
	v_cmp_le_i32_e32 vcc, s2, v3
	s_or_b64 s[10:11], vcc, s[10:11]
	s_waitcnt vmcnt(0)
	ds_write_b128 v1, v[14:17]
	v_add_u32_e32 v1, 0x200, v1
	s_andn2_b64 exec, exec, s[10:11]
	s_cbranch_execnz .LBB133_11
.LBB133_12:
	s_or_b64 exec, exec, s[18:19]
	s_and_b64 exec, exec, s[0:1]
	s_cbranch_execz .LBB133_25
; %bb.13:
	s_waitcnt lgkmcnt(0)
	global_load_dword v1, v11, s[4:5]
	global_load_dword v6, v11, s[6:7]
	v_mbcnt_lo_u32_b32 v4, -1, 0
	s_abs_i32 s4, s3
	s_lshr_b32 s0, s3, 31
	v_mbcnt_hi_u32_b32 v4, -1, v4
	v_cvt_f32_u32_e32 v14, s4
	v_lshl_add_u32 v3, v12, 1, 0
	s_add_i32 s1, s14, s13
	s_add_i32 s0, s3, s0
	v_and_b32_e32 v12, 0x60, v4
	s_add_i32 s7, s1, s12
	s_ashr_i32 s1, s0, 1
	s_and_b32 s0, s0, -2
	v_xor_b32_e32 v13, 16, v4
	v_add_u32_e32 v12, 32, v12
	v_xor_b32_e32 v15, 8, v4
	v_add_u32_e32 v21, s0, v3
	v_cmp_gt_i32_e32 vcc, s1, v9
	s_lshr_b32 s2, s1, 1
	v_cmp_lt_i32_e64 s[0:1], v13, v12
	v_xor_b32_e32 v16, 4, v4
	v_cndmask_b32_e64 v13, v4, v13, s[0:1]
	v_cmp_lt_i32_e64 s[0:1], v15, v12
	v_rcp_iflag_f32_e32 v22, v14
	v_xor_b32_e32 v17, 2, v4
	v_cndmask_b32_e64 v15, v4, v15, s[0:1]
	v_cmp_lt_i32_e64 s[0:1], v16, v12
	v_xor_b32_e32 v18, 1, v4
	v_cndmask_b32_e64 v16, v4, v16, s[0:1]
	v_cmp_lt_i32_e64 s[0:1], v17, v12
	v_cndmask_b32_e64 v17, v4, v17, s[0:1]
	v_cmp_lt_i32_e64 s[0:1], v18, v12
	v_cndmask_b32_e64 v18, v4, v18, s[0:1]
	v_lshlrev_b32_e32 v12, 2, v13
	v_lshlrev_b32_e32 v13, 2, v15
	;; [unrolled: 1-line block ×3, first 2 shown]
	v_mul_f32_e32 v17, 0x4f7ffffe, v22
	v_and_b32_e32 v19, 64, v4
	v_lshlrev_b32_e32 v14, 2, v16
	v_lshlrev_b32_e32 v16, 2, v18
	v_cvt_u32_f32_e32 v18, v17
	v_add_u32_e32 v19, 64, v19
	v_xor_b32_e32 v20, s2, v4
	v_cmp_gt_u32_e64 s[0:1], s2, v9
	v_cmp_lt_i32_e64 s[2:3], v20, v19
	s_sub_i32 s6, 0, s4
	v_cndmask_b32_e64 v4, v4, v20, s[2:3]
	v_lshlrev_b32_e32 v17, 2, v4
	v_mul_lo_u32 v4, s6, v18
	v_mul_hi_u32 v4, v18, v4
	v_add_u32_e32 v4, v18, v4
	v_or_b32_e32 v5, 2, v11
	v_mul_hi_u32 v18, v11, v4
	v_mul_hi_u32 v4, v5, v4
	v_mul_lo_u32 v18, v18, s4
	v_mul_lo_u32 v4, v4, s4
	v_sub_u32_e32 v18, v11, v18
	v_sub_u32_e32 v4, v5, v4
	v_subrev_u32_e32 v5, s4, v18
	v_cmp_le_u32_e64 s[2:3], s4, v18
	v_subrev_u32_e32 v19, s4, v4
	v_cndmask_b32_e64 v5, v18, v5, s[2:3]
	v_cmp_le_u32_e64 s[2:3], s4, v4
	v_cndmask_b32_e64 v4, v4, v19, s[2:3]
	v_subrev_u32_e32 v18, s4, v5
	v_cmp_le_u32_e64 s[2:3], s4, v5
	v_subrev_u32_e32 v19, s4, v4
	v_cndmask_b32_e64 v5, v5, v18, s[2:3]
	v_cmp_le_u32_e64 s[2:3], s4, v4
	s_lshl_b32 s5, s21, 2
	v_cndmask_b32_e64 v4, v4, v19, s[2:3]
	v_and_b32_e32 v5, -2, v5
	v_and_b32_e32 v4, -2, v4
	s_sub_i32 s2, s7, s5
	v_add_u32_e32 v18, v3, v5
	v_add_u32_e32 v20, v3, v4
	v_mul_lo_u32 v2, s2, v2
	v_lshlrev_b32_e32 v3, 8, v8
	v_lshl_add_u32 v2, v2, 6, v3
	v_add_u32_e32 v3, s20, v10
	s_mov_b32 s8, 0
	v_add_u32_e32 v19, v21, v5
	v_add_u32_e32 v21, v21, v4
	s_waitcnt vmcnt(1)
	v_lshrrev_b32_e32 v22, 16, v1
	s_waitcnt vmcnt(0)
	v_lshrrev_b32_e32 v23, 16, v6
	v_lshl_or_b32 v2, v9, 1, v2
	v_add3_u32 v8, v3, v11, 0
	s_mov_b64 s[6:7], 0
	s_mov_b32 s9, 0xffff0000
	v_mov_b32_e32 v9, s15
	s_mov_b32 s10, 0x800000
	s_mov_b32 s11, 0x7f800000
	s_movk_i32 s13, 0x7fff
	v_mov_b32_e32 v10, 0
	s_branch .LBB133_15
.LBB133_14:                             ;   in Loop: Header=BB133_15 Depth=1
	s_or_b64 exec, exec, s[4:5]
	v_lshrrev_b32_e32 v3, 16, v3
	v_and_or_b32 v11, v11, s9, v3
	v_ashrrev_i32_e32 v3, 31, v2
	v_lshlrev_b64 v[4:5], 1, v[2:3]
	v_mov_b32_e32 v3, s17
	v_add_co_u32_e64 v4, s[2:3], s16, v4
	v_addc_co_u32_e64 v5, s[2:3], v3, v5, s[2:3]
	s_add_i32 s8, s8, 1
	v_cmp_ge_i32_e64 s[2:3], s8, v7
	v_add_u32_e32 v2, 64, v2
	s_or_b64 s[6:7], s[2:3], s[6:7]
	v_add_u32_e32 v8, 0x80, v8
	global_store_dword v[4:5], v11, off
	s_andn2_b64 exec, exec, s[6:7]
	s_cbranch_execz .LBB133_25
.LBB133_15:                             ; =>This Inner Loop Header: Depth=1
	ds_read_b32 v3, v8
	v_mov_b32_e32 v11, v9
	s_waitcnt lgkmcnt(0)
	v_and_b32_e32 v24, 0xffff0000, v3
	v_lshlrev_b32_e32 v25, 16, v3
	v_pk_mul_f32 v[4:5], v[24:25], v[24:25]
	v_add_f32_e32 v3, v4, v5
	ds_bpermute_b32 v4, v12, v3
	v_add_u32_e32 v5, s8, v0
	v_cmp_gt_i32_e64 s[2:3], s12, v5
	v_cndmask_b32_e64 v5, v6, v1, s[2:3]
	s_waitcnt lgkmcnt(0)
	v_add_f32_e32 v3, v3, v4
	ds_bpermute_b32 v4, v13, v3
	s_waitcnt lgkmcnt(0)
	v_add_f32_e32 v3, v3, v4
	ds_bpermute_b32 v4, v14, v3
	;; [unrolled: 3-line block ×4, first 2 shown]
	s_waitcnt lgkmcnt(0)
	v_add_f32_e32 v3, v3, v4
	v_fmac_f32_e32 v11, 0x3c800000, v3
	v_mul_f32_e32 v3, 0x4b800000, v11
	v_cmp_gt_f32_e64 s[4:5], s10, v11
	v_cndmask_b32_e64 v3, v11, v3, s[4:5]
	v_rsq_f32_e32 v3, v3
	v_lshlrev_b32_e32 v4, 16, v5
	v_cndmask_b32_e64 v5, v23, v22, s[2:3]
	v_lshlrev_b32_e32 v5, 16, v5
	v_mul_f32_e32 v11, 0x45800000, v3
	v_cndmask_b32_e64 v3, v3, v11, s[4:5]
	v_mul_f32_e32 v4, v3, v4
	v_mul_f32_e32 v3, v3, v5
	;; [unrolled: 1-line block ×4, first 2 shown]
	s_and_saveexec_b64 s[2:3], vcc
	s_cbranch_execz .LBB133_17
; %bb.16:                               ;   in Loop: Header=BB133_15 Depth=1
	ds_bpermute_b32 v3, v17, v4
	; wave barrier
	ds_read_u16 v11, v18
	ds_read_u16 v24, v19
	ds_bpermute_b32 v25, v17, v5
	ds_read_u16 v26, v20
	ds_read_u16 v27, v21
	s_waitcnt lgkmcnt(5)
	v_cndmask_b32_e64 v3, v3, -v3, s[0:1]
	s_waitcnt lgkmcnt(4)
	v_lshlrev_b32_e32 v11, 16, v11
	s_waitcnt lgkmcnt(3)
	v_lshlrev_b32_e32 v24, 16, v24
	v_mul_f32_e32 v24, v3, v24
	v_fmac_f32_e32 v24, v4, v11
	s_waitcnt lgkmcnt(2)
	v_cndmask_b32_e64 v3, v25, -v25, s[0:1]
	s_waitcnt lgkmcnt(0)
	v_lshlrev_b32_e32 v11, 16, v27
	v_lshlrev_b32_e32 v4, 16, v26
	v_mul_f32_e32 v25, v3, v11
	v_fmac_f32_e32 v25, v5, v4
	v_pk_mov_b32 v[4:5], v[24:25], v[24:25] op_sel:[0,1]
	; wave barrier
.LBB133_17:                             ;   in Loop: Header=BB133_15 Depth=1
	s_or_b64 exec, exec, s[2:3]
	v_and_b32_e32 v3, 0x7f800000, v4
	v_cmp_ne_u32_e64 s[2:3], s11, v3
                                        ; implicit-def: $vgpr3
	s_and_saveexec_b64 s[4:5], s[2:3]
	s_xor_b64 s[2:3], exec, s[4:5]
; %bb.18:                               ;   in Loop: Header=BB133_15 Depth=1
	v_bfe_u32 v3, v4, 16, 1
	v_add3_u32 v3, v4, v3, s13
; %bb.19:                               ;   in Loop: Header=BB133_15 Depth=1
	s_andn2_saveexec_b64 s[4:5], s[2:3]
; %bb.20:                               ;   in Loop: Header=BB133_15 Depth=1
	v_or_b32_e32 v3, 0x10000, v4
	v_cmp_eq_u32_sdwa s[2:3], v4, v10 src0_sel:WORD_0 src1_sel:DWORD
	v_cndmask_b32_e64 v3, v3, v4, s[2:3]
; %bb.21:                               ;   in Loop: Header=BB133_15 Depth=1
	s_or_b64 exec, exec, s[4:5]
	v_and_b32_e32 v4, 0x7f800000, v5
	v_cmp_ne_u32_e64 s[2:3], s11, v4
                                        ; implicit-def: $vgpr11
	s_and_saveexec_b64 s[4:5], s[2:3]
	s_xor_b64 s[2:3], exec, s[4:5]
; %bb.22:                               ;   in Loop: Header=BB133_15 Depth=1
	v_bfe_u32 v4, v5, 16, 1
	v_add3_u32 v11, v5, v4, s13
                                        ; implicit-def: $vgpr4_vgpr5
; %bb.23:                               ;   in Loop: Header=BB133_15 Depth=1
	s_andn2_saveexec_b64 s[4:5], s[2:3]
	s_cbranch_execz .LBB133_14
; %bb.24:                               ;   in Loop: Header=BB133_15 Depth=1
	v_or_b32_e32 v4, 0x10000, v5
	v_cmp_eq_u32_sdwa s[2:3], v5, v10 src0_sel:WORD_0 src1_sel:DWORD
	v_cndmask_b32_e64 v11, v4, v5, s[2:3]
	s_branch .LBB133_14
.LBB133_25:
	s_endpgm
	.section	.rodata,"a",@progbits
	.p2align	6, 0x0
	.amdhsa_kernel _ZN12tensorrt_llm7kernels32fusedQKNormRopeKernelNTokenHeadsIN3c108BFloat16ES3_Li64ELb0ELi4EEEvPviiifPKvS6_S6_PKlii
		.amdhsa_group_segment_fixed_size 0
		.amdhsa_private_segment_fixed_size 0
		.amdhsa_kernarg_size 320
		.amdhsa_user_sgpr_count 6
		.amdhsa_user_sgpr_private_segment_buffer 1
		.amdhsa_user_sgpr_dispatch_ptr 0
		.amdhsa_user_sgpr_queue_ptr 0
		.amdhsa_user_sgpr_kernarg_segment_ptr 1
		.amdhsa_user_sgpr_dispatch_id 0
		.amdhsa_user_sgpr_flat_scratch_init 0
		.amdhsa_user_sgpr_kernarg_preload_length 0
		.amdhsa_user_sgpr_kernarg_preload_offset 0
		.amdhsa_user_sgpr_private_segment_size 0
		.amdhsa_uses_dynamic_stack 0
		.amdhsa_system_sgpr_private_segment_wavefront_offset 0
		.amdhsa_system_sgpr_workgroup_id_x 1
		.amdhsa_system_sgpr_workgroup_id_y 0
		.amdhsa_system_sgpr_workgroup_id_z 0
		.amdhsa_system_sgpr_workgroup_info 0
		.amdhsa_system_vgpr_workitem_id 0
		.amdhsa_next_free_vgpr 28
		.amdhsa_next_free_sgpr 24
		.amdhsa_accum_offset 28
		.amdhsa_reserve_vcc 1
		.amdhsa_reserve_flat_scratch 0
		.amdhsa_float_round_mode_32 0
		.amdhsa_float_round_mode_16_64 0
		.amdhsa_float_denorm_mode_32 3
		.amdhsa_float_denorm_mode_16_64 3
		.amdhsa_dx10_clamp 1
		.amdhsa_ieee_mode 1
		.amdhsa_fp16_overflow 0
		.amdhsa_tg_split 0
		.amdhsa_exception_fp_ieee_invalid_op 0
		.amdhsa_exception_fp_denorm_src 0
		.amdhsa_exception_fp_ieee_div_zero 0
		.amdhsa_exception_fp_ieee_overflow 0
		.amdhsa_exception_fp_ieee_underflow 0
		.amdhsa_exception_fp_ieee_inexact 0
		.amdhsa_exception_int_div_zero 0
	.end_amdhsa_kernel
	.section	.text._ZN12tensorrt_llm7kernels32fusedQKNormRopeKernelNTokenHeadsIN3c108BFloat16ES3_Li64ELb0ELi4EEEvPviiifPKvS6_S6_PKlii,"axG",@progbits,_ZN12tensorrt_llm7kernels32fusedQKNormRopeKernelNTokenHeadsIN3c108BFloat16ES3_Li64ELb0ELi4EEEvPviiifPKvS6_S6_PKlii,comdat
.Lfunc_end133:
	.size	_ZN12tensorrt_llm7kernels32fusedQKNormRopeKernelNTokenHeadsIN3c108BFloat16ES3_Li64ELb0ELi4EEEvPviiifPKvS6_S6_PKlii, .Lfunc_end133-_ZN12tensorrt_llm7kernels32fusedQKNormRopeKernelNTokenHeadsIN3c108BFloat16ES3_Li64ELb0ELi4EEEvPviiifPKvS6_S6_PKlii
                                        ; -- End function
	.section	.AMDGPU.csdata,"",@progbits
; Kernel info:
; codeLenInByte = 2172
; NumSgprs: 28
; NumVgprs: 28
; NumAgprs: 0
; TotalNumVgprs: 28
; ScratchSize: 0
; MemoryBound: 0
; FloatMode: 240
; IeeeMode: 1
; LDSByteSize: 0 bytes/workgroup (compile time only)
; SGPRBlocks: 3
; VGPRBlocks: 3
; NumSGPRsForWavesPerEU: 28
; NumVGPRsForWavesPerEU: 28
; AccumOffset: 28
; Occupancy: 8
; WaveLimiterHint : 0
; COMPUTE_PGM_RSRC2:SCRATCH_EN: 0
; COMPUTE_PGM_RSRC2:USER_SGPR: 6
; COMPUTE_PGM_RSRC2:TRAP_HANDLER: 0
; COMPUTE_PGM_RSRC2:TGID_X_EN: 1
; COMPUTE_PGM_RSRC2:TGID_Y_EN: 0
; COMPUTE_PGM_RSRC2:TGID_Z_EN: 0
; COMPUTE_PGM_RSRC2:TIDIG_COMP_CNT: 0
; COMPUTE_PGM_RSRC3_GFX90A:ACCUM_OFFSET: 6
; COMPUTE_PGM_RSRC3_GFX90A:TG_SPLIT: 0
	.section	.text._ZN12tensorrt_llm7kernels32fusedQKNormRopeKernelNTokenHeadsIN3c108BFloat16ES3_Li128ELb1ELi4EEEvPviiifPKvS6_S6_PKlii,"axG",@progbits,_ZN12tensorrt_llm7kernels32fusedQKNormRopeKernelNTokenHeadsIN3c108BFloat16ES3_Li128ELb1ELi4EEEvPviiifPKvS6_S6_PKlii,comdat
	.protected	_ZN12tensorrt_llm7kernels32fusedQKNormRopeKernelNTokenHeadsIN3c108BFloat16ES3_Li128ELb1ELi4EEEvPviiifPKvS6_S6_PKlii ; -- Begin function _ZN12tensorrt_llm7kernels32fusedQKNormRopeKernelNTokenHeadsIN3c108BFloat16ES3_Li128ELb1ELi4EEEvPviiifPKvS6_S6_PKlii
	.globl	_ZN12tensorrt_llm7kernels32fusedQKNormRopeKernelNTokenHeadsIN3c108BFloat16ES3_Li128ELb1ELi4EEEvPviiifPKvS6_S6_PKlii
	.p2align	8
	.type	_ZN12tensorrt_llm7kernels32fusedQKNormRopeKernelNTokenHeadsIN3c108BFloat16ES3_Li128ELb1ELi4EEEvPviiifPKvS6_S6_PKlii,@function
_ZN12tensorrt_llm7kernels32fusedQKNormRopeKernelNTokenHeadsIN3c108BFloat16ES3_Li128ELb1ELi4EEEvPviiifPKvS6_S6_PKlii: ; @_ZN12tensorrt_llm7kernels32fusedQKNormRopeKernelNTokenHeadsIN3c108BFloat16ES3_Li128ELb1ELi4EEEvPviiifPKvS6_S6_PKlii
; %bb.0:
	s_load_dwordx4 s[12:15], s[4:5], 0x8
	s_load_dwordx2 s[16:17], s[4:5], 0x38
	s_load_dword s1, s[4:5], 0x4c
	v_lshrrev_b32_e32 v2, 5, v0
	s_waitcnt lgkmcnt(0)
	s_add_i32 s0, s13, s12
	s_add_i32 s2, s0, 3
	s_ashr_i32 s3, s2, 31
	s_lshr_b32 s3, s3, 30
	s_add_i32 s2, s2, s3
	s_ashr_i32 s20, s2, 2
	s_abs_i32 s2, s20
	v_cvt_f32_u32_e32 v1, s2
	s_bfe_u32 s1, s1, 0xb0005
	s_mul_i32 s6, s6, s1
	s_sub_i32 s3, 0, s2
	v_rcp_iflag_f32_e32 v3, v1
	v_add_u32_e32 v1, s6, v2
	v_sub_u32_e32 v4, 0, v1
	v_max_i32_e32 v4, v1, v4
	v_mul_f32_e32 v3, 0x4f7ffffe, v3
	v_cvt_u32_f32_e32 v3, v3
	v_xor_b32_e32 v5, s20, v1
	v_ashrrev_i32_e32 v5, 31, v5
	v_mul_lo_u32 v6, s3, v3
	v_mul_hi_u32 v6, v3, v6
	v_add_u32_e32 v3, v3, v6
	v_mul_hi_u32 v3, v4, v3
	v_mul_lo_u32 v6, v3, s2
	v_sub_u32_e32 v4, v4, v6
	v_add_u32_e32 v6, 1, v3
	v_cmp_le_u32_e32 vcc, s2, v4
	v_cndmask_b32_e32 v3, v3, v6, vcc
	v_subrev_u32_e32 v6, s2, v4
	v_cndmask_b32_e32 v4, v4, v6, vcc
	v_add_u32_e32 v6, 1, v3
	v_cmp_le_u32_e32 vcc, s2, v4
	v_cndmask_b32_e32 v3, v3, v6, vcc
	v_xor_b32_e32 v3, v3, v5
	v_sub_u32_e32 v4, v3, v5
	v_cmp_gt_i32_e32 vcc, s16, v4
	s_and_saveexec_b64 s[2:3], vcc
	s_cbranch_execz .LBB134_28
; %bb.1:
	v_and_b32_e32 v6, 31, v0
	v_mul_lo_u32 v0, v4, s20
	v_sub_u32_e32 v0, v1, v0
	s_load_dwordx2 s[2:3], s[4:5], 0x0
	v_lshlrev_b32_e32 v10, 2, v0
	v_add_u32_e32 v0, 4, v10
	v_sub_u32_e32 v3, s0, v10
	v_cmp_lt_i32_e32 vcc, s0, v0
	v_cndmask_b32_e32 v11, 4, v3, vcc
	s_lshl_b32 s18, s17, 1
	s_mul_i32 s16, s18, s1
	v_lshlrev_b32_e32 v9, 10, v2
	v_cmp_lt_i32_e64 s[0:1], 0, v11
	v_lshlrev_b32_e32 v8, 3, v6
	v_lshlrev_b32_e32 v7, 9, v1
	s_and_saveexec_b64 s[6:7], s[0:1]
	s_cbranch_execz .LBB134_4
; %bb.2:
	s_add_i32 s8, s16, 0
	v_add3_u32 v3, s8, v9, v8
	s_add_i32 s8, s14, s13
	s_add_i32 s8, s8, s12
	s_lshl_b32 s9, s20, 2
	s_sub_i32 s8, s8, s9
	v_mul_lo_u32 v0, s8, v4
	v_lshl_add_u32 v0, v0, 7, v7
	s_mov_b32 s10, 0
	v_lshl_or_b32 v0, v6, 2, v0
	s_mov_b64 s[8:9], 0
	s_waitcnt lgkmcnt(0)
	v_mov_b32_e32 v5, s3
.LBB134_3:                              ; =>This Inner Loop Header: Depth=1
	v_ashrrev_i32_e32 v1, 31, v0
	v_lshlrev_b64 v[12:13], 1, v[0:1]
	v_add_co_u32_e32 v12, vcc, s2, v12
	v_addc_co_u32_e32 v13, vcc, v5, v13, vcc
	global_load_dwordx2 v[12:13], v[12:13], off
	s_add_i32 s10, s10, 1
	v_cmp_ge_i32_e32 vcc, s10, v11
	v_add_u32_e32 v0, 0x80, v0
	s_or_b64 s[8:9], vcc, s[8:9]
	s_waitcnt vmcnt(0)
	ds_write_b64 v3, v[12:13]
	v_add_u32_e32 v3, 0x100, v3
	s_andn2_b64 exec, exec, s[8:9]
	s_cbranch_execnz .LBB134_3
.LBB134_4:
	s_or_b64 exec, exec, s[6:7]
	s_add_i32 s18, s18, 15
	s_load_dwordx8 s[4:11], s[4:5], 0x18
	s_ashr_i32 s19, s18, 31
	s_lshr_b32 s19, s19, 28
	s_add_i32 s18, s18, s19
	s_ashr_i32 s21, s18, 4
	v_mul_lo_u32 v0, v2, s17
	v_cmp_gt_i32_e32 vcc, s21, v6
	v_lshlrev_b32_e32 v13, 1, v0
	s_and_saveexec_b64 s[18:19], vcc
	s_cbranch_execz .LBB134_7
; %bb.5:
	v_ashrrev_i32_e32 v5, 31, v4
	v_lshlrev_b64 v[0:1], 3, v[4:5]
	s_waitcnt lgkmcnt(0)
	v_mov_b32_e32 v2, s11
	v_add_co_u32_e32 v0, vcc, s10, v0
	v_addc_co_u32_e32 v1, vcc, v2, v1, vcc
	global_load_dwordx2 v[0:1], v[0:1], off
	s_ashr_i32 s22, s17, 31
	v_lshlrev_b32_e32 v3, 4, v6
	v_mov_b32_e32 v5, s9
	s_mov_b64 s[10:11], 0
	v_add3_u32 v2, v13, v3, 0
	s_waitcnt vmcnt(0)
	v_mul_lo_u32 v12, v1, s17
	v_mul_lo_u32 v14, v0, s22
	v_mad_u64_u32 v[0:1], s[22:23], v0, s17, 0
	v_add3_u32 v1, v1, v14, v12
	v_lshlrev_b64 v[0:1], 1, v[0:1]
	v_add_co_u32_e32 v0, vcc, v0, v3
	v_addc_co_u32_e32 v1, vcc, 0, v1, vcc
	v_add_co_u32_e32 v0, vcc, s8, v0
	v_addc_co_u32_e32 v1, vcc, v5, v1, vcc
	v_mov_b32_e32 v3, v6
.LBB134_6:                              ; =>This Inner Loop Header: Depth=1
	global_load_dwordx4 v[14:17], v[0:1], off
	v_add_co_u32_e32 v0, vcc, 0x200, v0
	v_add_u32_e32 v3, 32, v3
	v_addc_co_u32_e32 v1, vcc, 0, v1, vcc
	v_cmp_le_i32_e32 vcc, s21, v3
	s_or_b64 s[10:11], vcc, s[10:11]
	s_waitcnt vmcnt(0)
	ds_write_b128 v2, v[14:17]
	v_add_u32_e32 v2, 0x200, v2
	s_andn2_b64 exec, exec, s[10:11]
	s_cbranch_execnz .LBB134_6
.LBB134_7:
	s_or_b64 exec, exec, s[18:19]
	s_and_b64 exec, exec, s[0:1]
	s_cbranch_execz .LBB134_28
; %bb.8:
	s_waitcnt lgkmcnt(0)
	global_load_dwordx2 v[0:1], v8, s[4:5]
	global_load_dwordx2 v[2:3], v8, s[6:7]
	v_mbcnt_lo_u32_b32 v14, -1, 0
	v_add_u32_e32 v9, s16, v9
	v_mbcnt_hi_u32_b32 v16, -1, v14
	v_add3_u32 v14, v9, v8, 0
	v_and_b32_e32 v8, 0x60, v16
	v_xor_b32_e32 v9, 16, v16
	v_add_u32_e32 v8, 32, v8
	v_xor_b32_e32 v17, 8, v16
	v_cmp_lt_i32_e32 vcc, v9, v8
	s_add_i32 s6, s14, s13
	v_xor_b32_e32 v18, 4, v16
	v_cndmask_b32_e32 v9, v16, v9, vcc
	v_cmp_lt_i32_e32 vcc, v17, v8
	s_ashr_i32 s1, s17, 31
	s_lshl_b32 s7, s20, 2
	s_add_i32 s6, s6, s12
	v_xor_b32_e32 v19, 2, v16
	v_cndmask_b32_e32 v17, v16, v17, vcc
	v_cmp_lt_i32_e32 vcc, v18, v8
	s_lshr_b32 s0, s17, 31
	s_lshr_b32 s1, s1, 30
	v_xor_b32_e32 v20, 1, v16
	s_sub_i32 s6, s6, s7
	v_cndmask_b32_e32 v18, v16, v18, vcc
	v_cmp_lt_i32_e32 vcc, v19, v8
	v_lshlrev_b32_e32 v5, 2, v6
	s_add_i32 s0, s17, s0
	s_add_i32 s1, s17, s1
	v_mul_lo_u32 v4, s6, v4
	v_cndmask_b32_e32 v19, v16, v19, vcc
	v_cmp_lt_i32_e32 vcc, v20, v8
	v_add3_u32 v13, 0, v13, v5
	s_and_b32 s0, s0, -2
	s_ashr_i32 s1, s1, 2
	v_cndmask_b32_e32 v8, v16, v20, vcc
	v_lshl_add_u32 v4, v4, 7, v7
	s_mov_b32 s8, 0
	s_mov_b64 s[4:5], 0
	s_mov_b32 s9, 0xffff0000
	v_mov_b32_e32 v12, s15
	s_mov_b32 s10, 0x800000
	s_mov_b32 s11, 0x7f800000
	s_movk_i32 s13, 0x7fff
	v_add_u32_e32 v15, s0, v13
	v_cmp_gt_i32_e32 vcc, s1, v6
	v_lshlrev_b32_e32 v16, 2, v9
	v_lshlrev_b32_e32 v17, 2, v17
	;; [unrolled: 1-line block ×5, first 2 shown]
	v_or_b32_e32 v4, v4, v5
	v_mov_b32_e32 v25, 0
	s_waitcnt vmcnt(1)
	v_lshrrev_b32_e32 v21, 16, v0
	s_waitcnt vmcnt(0)
	v_lshrrev_b32_e32 v22, 16, v2
	v_lshrrev_b32_e32 v23, 16, v1
	;; [unrolled: 1-line block ×3, first 2 shown]
	s_branch .LBB134_10
.LBB134_9:                              ;   in Loop: Header=BB134_10 Depth=1
	s_or_b64 exec, exec, s[6:7]
	v_lshrrev_b32_e32 v28, 16, v5
	v_ashrrev_i32_e32 v5, 31, v4
	v_lshlrev_b64 v[26:27], 1, v[4:5]
	v_mov_b32_e32 v5, s3
	v_add_co_u32_e64 v26, s[0:1], s2, v26
	v_addc_co_u32_e64 v27, s[0:1], v5, v27, s[0:1]
	s_add_i32 s8, s8, 1
	v_and_b32_e32 v5, 0xffff0000, v6
	v_cmp_ge_i32_e64 s[0:1], s8, v11
	v_or_b32_sdwa v7, v5, v9 dst_sel:DWORD dst_unused:UNUSED_PAD src0_sel:DWORD src1_sel:WORD_1
	v_and_or_b32 v6, v8, s9, v28
	v_add_u32_e32 v4, 0x80, v4
	s_or_b64 s[4:5], s[0:1], s[4:5]
	v_add_u32_e32 v14, 0x100, v14
	global_store_dwordx2 v[26:27], v[6:7], off
	s_andn2_b64 exec, exec, s[4:5]
	s_cbranch_execz .LBB134_28
.LBB134_10:                             ; =>This Inner Loop Header: Depth=1
	ds_read_b64 v[6:7], v14
	s_waitcnt lgkmcnt(0)
	v_alignbit_b32 v5, v7, v6, 16
	v_lshlrev_b32_e32 v8, 16, v6
	v_and_b32_e32 v9, 0xffff0000, v6
	v_and_b32_e32 v7, 0xffff0000, v7
	;; [unrolled: 1-line block ×3, first 2 shown]
	v_pk_mul_f32 v[26:27], v[8:9], v[8:9]
	v_pk_mul_f32 v[28:29], v[6:7], v[6:7]
	v_add_f32_e32 v5, v26, v27
	v_add_f32_e32 v5, v5, v28
	;; [unrolled: 1-line block ×3, first 2 shown]
	ds_bpermute_b32 v26, v16, v5
	v_add_u32_e32 v27, s8, v10
	v_mov_b32_e32 v28, v12
	v_cmp_gt_i32_e64 s[0:1], s12, v27
	v_cndmask_b32_e64 v27, v22, v21, s[0:1]
	s_waitcnt lgkmcnt(0)
	v_add_f32_e32 v5, v5, v26
	ds_bpermute_b32 v26, v17, v5
	v_cndmask_b32_e64 v29, v2, v0, s[0:1]
	v_cndmask_b32_e64 v30, v24, v23, s[0:1]
	;; [unrolled: 1-line block ×3, first 2 shown]
	v_lshlrev_b32_e32 v27, 16, v27
	s_waitcnt lgkmcnt(0)
	v_add_f32_e32 v5, v5, v26
	ds_bpermute_b32 v26, v18, v5
	s_waitcnt lgkmcnt(0)
	v_add_f32_e32 v5, v5, v26
	ds_bpermute_b32 v26, v19, v5
	;; [unrolled: 3-line block ×3, first 2 shown]
	s_waitcnt lgkmcnt(0)
	v_add_f32_e32 v5, v5, v26
	v_fmac_f32_e32 v28, 0x3c000000, v5
	v_mul_f32_e32 v5, 0x4b800000, v28
	v_cmp_gt_f32_e64 s[0:1], s10, v28
	v_cndmask_b32_e64 v5, v28, v5, s[0:1]
	v_rsq_f32_e32 v5, v5
	v_lshlrev_b32_e32 v26, 16, v29
	v_lshlrev_b32_e32 v29, 16, v30
	;; [unrolled: 1-line block ×3, first 2 shown]
	v_mul_f32_e32 v30, 0x45800000, v5
	v_cndmask_b32_e64 v30, v5, v30, s[0:1]
	v_pk_mul_f32 v[26:27], v[30:31], v[26:27] op_sel_hi:[0,1]
	v_pk_mul_f32 v[28:29], v[30:31], v[28:29] op_sel_hi:[0,1]
	v_pk_mul_f32 v[8:9], v[26:27], v[8:9]
	v_pk_mul_f32 v[6:7], v[28:29], v[6:7]
	s_and_saveexec_b64 s[0:1], vcc
	s_cbranch_execz .LBB134_12
; %bb.11:                               ;   in Loop: Header=BB134_10 Depth=1
	ds_read_u16 v5, v13
	ds_read_u16 v27, v15
	ds_read_u16 v32, v13 offset:2
	ds_read_u16 v33, v15 offset:2
	s_waitcnt lgkmcnt(3)
	v_lshlrev_b32_e32 v26, 16, v5
	s_waitcnt lgkmcnt(2)
	v_lshlrev_b32_e32 v28, 16, v27
	v_pk_mul_f32 v[28:29], v[8:9], v[28:29] op_sel_hi:[1,0]
	v_pk_mul_f32 v[30:31], v[8:9], v[26:27] op_sel_hi:[1,0]
	v_pk_fma_f32 v[8:9], v[8:9], v[26:27], v[28:29] op_sel:[0,0,1] op_sel_hi:[1,0,0]
	s_waitcnt lgkmcnt(1)
	v_lshlrev_b32_e32 v27, 16, v32
	s_waitcnt lgkmcnt(0)
	v_lshlrev_b32_e32 v26, 16, v33
	v_mov_b32_e32 v28, v7
	v_mov_b32_e32 v8, v27
	v_pk_mul_f32 v[32:33], v[28:29], v[26:27]
	v_pk_mul_f32 v[34:35], v[6:7], v[26:27]
	v_pk_fma_f32 v[32:33], v[6:7], v[8:9], v[32:33] op_sel_hi:[1,0,1] neg_lo:[0,0,1] neg_hi:[0,0,1]
	v_mov_b32_e32 v8, v35
	v_pk_fma_f32 v[26:27], v[6:7], v[26:27], v[8:9]
	v_sub_f32_e32 v8, v30, v29
	v_mov_b32_e32 v6, v32
	v_mov_b32_e32 v7, v26
.LBB134_12:                             ;   in Loop: Header=BB134_10 Depth=1
	s_or_b64 exec, exec, s[0:1]
	v_and_b32_e32 v5, 0x7f800000, v8
	v_cmp_ne_u32_e64 s[0:1], s11, v5
                                        ; implicit-def: $vgpr5
	s_and_saveexec_b64 s[6:7], s[0:1]
	s_xor_b64 s[0:1], exec, s[6:7]
; %bb.13:                               ;   in Loop: Header=BB134_10 Depth=1
	v_bfe_u32 v5, v8, 16, 1
	v_add3_u32 v5, v8, v5, s13
; %bb.14:                               ;   in Loop: Header=BB134_10 Depth=1
	s_andn2_saveexec_b64 s[6:7], s[0:1]
; %bb.15:                               ;   in Loop: Header=BB134_10 Depth=1
	v_or_b32_e32 v5, 0x10000, v8
	v_cmp_eq_u32_sdwa s[0:1], v8, v25 src0_sel:WORD_0 src1_sel:DWORD
	v_cndmask_b32_e64 v5, v5, v8, s[0:1]
; %bb.16:                               ;   in Loop: Header=BB134_10 Depth=1
	s_or_b64 exec, exec, s[6:7]
	v_and_b32_e32 v8, 0x7f800000, v9
	v_cmp_ne_u32_e64 s[0:1], s11, v8
                                        ; implicit-def: $vgpr8
	s_and_saveexec_b64 s[6:7], s[0:1]
	s_xor_b64 s[0:1], exec, s[6:7]
; %bb.17:                               ;   in Loop: Header=BB134_10 Depth=1
	v_bfe_u32 v8, v9, 16, 1
	v_add3_u32 v8, v9, v8, s13
                                        ; implicit-def: $vgpr9
; %bb.18:                               ;   in Loop: Header=BB134_10 Depth=1
	s_andn2_saveexec_b64 s[6:7], s[0:1]
; %bb.19:                               ;   in Loop: Header=BB134_10 Depth=1
	v_or_b32_e32 v8, 0x10000, v9
	v_cmp_eq_u32_sdwa s[0:1], v9, v25 src0_sel:WORD_0 src1_sel:DWORD
	v_cndmask_b32_e64 v8, v8, v9, s[0:1]
; %bb.20:                               ;   in Loop: Header=BB134_10 Depth=1
	s_or_b64 exec, exec, s[6:7]
	v_and_b32_e32 v9, 0x7f800000, v6
	v_cmp_ne_u32_e64 s[0:1], s11, v9
                                        ; implicit-def: $vgpr9
	s_and_saveexec_b64 s[6:7], s[0:1]
	s_xor_b64 s[0:1], exec, s[6:7]
; %bb.21:                               ;   in Loop: Header=BB134_10 Depth=1
	v_bfe_u32 v9, v6, 16, 1
	v_add3_u32 v9, v6, v9, s13
; %bb.22:                               ;   in Loop: Header=BB134_10 Depth=1
	s_andn2_saveexec_b64 s[6:7], s[0:1]
; %bb.23:                               ;   in Loop: Header=BB134_10 Depth=1
	v_or_b32_e32 v9, 0x10000, v6
	v_cmp_eq_u32_sdwa s[0:1], v6, v25 src0_sel:WORD_0 src1_sel:DWORD
	v_cndmask_b32_e64 v9, v9, v6, s[0:1]
; %bb.24:                               ;   in Loop: Header=BB134_10 Depth=1
	s_or_b64 exec, exec, s[6:7]
	v_and_b32_e32 v6, 0x7f800000, v7
	v_cmp_ne_u32_e64 s[0:1], s11, v6
                                        ; implicit-def: $vgpr6
	s_and_saveexec_b64 s[6:7], s[0:1]
	s_xor_b64 s[0:1], exec, s[6:7]
; %bb.25:                               ;   in Loop: Header=BB134_10 Depth=1
	v_bfe_u32 v6, v7, 16, 1
	v_add3_u32 v6, v7, v6, s13
                                        ; implicit-def: $vgpr7
; %bb.26:                               ;   in Loop: Header=BB134_10 Depth=1
	s_andn2_saveexec_b64 s[6:7], s[0:1]
	s_cbranch_execz .LBB134_9
; %bb.27:                               ;   in Loop: Header=BB134_10 Depth=1
	v_or_b32_e32 v6, 0x10000, v7
	v_cmp_eq_u32_sdwa s[0:1], v7, v25 src0_sel:WORD_0 src1_sel:DWORD
	v_cndmask_b32_e64 v6, v6, v7, s[0:1]
	s_branch .LBB134_9
.LBB134_28:
	s_endpgm
	.section	.rodata,"a",@progbits
	.p2align	6, 0x0
	.amdhsa_kernel _ZN12tensorrt_llm7kernels32fusedQKNormRopeKernelNTokenHeadsIN3c108BFloat16ES3_Li128ELb1ELi4EEEvPviiifPKvS6_S6_PKlii
		.amdhsa_group_segment_fixed_size 0
		.amdhsa_private_segment_fixed_size 0
		.amdhsa_kernarg_size 320
		.amdhsa_user_sgpr_count 6
		.amdhsa_user_sgpr_private_segment_buffer 1
		.amdhsa_user_sgpr_dispatch_ptr 0
		.amdhsa_user_sgpr_queue_ptr 0
		.amdhsa_user_sgpr_kernarg_segment_ptr 1
		.amdhsa_user_sgpr_dispatch_id 0
		.amdhsa_user_sgpr_flat_scratch_init 0
		.amdhsa_user_sgpr_kernarg_preload_length 0
		.amdhsa_user_sgpr_kernarg_preload_offset 0
		.amdhsa_user_sgpr_private_segment_size 0
		.amdhsa_uses_dynamic_stack 0
		.amdhsa_system_sgpr_private_segment_wavefront_offset 0
		.amdhsa_system_sgpr_workgroup_id_x 1
		.amdhsa_system_sgpr_workgroup_id_y 0
		.amdhsa_system_sgpr_workgroup_id_z 0
		.amdhsa_system_sgpr_workgroup_info 0
		.amdhsa_system_vgpr_workitem_id 0
		.amdhsa_next_free_vgpr 36
		.amdhsa_next_free_sgpr 24
		.amdhsa_accum_offset 36
		.amdhsa_reserve_vcc 1
		.amdhsa_reserve_flat_scratch 0
		.amdhsa_float_round_mode_32 0
		.amdhsa_float_round_mode_16_64 0
		.amdhsa_float_denorm_mode_32 3
		.amdhsa_float_denorm_mode_16_64 3
		.amdhsa_dx10_clamp 1
		.amdhsa_ieee_mode 1
		.amdhsa_fp16_overflow 0
		.amdhsa_tg_split 0
		.amdhsa_exception_fp_ieee_invalid_op 0
		.amdhsa_exception_fp_denorm_src 0
		.amdhsa_exception_fp_ieee_div_zero 0
		.amdhsa_exception_fp_ieee_overflow 0
		.amdhsa_exception_fp_ieee_underflow 0
		.amdhsa_exception_fp_ieee_inexact 0
		.amdhsa_exception_int_div_zero 0
	.end_amdhsa_kernel
	.section	.text._ZN12tensorrt_llm7kernels32fusedQKNormRopeKernelNTokenHeadsIN3c108BFloat16ES3_Li128ELb1ELi4EEEvPviiifPKvS6_S6_PKlii,"axG",@progbits,_ZN12tensorrt_llm7kernels32fusedQKNormRopeKernelNTokenHeadsIN3c108BFloat16ES3_Li128ELb1ELi4EEEvPviiifPKvS6_S6_PKlii,comdat
.Lfunc_end134:
	.size	_ZN12tensorrt_llm7kernels32fusedQKNormRopeKernelNTokenHeadsIN3c108BFloat16ES3_Li128ELb1ELi4EEEvPviiifPKvS6_S6_PKlii, .Lfunc_end134-_ZN12tensorrt_llm7kernels32fusedQKNormRopeKernelNTokenHeadsIN3c108BFloat16ES3_Li128ELb1ELi4EEEvPviiifPKvS6_S6_PKlii
                                        ; -- End function
	.section	.AMDGPU.csdata,"",@progbits
; Kernel info:
; codeLenInByte = 1848
; NumSgprs: 28
; NumVgprs: 36
; NumAgprs: 0
; TotalNumVgprs: 36
; ScratchSize: 0
; MemoryBound: 0
; FloatMode: 240
; IeeeMode: 1
; LDSByteSize: 0 bytes/workgroup (compile time only)
; SGPRBlocks: 3
; VGPRBlocks: 4
; NumSGPRsForWavesPerEU: 28
; NumVGPRsForWavesPerEU: 36
; AccumOffset: 36
; Occupancy: 8
; WaveLimiterHint : 0
; COMPUTE_PGM_RSRC2:SCRATCH_EN: 0
; COMPUTE_PGM_RSRC2:USER_SGPR: 6
; COMPUTE_PGM_RSRC2:TRAP_HANDLER: 0
; COMPUTE_PGM_RSRC2:TGID_X_EN: 1
; COMPUTE_PGM_RSRC2:TGID_Y_EN: 0
; COMPUTE_PGM_RSRC2:TGID_Z_EN: 0
; COMPUTE_PGM_RSRC2:TIDIG_COMP_CNT: 0
; COMPUTE_PGM_RSRC3_GFX90A:ACCUM_OFFSET: 8
; COMPUTE_PGM_RSRC3_GFX90A:TG_SPLIT: 0
	.section	.text._ZN12tensorrt_llm7kernels32fusedQKNormRopeKernelNTokenHeadsIN3c108BFloat16ES3_Li128ELb0ELi4EEEvPviiifPKvS6_S6_PKlii,"axG",@progbits,_ZN12tensorrt_llm7kernels32fusedQKNormRopeKernelNTokenHeadsIN3c108BFloat16ES3_Li128ELb0ELi4EEEvPviiifPKvS6_S6_PKlii,comdat
	.protected	_ZN12tensorrt_llm7kernels32fusedQKNormRopeKernelNTokenHeadsIN3c108BFloat16ES3_Li128ELb0ELi4EEEvPviiifPKvS6_S6_PKlii ; -- Begin function _ZN12tensorrt_llm7kernels32fusedQKNormRopeKernelNTokenHeadsIN3c108BFloat16ES3_Li128ELb0ELi4EEEvPviiifPKvS6_S6_PKlii
	.globl	_ZN12tensorrt_llm7kernels32fusedQKNormRopeKernelNTokenHeadsIN3c108BFloat16ES3_Li128ELb0ELi4EEEvPviiifPKvS6_S6_PKlii
	.p2align	8
	.type	_ZN12tensorrt_llm7kernels32fusedQKNormRopeKernelNTokenHeadsIN3c108BFloat16ES3_Li128ELb0ELi4EEEvPviiifPKvS6_S6_PKlii,@function
_ZN12tensorrt_llm7kernels32fusedQKNormRopeKernelNTokenHeadsIN3c108BFloat16ES3_Li128ELb0ELi4EEEvPviiifPKvS6_S6_PKlii: ; @_ZN12tensorrt_llm7kernels32fusedQKNormRopeKernelNTokenHeadsIN3c108BFloat16ES3_Li128ELb0ELi4EEEvPviiifPKvS6_S6_PKlii
; %bb.0:
	s_load_dwordx4 s[12:15], s[4:5], 0x8
	s_load_dwordx2 s[2:3], s[4:5], 0x38
	s_load_dword s1, s[4:5], 0x4c
	v_lshrrev_b32_e32 v3, 5, v0
	s_waitcnt lgkmcnt(0)
	s_add_i32 s0, s13, s12
	s_add_i32 s7, s0, 3
	s_ashr_i32 s8, s7, 31
	s_lshr_b32 s8, s8, 30
	s_add_i32 s7, s7, s8
	s_ashr_i32 s20, s7, 2
	s_abs_i32 s7, s20
	v_cvt_f32_u32_e32 v1, s7
	s_bfe_u32 s1, s1, 0xb0005
	s_mul_i32 s6, s6, s1
	v_rcp_iflag_f32_e32 v2, v1
	v_add_u32_e32 v1, s6, v3
	s_sub_i32 s6, 0, s7
	v_sub_u32_e32 v4, 0, v1
	v_mul_f32_e32 v2, 0x4f7ffffe, v2
	v_cvt_u32_f32_e32 v2, v2
	v_max_i32_e32 v4, v1, v4
	v_xor_b32_e32 v5, s20, v1
	v_ashrrev_i32_e32 v5, 31, v5
	v_mul_lo_u32 v6, s6, v2
	v_mul_hi_u32 v6, v2, v6
	v_add_u32_e32 v2, v2, v6
	v_mul_hi_u32 v2, v4, v2
	v_mul_lo_u32 v6, v2, s7
	v_sub_u32_e32 v4, v4, v6
	v_add_u32_e32 v6, 1, v2
	v_cmp_le_u32_e32 vcc, s7, v4
	v_cndmask_b32_e32 v2, v2, v6, vcc
	v_subrev_u32_e32 v6, s7, v4
	v_cndmask_b32_e32 v4, v4, v6, vcc
	v_add_u32_e32 v6, 1, v2
	v_cmp_le_u32_e32 vcc, s7, v4
	v_cndmask_b32_e32 v2, v2, v6, vcc
	v_xor_b32_e32 v2, v2, v5
	v_sub_u32_e32 v2, v2, v5
	v_cmp_gt_i32_e32 vcc, s2, v2
	s_and_saveexec_b64 s[6:7], vcc
	s_cbranch_execz .LBB135_28
; %bb.1:
	v_and_b32_e32 v8, 31, v0
	v_mul_lo_u32 v0, v2, s20
	v_sub_u32_e32 v0, v1, v0
	s_load_dwordx2 s[16:17], s[4:5], 0x0
	v_lshlrev_b32_e32 v10, 2, v0
	v_add_u32_e32 v0, 4, v10
	v_sub_u32_e32 v4, s0, v10
	v_cmp_lt_i32_e32 vcc, s0, v0
	v_cndmask_b32_e32 v11, 4, v4, vcc
	s_lshl_b32 s2, s3, 1
	s_mul_i32 s21, s2, s1
	v_lshlrev_b32_e32 v9, 10, v3
	v_cmp_lt_i32_e64 s[0:1], 0, v11
	v_lshlrev_b32_e32 v28, 3, v8
	v_lshlrev_b32_e32 v29, 9, v1
	s_and_saveexec_b64 s[6:7], s[0:1]
	s_cbranch_execz .LBB135_4
; %bb.2:
	s_add_i32 s8, s21, 0
	v_add3_u32 v4, s8, v9, v28
	s_add_i32 s8, s14, s13
	s_add_i32 s8, s8, s12
	s_lshl_b32 s9, s20, 2
	s_sub_i32 s8, s8, s9
	v_mul_lo_u32 v0, s8, v2
	v_lshl_add_u32 v0, v0, 7, v29
	s_mov_b32 s10, 0
	v_lshl_or_b32 v0, v8, 2, v0
	s_mov_b64 s[8:9], 0
	s_waitcnt lgkmcnt(0)
	v_mov_b32_e32 v5, s17
.LBB135_3:                              ; =>This Inner Loop Header: Depth=1
	v_ashrrev_i32_e32 v1, 31, v0
	v_lshlrev_b64 v[6:7], 1, v[0:1]
	v_add_co_u32_e32 v6, vcc, s16, v6
	v_addc_co_u32_e32 v7, vcc, v5, v7, vcc
	global_load_dwordx2 v[6:7], v[6:7], off
	s_add_i32 s10, s10, 1
	v_cmp_ge_i32_e32 vcc, s10, v11
	v_add_u32_e32 v0, 0x80, v0
	s_or_b64 s[8:9], vcc, s[8:9]
	s_waitcnt vmcnt(0)
	ds_write_b64 v4, v[6:7]
	v_add_u32_e32 v4, 0x100, v4
	s_andn2_b64 exec, exec, s[8:9]
	s_cbranch_execnz .LBB135_3
.LBB135_4:
	s_or_b64 exec, exec, s[6:7]
	s_add_i32 s2, s2, 15
	s_load_dwordx8 s[4:11], s[4:5], 0x18
	s_ashr_i32 s18, s2, 31
	s_lshr_b32 s18, s18, 28
	s_add_i32 s2, s2, s18
	s_ashr_i32 s2, s2, 4
	v_cmp_gt_i32_e32 vcc, s2, v8
	v_mul_lo_u32 v12, v3, s3
	s_and_saveexec_b64 s[18:19], vcc
	s_cbranch_execz .LBB135_7
; %bb.5:
	v_ashrrev_i32_e32 v3, 31, v2
	v_lshlrev_b64 v[0:1], 3, v[2:3]
	s_waitcnt lgkmcnt(0)
	v_mov_b32_e32 v3, s11
	v_add_co_u32_e32 v0, vcc, s10, v0
	v_addc_co_u32_e32 v1, vcc, v3, v1, vcc
	global_load_dwordx2 v[0:1], v[0:1], off
	s_ashr_i32 s22, s3, 31
	v_lshlrev_b32_e32 v4, 4, v8
	v_lshlrev_b32_e32 v3, 1, v12
	v_mov_b32_e32 v5, s9
	s_mov_b64 s[10:11], 0
	v_add3_u32 v3, v3, v4, 0
	s_waitcnt vmcnt(0)
	v_mul_lo_u32 v6, v1, s3
	v_mul_lo_u32 v7, v0, s22
	v_mad_u64_u32 v[0:1], s[22:23], v0, s3, 0
	v_add3_u32 v1, v1, v7, v6
	v_lshlrev_b64 v[0:1], 1, v[0:1]
	v_add_co_u32_e32 v0, vcc, v0, v4
	v_addc_co_u32_e32 v1, vcc, 0, v1, vcc
	v_add_co_u32_e32 v0, vcc, s8, v0
	v_addc_co_u32_e32 v1, vcc, v5, v1, vcc
	v_mov_b32_e32 v4, v8
.LBB135_6:                              ; =>This Inner Loop Header: Depth=1
	global_load_dwordx4 v[14:17], v[0:1], off
	v_add_co_u32_e32 v0, vcc, 0x200, v0
	v_add_u32_e32 v4, 32, v4
	v_addc_co_u32_e32 v1, vcc, 0, v1, vcc
	v_cmp_le_i32_e32 vcc, s2, v4
	s_or_b64 s[10:11], vcc, s[10:11]
	s_waitcnt vmcnt(0)
	ds_write_b128 v3, v[14:17]
	v_add_u32_e32 v3, 0x200, v3
	s_andn2_b64 exec, exec, s[10:11]
	s_cbranch_execnz .LBB135_6
.LBB135_7:
	s_or_b64 exec, exec, s[18:19]
	s_and_b64 exec, exec, s[0:1]
	s_cbranch_execz .LBB135_28
; %bb.8:
	s_waitcnt lgkmcnt(0)
	global_load_dwordx2 v[4:5], v28, s[4:5]
	global_load_dwordx2 v[6:7], v28, s[6:7]
	v_mbcnt_lo_u32_b32 v1, -1, 0
	s_abs_i32 s4, s3
	v_mbcnt_hi_u32_b32 v1, -1, v1
	v_cvt_f32_u32_e32 v14, s4
	v_lshl_add_u32 v0, v12, 1, 0
	v_and_b32_e32 v12, 0x60, v1
	v_xor_b32_e32 v13, 16, v1
	v_add_u32_e32 v12, 32, v12
	v_xor_b32_e32 v15, 8, v1
	v_cmp_lt_i32_e32 vcc, v13, v12
	v_xor_b32_e32 v16, 4, v1
	v_cndmask_b32_e32 v13, v1, v13, vcc
	v_cmp_lt_i32_e32 vcc, v15, v12
	v_rcp_iflag_f32_e32 v21, v14
	v_xor_b32_e32 v17, 2, v1
	v_cndmask_b32_e32 v15, v1, v15, vcc
	v_cmp_lt_i32_e32 vcc, v16, v12
	s_ashr_i32 s1, s3, 31
	v_xor_b32_e32 v18, 1, v1
	v_cndmask_b32_e32 v16, v1, v16, vcc
	v_cmp_lt_i32_e32 vcc, v17, v12
	s_lshr_b32 s2, s1, 30
	s_lshr_b32 s1, s1, 29
	v_cndmask_b32_e32 v17, v1, v17, vcc
	v_cmp_lt_i32_e32 vcc, v18, v12
	s_lshr_b32 s0, s3, 31
	s_add_i32 s1, s3, s1
	v_cndmask_b32_e32 v18, v1, v18, vcc
	v_lshlrev_b32_e32 v12, 2, v13
	v_lshlrev_b32_e32 v13, 2, v15
	;; [unrolled: 1-line block ×3, first 2 shown]
	v_mul_f32_e32 v17, 0x4f7ffffe, v21
	s_add_i32 s0, s3, s0
	v_and_b32_e32 v19, 64, v1
	s_ashr_i32 s1, s1, 3
	v_lshlrev_b32_e32 v14, 2, v16
	v_lshlrev_b32_e32 v16, 2, v18
	v_cvt_u32_f32_e32 v18, v17
	s_and_b32 s0, s0, -2
	s_add_i32 s2, s3, s2
	v_add_u32_e32 v19, 64, v19
	v_xor_b32_e32 v20, s1, v1
	v_add_u32_e32 v31, s0, v0
	s_ashr_i32 s0, s2, 2
	v_cmp_lt_i32_e64 s[2:3], v20, v19
	s_sub_i32 s5, 0, s4
	v_cndmask_b32_e64 v1, v1, v20, s[2:3]
	v_lshlrev_b32_e32 v17, 2, v1
	v_mul_lo_u32 v1, s5, v18
	v_mul_hi_u32 v1, v18, v1
	v_add_u32_e32 v1, v18, v1
	v_or_b32_e32 v3, 2, v28
	v_mul_hi_u32 v18, v28, v1
	v_mul_hi_u32 v19, v3, v1
	v_mul_lo_u32 v18, v18, s4
	v_mul_lo_u32 v19, v19, s4
	v_sub_u32_e32 v18, v28, v18
	v_sub_u32_e32 v3, v3, v19
	v_subrev_u32_e32 v19, s4, v18
	v_cmp_le_u32_e64 s[2:3], s4, v18
	v_subrev_u32_e32 v20, s4, v3
	v_cndmask_b32_e64 v18, v18, v19, s[2:3]
	v_cmp_le_u32_e64 s[2:3], s4, v3
	v_cndmask_b32_e64 v3, v3, v20, s[2:3]
	v_subrev_u32_e32 v19, s4, v18
	v_cmp_le_u32_e64 s[2:3], s4, v18
	v_cndmask_b32_e64 v18, v18, v19, s[2:3]
	v_subrev_u32_e32 v24, s4, v3
	v_cmp_le_u32_e64 s[2:3], s4, v3
	v_cndmask_b32_e64 v3, v3, v24, s[2:3]
	v_or_b32_e32 v26, 4, v28
	v_and_b32_e32 v3, -2, v3
	v_add_u32_e32 v24, v0, v3
	v_add_u32_e32 v25, v31, v3
	v_mul_hi_u32 v3, v26, v1
	v_mul_lo_u32 v3, v3, s4
	v_sub_u32_e32 v3, v26, v3
	v_subrev_u32_e32 v26, s4, v3
	v_cmp_le_u32_e64 s[2:3], s4, v3
	v_or_b32_e32 v30, 6, v28
	v_cndmask_b32_e64 v3, v3, v26, s[2:3]
	v_subrev_u32_e32 v26, s4, v3
	v_cmp_le_u32_e64 s[2:3], s4, v3
	v_mul_hi_u32 v1, v30, v1
	v_cndmask_b32_e64 v3, v3, v26, s[2:3]
	v_mul_lo_u32 v1, v1, s4
	v_and_b32_e32 v3, -2, v3
	v_sub_u32_e32 v1, v30, v1
	v_add_u32_e32 v26, v0, v3
	v_add_u32_e32 v27, v31, v3
	v_subrev_u32_e32 v3, s4, v1
	v_cmp_le_u32_e64 s[2:3], s4, v1
	v_cndmask_b32_e64 v1, v1, v3, s[2:3]
	v_subrev_u32_e32 v3, s4, v1
	v_cmp_le_u32_e64 s[2:3], s4, v1
	v_cndmask_b32_e64 v1, v1, v3, s[2:3]
	s_add_i32 s2, s14, s13
	s_add_i32 s2, s2, s12
	s_lshl_b32 s3, s20, 2
	v_and_b32_e32 v19, -2, v18
	v_and_b32_e32 v1, -2, v1
	s_sub_i32 s2, s2, s3
	v_add_u32_e32 v18, v0, v19
	v_add_u32_e32 v30, v0, v1
	v_mul_lo_u32 v0, s2, v2
	v_lshl_add_u32 v0, v0, 7, v29
	v_cmp_gt_i32_e32 vcc, s0, v8
	v_cmp_gt_i32_e64 s[0:1], s1, v8
	v_lshl_or_b32 v8, v8, 2, v0
	v_add_u32_e32 v0, s21, v9
	s_mov_b32 s8, 0
	v_add_u32_e32 v19, v31, v19
	s_waitcnt vmcnt(1)
	v_lshrrev_b32_e32 v20, 16, v4
	v_lshrrev_b32_e32 v21, 16, v5
	s_waitcnt vmcnt(0)
	v_lshrrev_b32_e32 v22, 16, v6
	v_lshrrev_b32_e32 v23, 16, v7
	v_add_u32_e32 v31, v31, v1
	v_add3_u32 v28, v0, v28, 0
	s_mov_b64 s[4:5], 0
	s_mov_b32 s9, 0xffff0000
	s_mov_b32 s10, 0x800000
	;; [unrolled: 1-line block ×3, first 2 shown]
	s_movk_i32 s13, 0x7fff
	v_mov_b32_e32 v29, s15
	v_mov_b32_e32 v32, 0
	s_branch .LBB135_10
.LBB135_9:                              ;   in Loop: Header=BB135_10 Depth=1
	s_or_b64 exec, exec, s[6:7]
	v_lshrrev_b32_e32 v2, 16, v9
	v_ashrrev_i32_e32 v9, 31, v8
	v_lshlrev_b64 v[0:1], 1, v[8:9]
	v_mov_b32_e32 v3, s17
	v_add_co_u32_e64 v0, s[2:3], s16, v0
	v_addc_co_u32_e64 v1, s[2:3], v3, v1, s[2:3]
	s_add_i32 s8, s8, 1
	v_and_b32_e32 v3, 0xffff0000, v35
	v_cmp_ge_i32_e64 s[2:3], s8, v11
	v_or_b32_sdwa v3, v3, v34 dst_sel:DWORD dst_unused:UNUSED_PAD src0_sel:DWORD src1_sel:WORD_1
	v_and_or_b32 v2, v33, s9, v2
	v_add_u32_e32 v8, 0x80, v8
	s_or_b64 s[4:5], s[2:3], s[4:5]
	v_add_u32_e32 v28, 0x100, v28
	global_store_dwordx2 v[0:1], v[2:3], off
	s_andn2_b64 exec, exec, s[4:5]
	s_cbranch_execz .LBB135_28
.LBB135_10:                             ; =>This Inner Loop Header: Depth=1
	ds_read_b64 v[0:1], v28
	v_add_u32_e32 v34, s8, v10
	v_mov_b32_e32 v35, v29
	v_cmp_gt_i32_e64 s[2:3], s12, v34
	v_cndmask_b32_e64 v34, v6, v4, s[2:3]
	s_waitcnt lgkmcnt(0)
	v_and_b32_e32 v2, 0xffff0000, v0
	v_lshlrev_b32_e32 v3, 16, v0
	v_alignbit_b32 v0, v1, v0, 16
	v_and_b32_e32 v9, 0xffff0000, v1
	v_mul_f32_e32 v1, v2, v2
	v_and_b32_e32 v33, 0xffff0000, v0
	v_fmac_f32_e32 v1, v3, v3
	v_fmac_f32_e32 v1, v33, v33
	;; [unrolled: 1-line block ×3, first 2 shown]
	ds_bpermute_b32 v0, v12, v1
	v_cndmask_b32_e64 v36, v22, v20, s[2:3]
	v_cndmask_b32_e64 v37, v7, v5, s[2:3]
	;; [unrolled: 1-line block ×3, first 2 shown]
	v_lshlrev_b32_e32 v34, 16, v34
	s_waitcnt lgkmcnt(0)
	v_add_f32_e32 v0, v1, v0
	ds_bpermute_b32 v1, v13, v0
	s_waitcnt lgkmcnt(0)
	v_add_f32_e32 v0, v0, v1
	ds_bpermute_b32 v1, v14, v0
	;; [unrolled: 3-line block ×4, first 2 shown]
	s_waitcnt lgkmcnt(0)
	v_add_f32_e32 v0, v0, v1
	v_fmac_f32_e32 v35, 0x3c000000, v0
	v_mul_f32_e32 v0, 0x4b800000, v35
	v_cmp_gt_f32_e64 s[2:3], s10, v35
	v_cndmask_b32_e64 v0, v35, v0, s[2:3]
	v_rsq_f32_e32 v0, v0
	v_lshlrev_b32_e32 v35, 16, v37
	v_lshlrev_b32_e32 v1, 16, v36
	;; [unrolled: 1-line block ×3, first 2 shown]
	v_mul_f32_e32 v37, 0x45800000, v0
	v_cndmask_b32_e64 v0, v0, v37, s[2:3]
	v_mul_f32_e32 v34, v0, v34
	v_mul_f32_e32 v1, v0, v1
	;; [unrolled: 1-line block ×8, first 2 shown]
	s_and_saveexec_b64 s[2:3], vcc
	s_cbranch_execz .LBB135_12
; %bb.11:                               ;   in Loop: Header=BB135_10 Depth=1
	ds_bpermute_b32 v9, v17, v0
	ds_bpermute_b32 v33, v17, v1
	; wave barrier
	ds_read_u16 v34, v18
	ds_read_u16 v35, v19
	;; [unrolled: 1-line block ×8, first 2 shown]
	s_waitcnt lgkmcnt(9)
	v_cndmask_b32_e64 v9, v9, -v9, s[0:1]
	s_waitcnt lgkmcnt(7)
	v_lshlrev_b32_e32 v42, 16, v34
	s_waitcnt lgkmcnt(6)
	v_lshlrev_b32_e32 v34, 16, v35
	v_mul_f32_e32 v34, v9, v34
	v_fmac_f32_e32 v34, v0, v42
	v_cndmask_b32_e64 v0, v33, -v33, s[0:1]
	ds_bpermute_b32 v9, v17, v2
	s_waitcnt lgkmcnt(5)
	v_lshlrev_b32_e32 v35, 16, v37
	v_lshlrev_b32_e32 v33, 16, v36
	v_mul_f32_e32 v35, v0, v35
	v_fmac_f32_e32 v35, v1, v33
	ds_bpermute_b32 v1, v17, v3
	s_waitcnt lgkmcnt(1)
	v_cndmask_b32_e64 v0, v9, -v9, s[0:1]
	v_lshlrev_b32_e32 v33, 16, v39
	v_lshlrev_b32_e32 v9, 16, v38
	v_mul_f32_e32 v36, v0, v33
	v_fmac_f32_e32 v36, v2, v9
	s_waitcnt lgkmcnt(0)
	v_cndmask_b32_e64 v0, v1, -v1, s[0:1]
	v_lshlrev_b32_e32 v2, 16, v41
	v_lshlrev_b32_e32 v1, 16, v40
	v_mul_f32_e32 v37, v0, v2
	v_fmac_f32_e32 v37, v3, v1
	v_pk_mov_b32 v[0:1], v[34:35], v[34:35] op_sel:[0,1]
	v_pk_mov_b32 v[2:3], v[36:37], v[36:37] op_sel:[0,1]
	; wave barrier
.LBB135_12:                             ;   in Loop: Header=BB135_10 Depth=1
	s_or_b64 exec, exec, s[2:3]
	v_and_b32_e32 v9, 0x7f800000, v0
	v_cmp_ne_u32_e64 s[2:3], s11, v9
                                        ; implicit-def: $vgpr9
	s_and_saveexec_b64 s[6:7], s[2:3]
	s_xor_b64 s[2:3], exec, s[6:7]
; %bb.13:                               ;   in Loop: Header=BB135_10 Depth=1
	v_bfe_u32 v9, v0, 16, 1
	v_add3_u32 v9, v0, v9, s13
; %bb.14:                               ;   in Loop: Header=BB135_10 Depth=1
	s_andn2_saveexec_b64 s[6:7], s[2:3]
; %bb.15:                               ;   in Loop: Header=BB135_10 Depth=1
	v_or_b32_e32 v9, 0x10000, v0
	v_cmp_eq_u32_sdwa s[2:3], v0, v32 src0_sel:WORD_0 src1_sel:DWORD
	v_cndmask_b32_e64 v9, v9, v0, s[2:3]
; %bb.16:                               ;   in Loop: Header=BB135_10 Depth=1
	s_or_b64 exec, exec, s[6:7]
	v_and_b32_e32 v0, 0x7f800000, v1
	v_cmp_ne_u32_e64 s[2:3], s11, v0
                                        ; implicit-def: $vgpr33
	s_and_saveexec_b64 s[6:7], s[2:3]
	s_xor_b64 s[2:3], exec, s[6:7]
; %bb.17:                               ;   in Loop: Header=BB135_10 Depth=1
	v_bfe_u32 v0, v1, 16, 1
	v_add3_u32 v33, v1, v0, s13
; %bb.18:                               ;   in Loop: Header=BB135_10 Depth=1
	s_andn2_saveexec_b64 s[6:7], s[2:3]
; %bb.19:                               ;   in Loop: Header=BB135_10 Depth=1
	v_or_b32_e32 v0, 0x10000, v1
	v_cmp_eq_u32_sdwa s[2:3], v1, v32 src0_sel:WORD_0 src1_sel:DWORD
	v_cndmask_b32_e64 v33, v0, v1, s[2:3]
; %bb.20:                               ;   in Loop: Header=BB135_10 Depth=1
	s_or_b64 exec, exec, s[6:7]
	v_and_b32_e32 v0, 0x7f800000, v2
	v_cmp_ne_u32_e64 s[2:3], s11, v0
                                        ; implicit-def: $vgpr34
	s_and_saveexec_b64 s[6:7], s[2:3]
	s_xor_b64 s[2:3], exec, s[6:7]
; %bb.21:                               ;   in Loop: Header=BB135_10 Depth=1
	v_bfe_u32 v0, v2, 16, 1
	v_add3_u32 v34, v2, v0, s13
; %bb.22:                               ;   in Loop: Header=BB135_10 Depth=1
	s_andn2_saveexec_b64 s[6:7], s[2:3]
; %bb.23:                               ;   in Loop: Header=BB135_10 Depth=1
	v_or_b32_e32 v0, 0x10000, v2
	v_cmp_eq_u32_sdwa s[2:3], v2, v32 src0_sel:WORD_0 src1_sel:DWORD
	v_cndmask_b32_e64 v34, v0, v2, s[2:3]
; %bb.24:                               ;   in Loop: Header=BB135_10 Depth=1
	s_or_b64 exec, exec, s[6:7]
	v_and_b32_e32 v0, 0x7f800000, v3
	v_cmp_ne_u32_e64 s[2:3], s11, v0
                                        ; implicit-def: $vgpr35
	s_and_saveexec_b64 s[6:7], s[2:3]
	s_xor_b64 s[2:3], exec, s[6:7]
; %bb.25:                               ;   in Loop: Header=BB135_10 Depth=1
	v_bfe_u32 v0, v3, 16, 1
	v_add3_u32 v35, v3, v0, s13
                                        ; implicit-def: $vgpr0_vgpr1_vgpr2_vgpr3
; %bb.26:                               ;   in Loop: Header=BB135_10 Depth=1
	s_andn2_saveexec_b64 s[6:7], s[2:3]
	s_cbranch_execz .LBB135_9
; %bb.27:                               ;   in Loop: Header=BB135_10 Depth=1
	v_or_b32_e32 v0, 0x10000, v3
	v_cmp_eq_u32_sdwa s[2:3], v3, v32 src0_sel:WORD_0 src1_sel:DWORD
	v_cndmask_b32_e64 v35, v0, v3, s[2:3]
	s_branch .LBB135_9
.LBB135_28:
	s_endpgm
	.section	.rodata,"a",@progbits
	.p2align	6, 0x0
	.amdhsa_kernel _ZN12tensorrt_llm7kernels32fusedQKNormRopeKernelNTokenHeadsIN3c108BFloat16ES3_Li128ELb0ELi4EEEvPviiifPKvS6_S6_PKlii
		.amdhsa_group_segment_fixed_size 0
		.amdhsa_private_segment_fixed_size 0
		.amdhsa_kernarg_size 320
		.amdhsa_user_sgpr_count 6
		.amdhsa_user_sgpr_private_segment_buffer 1
		.amdhsa_user_sgpr_dispatch_ptr 0
		.amdhsa_user_sgpr_queue_ptr 0
		.amdhsa_user_sgpr_kernarg_segment_ptr 1
		.amdhsa_user_sgpr_dispatch_id 0
		.amdhsa_user_sgpr_flat_scratch_init 0
		.amdhsa_user_sgpr_kernarg_preload_length 0
		.amdhsa_user_sgpr_kernarg_preload_offset 0
		.amdhsa_user_sgpr_private_segment_size 0
		.amdhsa_uses_dynamic_stack 0
		.amdhsa_system_sgpr_private_segment_wavefront_offset 0
		.amdhsa_system_sgpr_workgroup_id_x 1
		.amdhsa_system_sgpr_workgroup_id_y 0
		.amdhsa_system_sgpr_workgroup_id_z 0
		.amdhsa_system_sgpr_workgroup_info 0
		.amdhsa_system_vgpr_workitem_id 0
		.amdhsa_next_free_vgpr 43
		.amdhsa_next_free_sgpr 24
		.amdhsa_accum_offset 44
		.amdhsa_reserve_vcc 1
		.amdhsa_reserve_flat_scratch 0
		.amdhsa_float_round_mode_32 0
		.amdhsa_float_round_mode_16_64 0
		.amdhsa_float_denorm_mode_32 3
		.amdhsa_float_denorm_mode_16_64 3
		.amdhsa_dx10_clamp 1
		.amdhsa_ieee_mode 1
		.amdhsa_fp16_overflow 0
		.amdhsa_tg_split 0
		.amdhsa_exception_fp_ieee_invalid_op 0
		.amdhsa_exception_fp_denorm_src 0
		.amdhsa_exception_fp_ieee_div_zero 0
		.amdhsa_exception_fp_ieee_overflow 0
		.amdhsa_exception_fp_ieee_underflow 0
		.amdhsa_exception_fp_ieee_inexact 0
		.amdhsa_exception_int_div_zero 0
	.end_amdhsa_kernel
	.section	.text._ZN12tensorrt_llm7kernels32fusedQKNormRopeKernelNTokenHeadsIN3c108BFloat16ES3_Li128ELb0ELi4EEEvPviiifPKvS6_S6_PKlii,"axG",@progbits,_ZN12tensorrt_llm7kernels32fusedQKNormRopeKernelNTokenHeadsIN3c108BFloat16ES3_Li128ELb0ELi4EEEvPviiifPKvS6_S6_PKlii,comdat
.Lfunc_end135:
	.size	_ZN12tensorrt_llm7kernels32fusedQKNormRopeKernelNTokenHeadsIN3c108BFloat16ES3_Li128ELb0ELi4EEEvPviiifPKvS6_S6_PKlii, .Lfunc_end135-_ZN12tensorrt_llm7kernels32fusedQKNormRopeKernelNTokenHeadsIN3c108BFloat16ES3_Li128ELb0ELi4EEEvPviiifPKvS6_S6_PKlii
                                        ; -- End function
	.section	.AMDGPU.csdata,"",@progbits
; Kernel info:
; codeLenInByte = 2324
; NumSgprs: 28
; NumVgprs: 43
; NumAgprs: 0
; TotalNumVgprs: 43
; ScratchSize: 0
; MemoryBound: 0
; FloatMode: 240
; IeeeMode: 1
; LDSByteSize: 0 bytes/workgroup (compile time only)
; SGPRBlocks: 3
; VGPRBlocks: 5
; NumSGPRsForWavesPerEU: 28
; NumVGPRsForWavesPerEU: 43
; AccumOffset: 44
; Occupancy: 8
; WaveLimiterHint : 0
; COMPUTE_PGM_RSRC2:SCRATCH_EN: 0
; COMPUTE_PGM_RSRC2:USER_SGPR: 6
; COMPUTE_PGM_RSRC2:TRAP_HANDLER: 0
; COMPUTE_PGM_RSRC2:TGID_X_EN: 1
; COMPUTE_PGM_RSRC2:TGID_Y_EN: 0
; COMPUTE_PGM_RSRC2:TGID_Z_EN: 0
; COMPUTE_PGM_RSRC2:TIDIG_COMP_CNT: 0
; COMPUTE_PGM_RSRC3_GFX90A:ACCUM_OFFSET: 10
; COMPUTE_PGM_RSRC3_GFX90A:TG_SPLIT: 0
	.section	.text._ZN12tensorrt_llm7kernels32fusedQKNormRopeKernelNTokenHeadsIN3c108BFloat16ES3_Li256ELb1ELi4EEEvPviiifPKvS6_S6_PKlii,"axG",@progbits,_ZN12tensorrt_llm7kernels32fusedQKNormRopeKernelNTokenHeadsIN3c108BFloat16ES3_Li256ELb1ELi4EEEvPviiifPKvS6_S6_PKlii,comdat
	.protected	_ZN12tensorrt_llm7kernels32fusedQKNormRopeKernelNTokenHeadsIN3c108BFloat16ES3_Li256ELb1ELi4EEEvPviiifPKvS6_S6_PKlii ; -- Begin function _ZN12tensorrt_llm7kernels32fusedQKNormRopeKernelNTokenHeadsIN3c108BFloat16ES3_Li256ELb1ELi4EEEvPviiifPKvS6_S6_PKlii
	.globl	_ZN12tensorrt_llm7kernels32fusedQKNormRopeKernelNTokenHeadsIN3c108BFloat16ES3_Li256ELb1ELi4EEEvPviiifPKvS6_S6_PKlii
	.p2align	8
	.type	_ZN12tensorrt_llm7kernels32fusedQKNormRopeKernelNTokenHeadsIN3c108BFloat16ES3_Li256ELb1ELi4EEEvPviiifPKvS6_S6_PKlii,@function
_ZN12tensorrt_llm7kernels32fusedQKNormRopeKernelNTokenHeadsIN3c108BFloat16ES3_Li256ELb1ELi4EEEvPviiifPKvS6_S6_PKlii: ; @_ZN12tensorrt_llm7kernels32fusedQKNormRopeKernelNTokenHeadsIN3c108BFloat16ES3_Li256ELb1ELi4EEEvPviiifPKvS6_S6_PKlii
; %bb.0:
	s_load_dwordx4 s[12:15], s[4:5], 0x8
	s_load_dwordx2 s[2:3], s[4:5], 0x38
	s_load_dword s1, s[4:5], 0x4c
	v_lshrrev_b32_e32 v1, 5, v0
	s_waitcnt lgkmcnt(0)
	s_add_i32 s0, s13, s12
	s_add_i32 s7, s0, 3
	s_ashr_i32 s8, s7, 31
	s_lshr_b32 s8, s8, 30
	s_add_i32 s7, s7, s8
	s_ashr_i32 s20, s7, 2
	s_abs_i32 s7, s20
	v_cvt_f32_u32_e32 v2, s7
	s_bfe_u32 s1, s1, 0xb0005
	s_mul_i32 s6, s6, s1
	v_rcp_iflag_f32_e32 v3, v2
	v_add_u32_e32 v2, s6, v1
	s_sub_i32 s6, 0, s7
	v_sub_u32_e32 v4, 0, v2
	v_mul_f32_e32 v3, 0x4f7ffffe, v3
	v_cvt_u32_f32_e32 v3, v3
	v_max_i32_e32 v4, v2, v4
	v_xor_b32_e32 v5, s20, v2
	v_ashrrev_i32_e32 v5, 31, v5
	v_mul_lo_u32 v6, s6, v3
	v_mul_hi_u32 v6, v3, v6
	v_add_u32_e32 v3, v3, v6
	v_mul_hi_u32 v3, v4, v3
	v_mul_lo_u32 v6, v3, s7
	v_sub_u32_e32 v4, v4, v6
	v_add_u32_e32 v6, 1, v3
	v_cmp_le_u32_e32 vcc, s7, v4
	v_cndmask_b32_e32 v3, v3, v6, vcc
	v_subrev_u32_e32 v6, s7, v4
	v_cndmask_b32_e32 v4, v4, v6, vcc
	v_add_u32_e32 v6, 1, v3
	v_cmp_le_u32_e32 vcc, s7, v4
	v_cndmask_b32_e32 v3, v3, v6, vcc
	v_xor_b32_e32 v3, v3, v5
	v_sub_u32_e32 v8, v3, v5
	v_cmp_gt_i32_e32 vcc, s2, v8
	s_and_saveexec_b64 s[6:7], vcc
	s_cbranch_execz .LBB136_44
; %bb.1:
	v_mul_lo_u32 v3, v8, s20
	v_sub_u32_e32 v3, v2, v3
	s_load_dwordx2 s[16:17], s[4:5], 0x0
	v_lshlrev_b32_e32 v18, 2, v3
	v_add_u32_e32 v3, 4, v18
	v_sub_u32_e32 v4, s0, v18
	v_cmp_lt_i32_e32 vcc, s0, v3
	v_and_b32_e32 v10, 31, v0
	v_cndmask_b32_e32 v19, 4, v4, vcc
	s_lshl_b32 s18, s3, 1
	s_mul_i32 s2, s18, s1
	v_lshlrev_b32_e32 v13, 11, v1
	v_cmp_lt_i32_e64 s[0:1], 0, v19
	v_lshlrev_b32_e32 v12, 4, v10
	v_lshlrev_b32_e32 v11, 10, v2
	s_and_saveexec_b64 s[6:7], s[0:1]
	s_cbranch_execz .LBB136_4
; %bb.2:
	s_add_i32 s8, s2, 0
	v_add3_u32 v4, s8, v13, v12
	s_add_i32 s8, s14, s13
	s_add_i32 s8, s8, s12
	s_lshl_b32 s9, s20, 2
	s_sub_i32 s8, s8, s9
	v_mul_lo_u32 v2, s8, v8
	v_lshl_add_u32 v2, v2, 8, v11
	s_mov_b32 s10, 0
	v_lshl_or_b32 v2, v10, 3, v2
	s_mov_b64 s[8:9], 0
	s_waitcnt lgkmcnt(0)
	v_mov_b32_e32 v5, s17
.LBB136_3:                              ; =>This Inner Loop Header: Depth=1
	v_ashrrev_i32_e32 v3, 31, v2
	v_lshlrev_b64 v[6:7], 1, v[2:3]
	v_add_co_u32_e32 v6, vcc, s16, v6
	v_addc_co_u32_e32 v7, vcc, v5, v7, vcc
	global_load_dwordx4 v[14:17], v[6:7], off
	s_add_i32 s10, s10, 1
	v_cmp_ge_i32_e32 vcc, s10, v19
	v_add_u32_e32 v2, 0x100, v2
	s_or_b64 s[8:9], vcc, s[8:9]
	s_waitcnt vmcnt(0)
	ds_write_b128 v4, v[14:17]
	v_add_u32_e32 v4, 0x200, v4
	s_andn2_b64 exec, exec, s[8:9]
	s_cbranch_execnz .LBB136_3
.LBB136_4:
	s_or_b64 exec, exec, s[6:7]
	s_add_i32 s18, s18, 15
	s_load_dwordx8 s[4:11], s[4:5], 0x18
	s_ashr_i32 s19, s18, 31
	s_lshr_b32 s19, s19, 28
	s_add_i32 s18, s18, s19
	s_ashr_i32 s21, s18, 4
	v_mul_lo_u32 v1, v1, s3
	v_cmp_gt_i32_e32 vcc, s21, v10
	v_lshlrev_b32_e32 v14, 1, v1
	s_and_saveexec_b64 s[18:19], vcc
	s_cbranch_execz .LBB136_7
; %bb.5:
	v_ashrrev_i32_e32 v9, 31, v8
	v_lshlrev_b64 v[2:3], 3, v[8:9]
	s_waitcnt lgkmcnt(0)
	v_mov_b32_e32 v1, s11
	v_add_co_u32_e32 v2, vcc, s10, v2
	v_addc_co_u32_e32 v3, vcc, v1, v3, vcc
	global_load_dwordx2 v[4:5], v[2:3], off
	s_ashr_i32 s22, s3, 31
	v_and_b32_e32 v0, 31, v0
	v_lshlrev_b32_e32 v6, 4, v0
	v_mov_b32_e32 v3, s9
	v_add3_u32 v2, v14, v12, 0
	s_mov_b64 s[10:11], 0
	s_waitcnt vmcnt(0)
	v_mul_lo_u32 v5, v5, s3
	v_mul_lo_u32 v7, v4, s22
	v_mad_u64_u32 v[0:1], s[22:23], v4, s3, 0
	v_add3_u32 v1, v1, v7, v5
	v_lshlrev_b64 v[0:1], 1, v[0:1]
	v_add_co_u32_e32 v0, vcc, v0, v6
	v_addc_co_u32_e32 v1, vcc, 0, v1, vcc
	v_add_co_u32_e32 v0, vcc, s8, v0
	v_addc_co_u32_e32 v1, vcc, v3, v1, vcc
	v_mov_b32_e32 v3, v10
.LBB136_6:                              ; =>This Inner Loop Header: Depth=1
	global_load_dwordx4 v[4:7], v[0:1], off
	v_add_co_u32_e32 v0, vcc, 0x200, v0
	v_add_u32_e32 v3, 32, v3
	v_addc_co_u32_e32 v1, vcc, 0, v1, vcc
	v_cmp_le_i32_e32 vcc, s21, v3
	s_or_b64 s[10:11], vcc, s[10:11]
	s_waitcnt vmcnt(0)
	ds_write_b128 v2, v[4:7]
	v_add_u32_e32 v2, 0x200, v2
	s_andn2_b64 exec, exec, s[10:11]
	s_cbranch_execnz .LBB136_6
.LBB136_7:
	s_or_b64 exec, exec, s[18:19]
	s_and_b64 exec, exec, s[0:1]
	s_cbranch_execz .LBB136_44
; %bb.8:
	s_waitcnt lgkmcnt(0)
	global_load_dwordx4 v[0:3], v12, s[4:5]
	global_load_dwordx4 v[4:7], v12, s[6:7]
	v_mbcnt_lo_u32_b32 v15, -1, 0
	v_add_u32_e32 v13, s2, v13
	v_mbcnt_hi_u32_b32 v15, -1, v15
	v_add3_u32 v22, v13, v12, 0
	v_and_b32_e32 v12, 0x60, v15
	v_lshlrev_b32_e32 v9, 3, v10
	v_xor_b32_e32 v13, 16, v15
	v_add_u32_e32 v12, 32, v12
	v_add3_u32 v21, 0, v14, v9
	v_xor_b32_e32 v14, 8, v15
	v_cmp_lt_i32_e32 vcc, v13, v12
	s_add_i32 s11, s14, s13
	v_xor_b32_e32 v16, 4, v15
	v_cndmask_b32_e32 v13, v15, v13, vcc
	v_cmp_lt_i32_e32 vcc, v14, v12
	s_ashr_i32 s1, s3, 31
	s_lshl_b32 s13, s20, 2
	s_add_i32 s11, s11, s12
	v_xor_b32_e32 v17, 2, v15
	v_cndmask_b32_e32 v14, v15, v14, vcc
	v_cmp_lt_i32_e32 vcc, v16, v12
	s_lshr_b32 s0, s3, 31
	s_lshr_b32 s1, s1, 29
	v_xor_b32_e32 v24, 1, v15
	s_sub_i32 s2, s11, s13
	v_cndmask_b32_e32 v16, v15, v16, vcc
	v_cmp_lt_i32_e32 vcc, v17, v12
	s_add_i32 s0, s3, s0
	s_add_i32 s1, s3, s1
	v_mul_lo_u32 v8, s2, v8
	v_cndmask_b32_e32 v17, v15, v17, vcc
	v_cmp_lt_i32_e32 vcc, v24, v12
	s_and_b32 s0, s0, -2
	s_ashr_i32 s1, s1, 3
	v_cndmask_b32_e32 v12, v15, v24, vcc
	v_lshl_add_u32 v8, v8, 8, v11
	s_mov_b32 s6, 0
	s_mov_b64 s[4:5], 0
	v_mov_b32_e32 v20, s15
	s_mov_b32 s7, 0x800000
	s_mov_b32 s8, 0x7f800000
	s_movk_i32 s9, 0x7fff
	s_mov_b32 s10, 0x7060302
	v_add_u32_e32 v23, s0, v21
	v_cmp_gt_i32_e32 vcc, s1, v10
	v_lshlrev_b32_e32 v24, 2, v13
	v_lshlrev_b32_e32 v25, 2, v14
	;; [unrolled: 1-line block ×5, first 2 shown]
	v_or_b32_e32 v8, v8, v9
	v_mov_b32_e32 v37, 0
	s_waitcnt vmcnt(1)
	v_lshrrev_b32_e32 v29, 16, v0
	s_waitcnt vmcnt(0)
	v_lshrrev_b32_e32 v30, 16, v4
	v_lshrrev_b32_e32 v31, 16, v1
	;; [unrolled: 1-line block ×7, first 2 shown]
	s_branch .LBB136_10
.LBB136_9:                              ;   in Loop: Header=BB136_10 Depth=1
	s_or_b64 exec, exec, s[2:3]
	v_ashrrev_i32_e32 v9, 31, v8
	v_lshlrev_b64 v[40:41], 1, v[8:9]
	v_mov_b32_e32 v9, s17
	v_add_co_u32_e64 v40, s[0:1], s16, v40
	v_addc_co_u32_e64 v41, s[0:1], v9, v41, s[0:1]
	s_add_i32 s6, s6, 1
	v_cmp_ge_i32_e64 s[0:1], s6, v19
	v_perm_b32 v13, v10, v13, s10
	v_perm_b32 v12, v12, v15, s10
	;; [unrolled: 1-line block ×4, first 2 shown]
	v_add_u32_e32 v8, 0x100, v8
	s_or_b64 s[4:5], s[0:1], s[4:5]
	v_add_u32_e32 v22, 0x200, v22
	global_store_dwordx4 v[40:41], v[10:13], off
	s_andn2_b64 exec, exec, s[4:5]
	s_cbranch_execz .LBB136_44
.LBB136_10:                             ; =>This Inner Loop Header: Depth=1
	ds_read_b128 v[10:13], v22
	s_waitcnt lgkmcnt(0)
	v_and_b32_e32 v15, 0xffff0000, v10
	v_lshlrev_b32_e32 v14, 16, v10
	v_pk_mul_f32 v[40:41], v[14:15], v[14:15]
	v_and_b32_e32 v43, 0xffff0000, v11
	v_lshlrev_b32_e32 v42, 16, v11
	v_pk_mul_f32 v[10:11], v[42:43], v[42:43]
	v_add_f32_e32 v9, v40, v41
	v_and_b32_e32 v39, 0xffff0000, v13
	v_lshlrev_b32_e32 v38, 16, v13
	v_and_b32_e32 v13, 0xffff0000, v12
	v_lshlrev_b32_e32 v12, 16, v12
	v_add_f32_e32 v9, v9, v10
	v_pk_mul_f32 v[44:45], v[12:13], v[12:13]
	v_add_f32_e32 v9, v9, v11
	v_add_f32_e32 v9, v9, v44
	v_pk_mul_f32 v[16:17], v[38:39], v[38:39]
	v_add_f32_e32 v9, v9, v45
	v_add_f32_e32 v9, v9, v16
	;; [unrolled: 1-line block ×3, first 2 shown]
	ds_bpermute_b32 v10, v24, v9
	v_mov_b32_e32 v16, v20
	v_add_u32_e32 v11, s6, v18
	v_cmp_gt_i32_e64 s[0:1], s12, v11
	v_cndmask_b32_e64 v11, v30, v29, s[0:1]
	s_waitcnt lgkmcnt(0)
	v_add_f32_e32 v9, v9, v10
	ds_bpermute_b32 v10, v25, v9
	v_cndmask_b32_e64 v17, v4, v0, s[0:1]
	v_lshlrev_b32_e32 v11, 16, v11
	v_cndmask_b32_e64 v40, v32, v31, s[0:1]
	v_cndmask_b32_e64 v41, v5, v1, s[0:1]
	s_waitcnt lgkmcnt(0)
	v_add_f32_e32 v9, v9, v10
	ds_bpermute_b32 v10, v26, v9
	v_cndmask_b32_e64 v45, v34, v33, s[0:1]
	v_cndmask_b32_e64 v46, v6, v2, s[0:1]
	s_waitcnt lgkmcnt(0)
	v_add_f32_e32 v9, v9, v10
	ds_bpermute_b32 v10, v27, v9
	s_waitcnt lgkmcnt(0)
	v_add_f32_e32 v9, v9, v10
	ds_bpermute_b32 v44, v28, v9
	v_lshlrev_b32_e32 v10, 16, v17
	v_lshlrev_b32_e32 v17, 16, v40
	;; [unrolled: 1-line block ×3, first 2 shown]
	s_waitcnt lgkmcnt(0)
	v_add_f32_e32 v9, v9, v44
	v_fmac_f32_e32 v16, 0x3b800000, v9
	v_mul_f32_e32 v9, 0x4b800000, v16
	v_cmp_gt_f32_e64 s[2:3], s7, v16
	v_cndmask_b32_e64 v9, v16, v9, s[2:3]
	v_rsq_f32_e32 v9, v9
	v_lshlrev_b32_e32 v16, 16, v41
	v_lshlrev_b32_e32 v41, 16, v45
	v_mul_f32_e32 v44, 0x45800000, v9
	v_cndmask_b32_e64 v44, v9, v44, s[2:3]
	v_pk_mul_f32 v[10:11], v[44:45], v[10:11] op_sel_hi:[0,1]
	v_pk_mul_f32 v[46:47], v[44:45], v[16:17] op_sel_hi:[0,1]
	v_pk_mul_f32 v[16:17], v[10:11], v[14:15]
	v_pk_mul_f32 v[10:11], v[44:45], v[40:41] op_sel_hi:[0,1]
	v_pk_mul_f32 v[12:13], v[10:11], v[12:13]
	v_cndmask_b32_e64 v9, v36, v35, s[0:1]
	v_cndmask_b32_e64 v10, v7, v3, s[0:1]
	v_lshlrev_b32_e32 v11, 16, v9
	v_lshlrev_b32_e32 v10, 16, v10
	v_pk_mul_f32 v[10:11], v[44:45], v[10:11] op_sel_hi:[0,1]
	v_pk_mul_f32 v[14:15], v[46:47], v[42:43]
	v_pk_mul_f32 v[10:11], v[10:11], v[38:39]
	s_and_saveexec_b64 s[0:1], vcc
	s_cbranch_execz .LBB136_12
; %bb.11:                               ;   in Loop: Header=BB136_10 Depth=1
	ds_read_b64 v[38:39], v21
	ds_read_b64 v[40:41], v23
	s_waitcnt lgkmcnt(1)
	v_lshlrev_b32_e32 v42, 16, v38
	s_waitcnt lgkmcnt(0)
	v_lshlrev_b32_e32 v44, 16, v40
	v_pk_mul_f32 v[44:45], v[16:17], v[44:45] op_sel_hi:[1,0]
	v_pk_mul_f32 v[46:47], v[16:17], v[42:43] op_sel_hi:[1,0]
	v_pk_fma_f32 v[16:17], v[16:17], v[42:43], v[44:45] op_sel:[0,0,1] op_sel_hi:[1,0,0]
	v_and_b32_e32 v16, 0xffff0000, v40
	v_and_b32_e32 v38, 0xffff0000, v38
	v_pk_mul_f32 v[42:43], v[14:15], v[16:17] op_sel_hi:[1,0]
	v_pk_fma_f32 v[48:49], v[14:15], v[38:39], v[42:43] op_sel:[0,0,1] op_sel_hi:[1,0,0] neg_lo:[0,0,1] neg_hi:[0,0,1]
	v_pk_fma_f32 v[14:15], v[14:15], v[38:39], v[42:43] op_sel:[0,0,1] op_sel_hi:[1,0,0]
	v_lshlrev_b32_e32 v16, 16, v41
	v_lshlrev_b32_e32 v14, 16, v39
	v_pk_mul_f32 v[42:43], v[12:13], v[16:17] op_sel_hi:[1,0]
	v_pk_fma_f32 v[50:51], v[12:13], v[14:15], v[42:43] op_sel:[0,0,1] op_sel_hi:[1,0,0] neg_lo:[0,0,1] neg_hi:[0,0,1]
	v_pk_fma_f32 v[12:13], v[12:13], v[14:15], v[42:43] op_sel:[0,0,1] op_sel_hi:[1,0,0]
	v_and_b32_e32 v39, 0xffff0000, v39
	v_and_b32_e32 v38, 0xffff0000, v41
	v_mov_b32_e32 v14, v11
	v_mov_b32_e32 v12, v39
	v_pk_mul_f32 v[40:41], v[14:15], v[38:39]
	v_pk_mul_f32 v[42:43], v[10:11], v[38:39]
	v_pk_fma_f32 v[40:41], v[10:11], v[12:13], v[40:41] op_sel_hi:[1,0,1] neg_lo:[0,0,1] neg_hi:[0,0,1]
	v_mov_b32_e32 v12, v43
	v_pk_fma_f32 v[38:39], v[10:11], v[38:39], v[12:13]
	v_sub_f32_e32 v16, v46, v45
	v_mov_b32_e32 v14, v48
	v_mov_b32_e32 v12, v50
	;; [unrolled: 1-line block ×4, first 2 shown]
.LBB136_12:                             ;   in Loop: Header=BB136_10 Depth=1
	s_or_b64 exec, exec, s[0:1]
	v_and_b32_e32 v9, 0x7f800000, v16
	v_cmp_ne_u32_e64 s[0:1], s8, v9
                                        ; implicit-def: $vgpr38
	s_and_saveexec_b64 s[2:3], s[0:1]
	s_xor_b64 s[0:1], exec, s[2:3]
; %bb.13:                               ;   in Loop: Header=BB136_10 Depth=1
	v_bfe_u32 v9, v16, 16, 1
	v_add3_u32 v38, v16, v9, s9
; %bb.14:                               ;   in Loop: Header=BB136_10 Depth=1
	s_andn2_saveexec_b64 s[2:3], s[0:1]
; %bb.15:                               ;   in Loop: Header=BB136_10 Depth=1
	v_or_b32_e32 v9, 0x10000, v16
	v_cmp_eq_u32_sdwa s[0:1], v16, v37 src0_sel:WORD_0 src1_sel:DWORD
	v_cndmask_b32_e64 v38, v9, v16, s[0:1]
; %bb.16:                               ;   in Loop: Header=BB136_10 Depth=1
	s_or_b64 exec, exec, s[2:3]
	v_and_b32_e32 v9, 0x7f800000, v17
	v_cmp_ne_u32_e64 s[0:1], s8, v9
                                        ; implicit-def: $vgpr16
	s_and_saveexec_b64 s[2:3], s[0:1]
	s_xor_b64 s[0:1], exec, s[2:3]
; %bb.17:                               ;   in Loop: Header=BB136_10 Depth=1
	v_bfe_u32 v9, v17, 16, 1
	v_add3_u32 v16, v17, v9, s9
                                        ; implicit-def: $vgpr17
; %bb.18:                               ;   in Loop: Header=BB136_10 Depth=1
	s_andn2_saveexec_b64 s[2:3], s[0:1]
; %bb.19:                               ;   in Loop: Header=BB136_10 Depth=1
	v_or_b32_e32 v9, 0x10000, v17
	v_cmp_eq_u32_sdwa s[0:1], v17, v37 src0_sel:WORD_0 src1_sel:DWORD
	v_cndmask_b32_e64 v16, v9, v17, s[0:1]
; %bb.20:                               ;   in Loop: Header=BB136_10 Depth=1
	s_or_b64 exec, exec, s[2:3]
	v_and_b32_e32 v9, 0x7f800000, v14
	v_cmp_ne_u32_e64 s[0:1], s8, v9
                                        ; implicit-def: $vgpr17
	s_and_saveexec_b64 s[2:3], s[0:1]
	s_xor_b64 s[0:1], exec, s[2:3]
; %bb.21:                               ;   in Loop: Header=BB136_10 Depth=1
	v_bfe_u32 v9, v14, 16, 1
	v_add3_u32 v17, v14, v9, s9
; %bb.22:                               ;   in Loop: Header=BB136_10 Depth=1
	s_andn2_saveexec_b64 s[2:3], s[0:1]
; %bb.23:                               ;   in Loop: Header=BB136_10 Depth=1
	v_or_b32_e32 v9, 0x10000, v14
	v_cmp_eq_u32_sdwa s[0:1], v14, v37 src0_sel:WORD_0 src1_sel:DWORD
	v_cndmask_b32_e64 v17, v9, v14, s[0:1]
; %bb.24:                               ;   in Loop: Header=BB136_10 Depth=1
	s_or_b64 exec, exec, s[2:3]
	v_and_b32_e32 v9, 0x7f800000, v15
	v_cmp_ne_u32_e64 s[0:1], s8, v9
                                        ; implicit-def: $vgpr14
	s_and_saveexec_b64 s[2:3], s[0:1]
	s_xor_b64 s[0:1], exec, s[2:3]
; %bb.25:                               ;   in Loop: Header=BB136_10 Depth=1
	v_bfe_u32 v9, v15, 16, 1
	v_add3_u32 v14, v15, v9, s9
                                        ; implicit-def: $vgpr15
; %bb.26:                               ;   in Loop: Header=BB136_10 Depth=1
	s_andn2_saveexec_b64 s[2:3], s[0:1]
; %bb.27:                               ;   in Loop: Header=BB136_10 Depth=1
	v_or_b32_e32 v9, 0x10000, v15
	v_cmp_eq_u32_sdwa s[0:1], v15, v37 src0_sel:WORD_0 src1_sel:DWORD
	v_cndmask_b32_e64 v14, v9, v15, s[0:1]
; %bb.28:                               ;   in Loop: Header=BB136_10 Depth=1
	s_or_b64 exec, exec, s[2:3]
	v_and_b32_e32 v9, 0x7f800000, v12
	v_cmp_ne_u32_e64 s[0:1], s8, v9
                                        ; implicit-def: $vgpr15
	s_and_saveexec_b64 s[2:3], s[0:1]
	s_xor_b64 s[0:1], exec, s[2:3]
; %bb.29:                               ;   in Loop: Header=BB136_10 Depth=1
	v_bfe_u32 v9, v12, 16, 1
	v_add3_u32 v15, v12, v9, s9
; %bb.30:                               ;   in Loop: Header=BB136_10 Depth=1
	s_andn2_saveexec_b64 s[2:3], s[0:1]
; %bb.31:                               ;   in Loop: Header=BB136_10 Depth=1
	v_or_b32_e32 v9, 0x10000, v12
	v_cmp_eq_u32_sdwa s[0:1], v12, v37 src0_sel:WORD_0 src1_sel:DWORD
	v_cndmask_b32_e64 v15, v9, v12, s[0:1]
; %bb.32:                               ;   in Loop: Header=BB136_10 Depth=1
	s_or_b64 exec, exec, s[2:3]
	v_and_b32_e32 v9, 0x7f800000, v13
	v_cmp_ne_u32_e64 s[0:1], s8, v9
                                        ; implicit-def: $vgpr12
	s_and_saveexec_b64 s[2:3], s[0:1]
	s_xor_b64 s[0:1], exec, s[2:3]
; %bb.33:                               ;   in Loop: Header=BB136_10 Depth=1
	v_bfe_u32 v9, v13, 16, 1
	v_add3_u32 v12, v13, v9, s9
                                        ; implicit-def: $vgpr13
; %bb.34:                               ;   in Loop: Header=BB136_10 Depth=1
	s_andn2_saveexec_b64 s[2:3], s[0:1]
; %bb.35:                               ;   in Loop: Header=BB136_10 Depth=1
	v_or_b32_e32 v9, 0x10000, v13
	v_cmp_eq_u32_sdwa s[0:1], v13, v37 src0_sel:WORD_0 src1_sel:DWORD
	v_cndmask_b32_e64 v12, v9, v13, s[0:1]
; %bb.36:                               ;   in Loop: Header=BB136_10 Depth=1
	s_or_b64 exec, exec, s[2:3]
	v_and_b32_e32 v9, 0x7f800000, v10
	v_cmp_ne_u32_e64 s[0:1], s8, v9
                                        ; implicit-def: $vgpr13
	s_and_saveexec_b64 s[2:3], s[0:1]
	s_xor_b64 s[0:1], exec, s[2:3]
; %bb.37:                               ;   in Loop: Header=BB136_10 Depth=1
	v_bfe_u32 v9, v10, 16, 1
	v_add3_u32 v13, v10, v9, s9
; %bb.38:                               ;   in Loop: Header=BB136_10 Depth=1
	s_andn2_saveexec_b64 s[2:3], s[0:1]
; %bb.39:                               ;   in Loop: Header=BB136_10 Depth=1
	v_or_b32_e32 v9, 0x10000, v10
	v_cmp_eq_u32_sdwa s[0:1], v10, v37 src0_sel:WORD_0 src1_sel:DWORD
	v_cndmask_b32_e64 v13, v9, v10, s[0:1]
; %bb.40:                               ;   in Loop: Header=BB136_10 Depth=1
	s_or_b64 exec, exec, s[2:3]
	v_and_b32_e32 v9, 0x7f800000, v11
	v_cmp_ne_u32_e64 s[0:1], s8, v9
                                        ; implicit-def: $vgpr10
	s_and_saveexec_b64 s[2:3], s[0:1]
	s_xor_b64 s[0:1], exec, s[2:3]
; %bb.41:                               ;   in Loop: Header=BB136_10 Depth=1
	v_bfe_u32 v9, v11, 16, 1
	v_add3_u32 v10, v11, v9, s9
                                        ; implicit-def: $vgpr11
; %bb.42:                               ;   in Loop: Header=BB136_10 Depth=1
	s_andn2_saveexec_b64 s[2:3], s[0:1]
	s_cbranch_execz .LBB136_9
; %bb.43:                               ;   in Loop: Header=BB136_10 Depth=1
	v_or_b32_e32 v9, 0x10000, v11
	v_cmp_eq_u32_sdwa s[0:1], v11, v37 src0_sel:WORD_0 src1_sel:DWORD
	v_cndmask_b32_e64 v10, v9, v11, s[0:1]
	s_branch .LBB136_9
.LBB136_44:
	s_endpgm
	.section	.rodata,"a",@progbits
	.p2align	6, 0x0
	.amdhsa_kernel _ZN12tensorrt_llm7kernels32fusedQKNormRopeKernelNTokenHeadsIN3c108BFloat16ES3_Li256ELb1ELi4EEEvPviiifPKvS6_S6_PKlii
		.amdhsa_group_segment_fixed_size 0
		.amdhsa_private_segment_fixed_size 0
		.amdhsa_kernarg_size 320
		.amdhsa_user_sgpr_count 6
		.amdhsa_user_sgpr_private_segment_buffer 1
		.amdhsa_user_sgpr_dispatch_ptr 0
		.amdhsa_user_sgpr_queue_ptr 0
		.amdhsa_user_sgpr_kernarg_segment_ptr 1
		.amdhsa_user_sgpr_dispatch_id 0
		.amdhsa_user_sgpr_flat_scratch_init 0
		.amdhsa_user_sgpr_kernarg_preload_length 0
		.amdhsa_user_sgpr_kernarg_preload_offset 0
		.amdhsa_user_sgpr_private_segment_size 0
		.amdhsa_uses_dynamic_stack 0
		.amdhsa_system_sgpr_private_segment_wavefront_offset 0
		.amdhsa_system_sgpr_workgroup_id_x 1
		.amdhsa_system_sgpr_workgroup_id_y 0
		.amdhsa_system_sgpr_workgroup_id_z 0
		.amdhsa_system_sgpr_workgroup_info 0
		.amdhsa_system_vgpr_workitem_id 0
		.amdhsa_next_free_vgpr 52
		.amdhsa_next_free_sgpr 24
		.amdhsa_accum_offset 52
		.amdhsa_reserve_vcc 1
		.amdhsa_reserve_flat_scratch 0
		.amdhsa_float_round_mode_32 0
		.amdhsa_float_round_mode_16_64 0
		.amdhsa_float_denorm_mode_32 3
		.amdhsa_float_denorm_mode_16_64 3
		.amdhsa_dx10_clamp 1
		.amdhsa_ieee_mode 1
		.amdhsa_fp16_overflow 0
		.amdhsa_tg_split 0
		.amdhsa_exception_fp_ieee_invalid_op 0
		.amdhsa_exception_fp_denorm_src 0
		.amdhsa_exception_fp_ieee_div_zero 0
		.amdhsa_exception_fp_ieee_overflow 0
		.amdhsa_exception_fp_ieee_underflow 0
		.amdhsa_exception_fp_ieee_inexact 0
		.amdhsa_exception_int_div_zero 0
	.end_amdhsa_kernel
	.section	.text._ZN12tensorrt_llm7kernels32fusedQKNormRopeKernelNTokenHeadsIN3c108BFloat16ES3_Li256ELb1ELi4EEEvPviiifPKvS6_S6_PKlii,"axG",@progbits,_ZN12tensorrt_llm7kernels32fusedQKNormRopeKernelNTokenHeadsIN3c108BFloat16ES3_Li256ELb1ELi4EEEvPviiifPKvS6_S6_PKlii,comdat
.Lfunc_end136:
	.size	_ZN12tensorrt_llm7kernels32fusedQKNormRopeKernelNTokenHeadsIN3c108BFloat16ES3_Li256ELb1ELi4EEEvPviiifPKvS6_S6_PKlii, .Lfunc_end136-_ZN12tensorrt_llm7kernels32fusedQKNormRopeKernelNTokenHeadsIN3c108BFloat16ES3_Li256ELb1ELi4EEEvPviiifPKvS6_S6_PKlii
                                        ; -- End function
	.section	.AMDGPU.csdata,"",@progbits
; Kernel info:
; codeLenInByte = 2348
; NumSgprs: 28
; NumVgprs: 52
; NumAgprs: 0
; TotalNumVgprs: 52
; ScratchSize: 0
; MemoryBound: 0
; FloatMode: 240
; IeeeMode: 1
; LDSByteSize: 0 bytes/workgroup (compile time only)
; SGPRBlocks: 3
; VGPRBlocks: 6
; NumSGPRsForWavesPerEU: 28
; NumVGPRsForWavesPerEU: 52
; AccumOffset: 52
; Occupancy: 8
; WaveLimiterHint : 0
; COMPUTE_PGM_RSRC2:SCRATCH_EN: 0
; COMPUTE_PGM_RSRC2:USER_SGPR: 6
; COMPUTE_PGM_RSRC2:TRAP_HANDLER: 0
; COMPUTE_PGM_RSRC2:TGID_X_EN: 1
; COMPUTE_PGM_RSRC2:TGID_Y_EN: 0
; COMPUTE_PGM_RSRC2:TGID_Z_EN: 0
; COMPUTE_PGM_RSRC2:TIDIG_COMP_CNT: 0
; COMPUTE_PGM_RSRC3_GFX90A:ACCUM_OFFSET: 12
; COMPUTE_PGM_RSRC3_GFX90A:TG_SPLIT: 0
	.section	.text._ZN12tensorrt_llm7kernels32fusedQKNormRopeKernelNTokenHeadsIN3c108BFloat16ES3_Li256ELb0ELi4EEEvPviiifPKvS6_S6_PKlii,"axG",@progbits,_ZN12tensorrt_llm7kernels32fusedQKNormRopeKernelNTokenHeadsIN3c108BFloat16ES3_Li256ELb0ELi4EEEvPviiifPKvS6_S6_PKlii,comdat
	.protected	_ZN12tensorrt_llm7kernels32fusedQKNormRopeKernelNTokenHeadsIN3c108BFloat16ES3_Li256ELb0ELi4EEEvPviiifPKvS6_S6_PKlii ; -- Begin function _ZN12tensorrt_llm7kernels32fusedQKNormRopeKernelNTokenHeadsIN3c108BFloat16ES3_Li256ELb0ELi4EEEvPviiifPKvS6_S6_PKlii
	.globl	_ZN12tensorrt_llm7kernels32fusedQKNormRopeKernelNTokenHeadsIN3c108BFloat16ES3_Li256ELb0ELi4EEEvPviiifPKvS6_S6_PKlii
	.p2align	8
	.type	_ZN12tensorrt_llm7kernels32fusedQKNormRopeKernelNTokenHeadsIN3c108BFloat16ES3_Li256ELb0ELi4EEEvPviiifPKvS6_S6_PKlii,@function
_ZN12tensorrt_llm7kernels32fusedQKNormRopeKernelNTokenHeadsIN3c108BFloat16ES3_Li256ELb0ELi4EEEvPviiifPKvS6_S6_PKlii: ; @_ZN12tensorrt_llm7kernels32fusedQKNormRopeKernelNTokenHeadsIN3c108BFloat16ES3_Li256ELb0ELi4EEEvPviiifPKvS6_S6_PKlii
; %bb.0:
	s_load_dwordx4 s[12:15], s[4:5], 0x8
	s_load_dwordx2 s[2:3], s[4:5], 0x38
	s_load_dword s1, s[4:5], 0x4c
	v_lshrrev_b32_e32 v1, 5, v0
	s_waitcnt lgkmcnt(0)
	s_add_i32 s0, s13, s12
	s_add_i32 s7, s0, 3
	s_ashr_i32 s8, s7, 31
	s_lshr_b32 s8, s8, 30
	s_add_i32 s7, s7, s8
	s_ashr_i32 s20, s7, 2
	s_abs_i32 s7, s20
	v_cvt_f32_u32_e32 v2, s7
	s_bfe_u32 s1, s1, 0xb0005
	s_mul_i32 s6, s6, s1
	v_add_u32_e32 v3, s6, v1
	v_rcp_iflag_f32_e32 v2, v2
	s_sub_i32 s6, 0, s7
	v_sub_u32_e32 v4, 0, v3
	v_max_i32_e32 v4, v3, v4
	v_mul_f32_e32 v2, 0x4f7ffffe, v2
	v_cvt_u32_f32_e32 v2, v2
	v_xor_b32_e32 v5, s20, v3
	v_ashrrev_i32_e32 v5, 31, v5
	v_mul_lo_u32 v6, s6, v2
	v_mul_hi_u32 v6, v2, v6
	v_add_u32_e32 v2, v2, v6
	v_mul_hi_u32 v2, v4, v2
	v_mul_lo_u32 v6, v2, s7
	v_sub_u32_e32 v4, v4, v6
	v_add_u32_e32 v6, 1, v2
	v_cmp_le_u32_e32 vcc, s7, v4
	v_cndmask_b32_e32 v2, v2, v6, vcc
	v_subrev_u32_e32 v6, s7, v4
	v_cndmask_b32_e32 v4, v4, v6, vcc
	v_add_u32_e32 v6, 1, v2
	v_cmp_le_u32_e32 vcc, s7, v4
	v_cndmask_b32_e32 v2, v2, v6, vcc
	v_xor_b32_e32 v2, v2, v5
	v_sub_u32_e32 v2, v2, v5
	v_cmp_gt_i32_e32 vcc, s2, v2
	s_and_saveexec_b64 s[6:7], vcc
	s_cbranch_execz .LBB137_44
; %bb.1:
	v_mul_lo_u32 v4, v2, s20
	v_sub_u32_e32 v4, v3, v4
	s_load_dwordx2 s[16:17], s[4:5], 0x0
	v_lshlrev_b32_e32 v18, 2, v4
	v_add_u32_e32 v4, 4, v18
	v_sub_u32_e32 v5, s0, v18
	v_cmp_lt_i32_e32 vcc, s0, v4
	v_and_b32_e32 v6, 31, v0
	v_cndmask_b32_e32 v19, 4, v5, vcc
	s_lshl_b32 s2, s3, 1
	s_mul_i32 s21, s2, s1
	v_lshlrev_b32_e32 v7, 11, v1
	v_cmp_lt_i32_e64 s[0:1], 0, v19
	v_lshlrev_b32_e32 v17, 4, v6
	v_lshlrev_b32_e32 v16, 10, v3
	s_and_saveexec_b64 s[6:7], s[0:1]
	s_cbranch_execz .LBB137_4
; %bb.2:
	s_add_i32 s8, s21, 0
	v_add3_u32 v3, s8, v7, v17
	s_add_i32 s8, s14, s13
	s_add_i32 s8, s8, s12
	s_lshl_b32 s9, s20, 2
	s_sub_i32 s8, s8, s9
	v_mul_lo_u32 v4, s8, v2
	v_lshl_add_u32 v4, v4, 8, v16
	s_mov_b32 s10, 0
	v_lshl_or_b32 v4, v6, 3, v4
	s_mov_b64 s[8:9], 0
	s_waitcnt lgkmcnt(0)
	v_mov_b32_e32 v8, s17
.LBB137_3:                              ; =>This Inner Loop Header: Depth=1
	v_ashrrev_i32_e32 v5, 31, v4
	v_lshlrev_b64 v[10:11], 1, v[4:5]
	v_add_co_u32_e32 v10, vcc, s16, v10
	v_addc_co_u32_e32 v11, vcc, v8, v11, vcc
	global_load_dwordx4 v[10:13], v[10:11], off
	s_add_i32 s10, s10, 1
	v_cmp_ge_i32_e32 vcc, s10, v19
	v_add_u32_e32 v4, 0x100, v4
	s_or_b64 s[8:9], vcc, s[8:9]
	s_waitcnt vmcnt(0)
	ds_write_b128 v3, v[10:13]
	v_add_u32_e32 v3, 0x200, v3
	s_andn2_b64 exec, exec, s[8:9]
	s_cbranch_execnz .LBB137_3
.LBB137_4:
	s_or_b64 exec, exec, s[6:7]
	s_add_i32 s2, s2, 15
	s_load_dwordx8 s[4:11], s[4:5], 0x18
	s_ashr_i32 s18, s2, 31
	s_lshr_b32 s18, s18, 28
	s_add_i32 s2, s2, s18
	s_ashr_i32 s2, s2, 4
	v_cmp_gt_i32_e32 vcc, s2, v6
	v_mul_lo_u32 v4, v1, s3
	s_and_saveexec_b64 s[18:19], vcc
	s_cbranch_execz .LBB137_7
; %bb.5:
	v_ashrrev_i32_e32 v3, 31, v2
	v_lshlrev_b64 v[8:9], 3, v[2:3]
	s_waitcnt lgkmcnt(0)
	v_mov_b32_e32 v1, s11
	v_add_co_u32_e32 v8, vcc, s10, v8
	v_addc_co_u32_e32 v9, vcc, v1, v9, vcc
	global_load_dwordx2 v[8:9], v[8:9], off
	s_ashr_i32 s22, s3, 31
	v_lshlrev_b32_e32 v1, 1, v4
	v_and_b32_e32 v0, 31, v0
	v_add3_u32 v3, v1, v17, 0
	v_lshlrev_b32_e32 v10, 4, v0
	v_mov_b32_e32 v5, s9
	s_mov_b64 s[10:11], 0
	s_waitcnt vmcnt(0)
	v_mul_lo_u32 v9, v9, s3
	v_mul_lo_u32 v11, v8, s22
	v_mad_u64_u32 v[0:1], s[22:23], v8, s3, 0
	v_add3_u32 v1, v1, v11, v9
	v_lshlrev_b64 v[0:1], 1, v[0:1]
	v_add_co_u32_e32 v0, vcc, v0, v10
	v_addc_co_u32_e32 v1, vcc, 0, v1, vcc
	v_add_co_u32_e32 v0, vcc, s8, v0
	v_addc_co_u32_e32 v1, vcc, v5, v1, vcc
	v_mov_b32_e32 v5, v6
.LBB137_6:                              ; =>This Inner Loop Header: Depth=1
	global_load_dwordx4 v[8:11], v[0:1], off
	v_add_co_u32_e32 v0, vcc, 0x200, v0
	v_add_u32_e32 v5, 32, v5
	v_addc_co_u32_e32 v1, vcc, 0, v1, vcc
	v_cmp_le_i32_e32 vcc, s2, v5
	s_or_b64 s[10:11], vcc, s[10:11]
	s_waitcnt vmcnt(0)
	ds_write_b128 v3, v[8:11]
	v_add_u32_e32 v3, 0x200, v3
	s_andn2_b64 exec, exec, s[10:11]
	s_cbranch_execnz .LBB137_6
.LBB137_7:
	s_or_b64 exec, exec, s[18:19]
	s_and_b64 exec, exec, s[0:1]
	s_cbranch_execz .LBB137_44
; %bb.8:
	s_waitcnt lgkmcnt(0)
	global_load_dwordx4 v[8:11], v17, s[4:5]
	global_load_dwordx4 v[12:15], v17, s[6:7]
	v_mbcnt_lo_u32_b32 v1, -1, 0
	s_abs_i32 s4, s3
	v_mbcnt_hi_u32_b32 v1, -1, v1
	v_cvt_f32_u32_e32 v22, s4
	v_and_b32_e32 v20, 0x60, v1
	v_xor_b32_e32 v21, 16, v1
	v_add_u32_e32 v20, 32, v20
	v_xor_b32_e32 v23, 8, v1
	v_cmp_lt_i32_e32 vcc, v21, v20
	v_xor_b32_e32 v24, 4, v1
	v_cndmask_b32_e32 v21, v1, v21, vcc
	v_cmp_lt_i32_e32 vcc, v23, v20
	v_rcp_iflag_f32_e32 v29, v22
	v_xor_b32_e32 v25, 2, v1
	v_cndmask_b32_e32 v23, v1, v23, vcc
	v_cmp_lt_i32_e32 vcc, v24, v20
	s_ashr_i32 s1, s3, 31
	v_xor_b32_e32 v26, 1, v1
	v_cndmask_b32_e32 v24, v1, v24, vcc
	v_cmp_lt_i32_e32 vcc, v25, v20
	s_lshr_b32 s2, s1, 29
	s_lshr_b32 s1, s1, 28
	v_cndmask_b32_e32 v25, v1, v25, vcc
	v_cmp_lt_i32_e32 vcc, v26, v20
	s_lshr_b32 s0, s3, 31
	s_add_i32 s1, s3, s1
	v_cndmask_b32_e32 v26, v1, v26, vcc
	v_lshlrev_b32_e32 v20, 2, v21
	v_lshlrev_b32_e32 v21, 2, v23
	v_lshlrev_b32_e32 v23, 2, v25
	v_mul_f32_e32 v25, 0x4f7ffffe, v29
	s_add_i32 s0, s3, s0
	v_and_b32_e32 v27, 64, v1
	s_ashr_i32 s1, s1, 4
	v_lshlrev_b32_e32 v22, 2, v24
	v_lshlrev_b32_e32 v24, 2, v26
	v_cvt_u32_f32_e32 v26, v25
	v_lshl_add_u32 v0, v4, 1, 0
	s_and_b32 s0, s0, -2
	s_add_i32 s2, s3, s2
	v_add_u32_e32 v27, 64, v27
	v_xor_b32_e32 v28, s1, v1
	v_add_u32_e32 v49, s0, v0
	s_ashr_i32 s0, s2, 3
	v_cmp_lt_i32_e64 s[2:3], v28, v27
	s_sub_i32 s5, 0, s4
	v_cndmask_b32_e64 v1, v1, v28, s[2:3]
	v_lshlrev_b32_e32 v25, 2, v1
	v_mul_lo_u32 v1, s5, v26
	v_mul_hi_u32 v1, v26, v1
	v_add_u32_e32 v1, v26, v1
	v_mul_hi_u32 v26, v17, v1
	v_mul_lo_u32 v26, v26, s4
	v_or_b32_e32 v3, 2, v17
	v_sub_u32_e32 v26, v17, v26
	v_subrev_u32_e32 v27, s4, v26
	v_cmp_le_u32_e64 s[2:3], s4, v26
	v_mul_hi_u32 v36, v3, v1
	v_cndmask_b32_e64 v26, v26, v27, s[2:3]
	v_mul_lo_u32 v36, v36, s4
	v_subrev_u32_e32 v27, s4, v26
	v_cmp_le_u32_e64 s[2:3], s4, v26
	v_sub_u32_e32 v3, v3, v36
	v_cndmask_b32_e64 v26, v26, v27, s[2:3]
	v_subrev_u32_e32 v36, s4, v3
	v_cmp_le_u32_e64 s[2:3], s4, v3
	v_cndmask_b32_e64 v3, v3, v36, s[2:3]
	v_subrev_u32_e32 v36, s4, v3
	v_cmp_le_u32_e64 s[2:3], s4, v3
	v_cndmask_b32_e64 v3, v3, v36, s[2:3]
	v_or_b32_e32 v4, 4, v17
	v_and_b32_e32 v3, -2, v3
	v_add_u32_e32 v36, v0, v3
	v_add_u32_e32 v37, v49, v3
	v_mul_hi_u32 v3, v4, v1
	v_mul_lo_u32 v3, v3, s4
	v_sub_u32_e32 v3, v4, v3
	v_subrev_u32_e32 v4, s4, v3
	v_cmp_le_u32_e64 s[2:3], s4, v3
	v_cndmask_b32_e64 v3, v3, v4, s[2:3]
	v_subrev_u32_e32 v4, s4, v3
	v_cmp_le_u32_e64 s[2:3], s4, v3
	v_cndmask_b32_e64 v3, v3, v4, s[2:3]
	v_or_b32_e32 v5, 6, v17
	v_and_b32_e32 v3, -2, v3
	v_add_u32_e32 v38, v0, v3
	v_add_u32_e32 v39, v49, v3
	v_mul_hi_u32 v3, v5, v1
	v_mul_lo_u32 v3, v3, s4
	v_sub_u32_e32 v3, v5, v3
	;; [unrolled: 13-line block ×5, first 2 shown]
	v_subrev_u32_e32 v4, s4, v3
	v_cmp_le_u32_e64 s[2:3], s4, v3
	v_or_b32_e32 v48, 14, v17
	v_cndmask_b32_e64 v3, v3, v4, s[2:3]
	v_subrev_u32_e32 v4, s4, v3
	v_cmp_le_u32_e64 s[2:3], s4, v3
	v_mul_hi_u32 v1, v48, v1
	v_cndmask_b32_e64 v3, v3, v4, s[2:3]
	v_mul_lo_u32 v1, v1, s4
	v_and_b32_e32 v3, -2, v3
	v_sub_u32_e32 v1, v48, v1
	v_add_u32_e32 v46, v0, v3
	v_add_u32_e32 v47, v49, v3
	v_subrev_u32_e32 v3, s4, v1
	v_cmp_le_u32_e64 s[2:3], s4, v1
	v_cndmask_b32_e64 v1, v1, v3, s[2:3]
	v_subrev_u32_e32 v3, s4, v1
	v_cmp_le_u32_e64 s[2:3], s4, v1
	v_cndmask_b32_e64 v1, v1, v3, s[2:3]
	s_add_i32 s2, s14, s13
	s_add_i32 s2, s2, s12
	s_lshl_b32 s3, s20, 2
	v_and_b32_e32 v35, -2, v26
	v_and_b32_e32 v1, -2, v1
	s_sub_i32 s2, s2, s3
	v_add_u32_e32 v34, v0, v35
	v_add_u32_e32 v48, v0, v1
	v_mul_lo_u32 v0, s2, v2
	v_lshl_add_u32 v0, v0, 8, v16
	v_lshl_or_b32 v16, v6, 3, v0
	v_add_u32_e32 v0, s21, v7
	s_mov_b32 s8, 0
	v_cmp_gt_i32_e32 vcc, s0, v6
	v_cmp_gt_i32_e64 s[0:1], s1, v6
	s_waitcnt vmcnt(1)
	v_lshrrev_b32_e32 v26, 16, v8
	v_lshrrev_b32_e32 v27, 16, v9
	;; [unrolled: 1-line block ×4, first 2 shown]
	s_waitcnt vmcnt(0)
	v_lshrrev_b32_e32 v30, 16, v12
	v_lshrrev_b32_e32 v31, 16, v13
	;; [unrolled: 1-line block ×4, first 2 shown]
	v_add_u32_e32 v35, v49, v35
	v_add_u32_e32 v49, v49, v1
	v_add3_u32 v50, v0, v17, 0
	s_mov_b64 s[6:7], 0
	s_mov_b32 s9, 0x800000
	s_mov_b32 s10, 0x7f800000
	s_movk_i32 s11, 0x7fff
	s_mov_b32 s13, 0x7060302
	v_mov_b32_e32 v51, 0
	s_branch .LBB137_10
.LBB137_9:                              ;   in Loop: Header=BB137_10 Depth=1
	s_or_b64 exec, exec, s[4:5]
	v_ashrrev_i32_e32 v17, 31, v16
	v_lshlrev_b64 v[0:1], 1, v[16:17]
	v_mov_b32_e32 v2, s17
	v_add_co_u32_e64 v4, s[2:3], s16, v0
	v_addc_co_u32_e64 v5, s[2:3], v2, v1, s[2:3]
	s_add_i32 s8, s8, 1
	v_cmp_ge_i32_e64 s[2:3], s8, v19
	v_perm_b32 v3, v59, v58, s13
	v_perm_b32 v2, v57, v56, s13
	;; [unrolled: 1-line block ×4, first 2 shown]
	v_add_u32_e32 v16, 0x100, v16
	s_or_b64 s[6:7], s[2:3], s[6:7]
	v_add_u32_e32 v50, 0x200, v50
	global_store_dwordx4 v[4:5], v[0:3], off
	s_andn2_b64 exec, exec, s[6:7]
	s_cbranch_execz .LBB137_44
.LBB137_10:                             ; =>This Inner Loop Header: Depth=1
	ds_read_b128 v[0:3], v50
	s_waitcnt lgkmcnt(0)
	v_and_b32_e32 v54, 0xffff0000, v0
	v_lshlrev_b32_e32 v17, 16, v0
	v_and_b32_e32 v5, 0xffff0000, v1
	v_lshlrev_b32_e32 v4, 16, v1
	v_mul_f32_e32 v6, v54, v54
	v_pk_mul_f32 v[0:1], v[4:5], v[4:5]
	v_fmac_f32_e32 v6, v17, v17
	v_add_f32_e32 v0, v6, v0
	v_and_b32_e32 v7, 0xffff0000, v2
	v_lshlrev_b32_e32 v6, 16, v2
	v_add_f32_e32 v52, v0, v1
	v_pk_mul_f32 v[0:1], v[6:7], v[6:7]
	v_add_f32_e32 v0, v52, v0
	v_and_b32_e32 v53, 0xffff0000, v3
	v_lshlrev_b32_e32 v52, 16, v3
	v_add_f32_e32 v2, v0, v1
	v_pk_mul_f32 v[0:1], v[52:53], v[52:53]
	v_add_f32_e32 v0, v2, v0
	v_add_f32_e32 v0, v0, v1
	ds_bpermute_b32 v1, v20, v0
	v_mov_b32_e32 v3, s15
	v_add_u32_e32 v2, s8, v18
	v_cmp_gt_i32_e64 s[2:3], s12, v2
	v_cndmask_b32_e64 v56, v13, v9, s[2:3]
	s_waitcnt lgkmcnt(0)
	v_add_f32_e32 v0, v0, v1
	ds_bpermute_b32 v1, v21, v0
	v_cndmask_b32_e64 v2, v12, v8, s[2:3]
	v_cndmask_b32_e64 v55, v30, v26, s[2:3]
	;; [unrolled: 1-line block ×3, first 2 shown]
	v_lshlrev_b32_e32 v2, 16, v2
	s_waitcnt lgkmcnt(0)
	v_add_f32_e32 v0, v0, v1
	ds_bpermute_b32 v1, v22, v0
	s_waitcnt lgkmcnt(0)
	v_add_f32_e32 v0, v0, v1
	ds_bpermute_b32 v1, v23, v0
	;; [unrolled: 3-line block ×3, first 2 shown]
	s_waitcnt lgkmcnt(0)
	v_add_f32_e32 v0, v0, v1
	v_fmac_f32_e32 v3, 0x3b800000, v0
	v_mul_f32_e32 v0, 0x4b800000, v3
	v_cmp_gt_f32_e64 s[4:5], s9, v3
	v_cndmask_b32_e64 v0, v3, v0, s[4:5]
	v_rsq_f32_e32 v0, v0
	v_lshlrev_b32_e32 v3, 16, v56
	v_lshlrev_b32_e32 v1, 16, v55
	;; [unrolled: 1-line block ×3, first 2 shown]
	v_mul_f32_e32 v56, 0x45800000, v0
	v_cndmask_b32_e64 v56, v0, v56, s[4:5]
	v_mul_f32_e32 v0, v56, v2
	v_mul_f32_e32 v2, v56, v3
	;; [unrolled: 1-line block ×5, first 2 shown]
	v_cndmask_b32_e64 v4, v14, v10, s[2:3]
	v_cndmask_b32_e64 v5, v32, v28, s[2:3]
	v_lshlrev_b32_e32 v4, 16, v4
	v_lshlrev_b32_e32 v5, 16, v5
	v_mul_f32_e32 v4, v56, v4
	v_mul_f32_e32 v5, v56, v5
	;; [unrolled: 1-line block ×4, first 2 shown]
	v_cndmask_b32_e64 v6, v15, v11, s[2:3]
	v_cndmask_b32_e64 v7, v33, v29, s[2:3]
	v_lshlrev_b32_e32 v6, 16, v6
	v_lshlrev_b32_e32 v7, 16, v7
	v_mul_f32_e32 v1, v56, v1
	v_mul_f32_e32 v6, v56, v6
	;; [unrolled: 1-line block ×7, first 2 shown]
	s_and_saveexec_b64 s[2:3], vcc
	s_cbranch_execz .LBB137_12
; %bb.11:                               ;   in Loop: Header=BB137_10 Depth=1
	ds_bpermute_b32 v17, v25, v0
	ds_bpermute_b32 v53, v25, v1
	; wave barrier
	ds_read_u16 v52, v34
	ds_read_u16 v54, v35
	;; [unrolled: 1-line block ×8, first 2 shown]
	s_waitcnt lgkmcnt(9)
	v_cndmask_b32_e64 v17, v17, -v17, s[0:1]
	s_waitcnt lgkmcnt(7)
	v_lshlrev_b32_e32 v61, 16, v52
	s_waitcnt lgkmcnt(6)
	v_lshlrev_b32_e32 v52, 16, v54
	v_mul_f32_e32 v52, v17, v52
	v_fmac_f32_e32 v52, v0, v61
	v_cndmask_b32_e64 v0, v53, -v53, s[0:1]
	s_waitcnt lgkmcnt(4)
	v_lshlrev_b32_e32 v53, 16, v56
	ds_bpermute_b32 v17, v25, v2
	v_lshlrev_b32_e32 v54, 16, v55
	v_mul_f32_e32 v53, v0, v53
	v_fmac_f32_e32 v53, v1, v54
	ds_bpermute_b32 v1, v25, v3
	s_waitcnt lgkmcnt(1)
	v_cndmask_b32_e64 v0, v17, -v17, s[0:1]
	v_lshlrev_b32_e32 v54, 16, v58
	v_mul_f32_e32 v54, v0, v54
	v_lshlrev_b32_e32 v17, 16, v57
	s_waitcnt lgkmcnt(0)
	v_cndmask_b32_e64 v0, v1, -v1, s[0:1]
	ds_bpermute_b32 v1, v25, v4
	v_fmac_f32_e32 v54, v2, v17
	v_lshlrev_b32_e32 v17, 16, v60
	v_mul_f32_e32 v55, v0, v17
	v_lshlrev_b32_e32 v2, 16, v59
	s_waitcnt lgkmcnt(0)
	v_cndmask_b32_e64 v0, v1, -v1, s[0:1]
	ds_bpermute_b32 v1, v25, v5
	v_fmac_f32_e32 v55, v3, v2
	ds_read_u16 v2, v42
	ds_read_u16 v3, v43
	;; [unrolled: 1-line block ×8, first 2 shown]
	s_waitcnt lgkmcnt(6)
	v_lshlrev_b32_e32 v3, 16, v3
	v_mul_f32_e32 v56, v0, v3
	v_cndmask_b32_e64 v0, v1, -v1, s[0:1]
	ds_bpermute_b32 v1, v25, v6
	s_waitcnt lgkmcnt(5)
	v_lshlrev_b32_e32 v3, 16, v57
	v_mul_f32_e32 v57, v0, v3
	v_lshlrev_b32_e32 v2, 16, v2
	v_fmac_f32_e32 v56, v4, v2
	s_waitcnt lgkmcnt(0)
	v_cndmask_b32_e64 v0, v1, -v1, s[0:1]
	ds_bpermute_b32 v1, v25, v7
	v_lshlrev_b32_e32 v2, 16, v17
	v_lshlrev_b32_e32 v3, 16, v59
	v_fmac_f32_e32 v57, v5, v2
	v_lshlrev_b32_e32 v2, 16, v58
	v_mul_f32_e32 v58, v0, v3
	v_fmac_f32_e32 v58, v6, v2
	s_waitcnt lgkmcnt(0)
	v_cndmask_b32_e64 v0, v1, -v1, s[0:1]
	v_lshlrev_b32_e32 v2, 16, v61
	v_lshlrev_b32_e32 v1, 16, v60
	v_mul_f32_e32 v59, v0, v2
	v_fmac_f32_e32 v59, v7, v1
	v_pk_mov_b32 v[0:1], v[52:53], v[52:53] op_sel:[0,1]
	v_pk_mov_b32 v[2:3], v[54:55], v[54:55] op_sel:[0,1]
	;; [unrolled: 1-line block ×4, first 2 shown]
	; wave barrier
.LBB137_12:                             ;   in Loop: Header=BB137_10 Depth=1
	s_or_b64 exec, exec, s[2:3]
	v_and_b32_e32 v17, 0x7f800000, v0
	v_cmp_ne_u32_e64 s[2:3], s10, v17
                                        ; implicit-def: $vgpr52
	s_and_saveexec_b64 s[4:5], s[2:3]
	s_xor_b64 s[2:3], exec, s[4:5]
; %bb.13:                               ;   in Loop: Header=BB137_10 Depth=1
	v_bfe_u32 v17, v0, 16, 1
	v_add3_u32 v52, v0, v17, s11
; %bb.14:                               ;   in Loop: Header=BB137_10 Depth=1
	s_andn2_saveexec_b64 s[4:5], s[2:3]
; %bb.15:                               ;   in Loop: Header=BB137_10 Depth=1
	v_or_b32_e32 v17, 0x10000, v0
	v_cmp_eq_u32_sdwa s[2:3], v0, v51 src0_sel:WORD_0 src1_sel:DWORD
	v_cndmask_b32_e64 v52, v17, v0, s[2:3]
; %bb.16:                               ;   in Loop: Header=BB137_10 Depth=1
	s_or_b64 exec, exec, s[4:5]
	v_and_b32_e32 v0, 0x7f800000, v1
	v_cmp_ne_u32_e64 s[2:3], s10, v0
                                        ; implicit-def: $vgpr53
	s_and_saveexec_b64 s[4:5], s[2:3]
	s_xor_b64 s[2:3], exec, s[4:5]
; %bb.17:                               ;   in Loop: Header=BB137_10 Depth=1
	v_bfe_u32 v0, v1, 16, 1
	v_add3_u32 v53, v1, v0, s11
; %bb.18:                               ;   in Loop: Header=BB137_10 Depth=1
	s_andn2_saveexec_b64 s[4:5], s[2:3]
; %bb.19:                               ;   in Loop: Header=BB137_10 Depth=1
	v_or_b32_e32 v0, 0x10000, v1
	v_cmp_eq_u32_sdwa s[2:3], v1, v51 src0_sel:WORD_0 src1_sel:DWORD
	v_cndmask_b32_e64 v53, v0, v1, s[2:3]
; %bb.20:                               ;   in Loop: Header=BB137_10 Depth=1
	s_or_b64 exec, exec, s[4:5]
	v_and_b32_e32 v0, 0x7f800000, v2
	v_cmp_ne_u32_e64 s[2:3], s10, v0
                                        ; implicit-def: $vgpr54
	s_and_saveexec_b64 s[4:5], s[2:3]
	s_xor_b64 s[2:3], exec, s[4:5]
; %bb.21:                               ;   in Loop: Header=BB137_10 Depth=1
	v_bfe_u32 v0, v2, 16, 1
	v_add3_u32 v54, v2, v0, s11
; %bb.22:                               ;   in Loop: Header=BB137_10 Depth=1
	s_andn2_saveexec_b64 s[4:5], s[2:3]
; %bb.23:                               ;   in Loop: Header=BB137_10 Depth=1
	v_or_b32_e32 v0, 0x10000, v2
	v_cmp_eq_u32_sdwa s[2:3], v2, v51 src0_sel:WORD_0 src1_sel:DWORD
	v_cndmask_b32_e64 v54, v0, v2, s[2:3]
; %bb.24:                               ;   in Loop: Header=BB137_10 Depth=1
	s_or_b64 exec, exec, s[4:5]
	v_and_b32_e32 v0, 0x7f800000, v3
	v_cmp_ne_u32_e64 s[2:3], s10, v0
                                        ; implicit-def: $vgpr55
	s_and_saveexec_b64 s[4:5], s[2:3]
	s_xor_b64 s[2:3], exec, s[4:5]
; %bb.25:                               ;   in Loop: Header=BB137_10 Depth=1
	v_bfe_u32 v0, v3, 16, 1
	v_add3_u32 v55, v3, v0, s11
; %bb.26:                               ;   in Loop: Header=BB137_10 Depth=1
	s_andn2_saveexec_b64 s[4:5], s[2:3]
; %bb.27:                               ;   in Loop: Header=BB137_10 Depth=1
	v_or_b32_e32 v0, 0x10000, v3
	v_cmp_eq_u32_sdwa s[2:3], v3, v51 src0_sel:WORD_0 src1_sel:DWORD
	v_cndmask_b32_e64 v55, v0, v3, s[2:3]
; %bb.28:                               ;   in Loop: Header=BB137_10 Depth=1
	s_or_b64 exec, exec, s[4:5]
	v_and_b32_e32 v0, 0x7f800000, v4
	v_cmp_ne_u32_e64 s[2:3], s10, v0
                                        ; implicit-def: $vgpr56
	s_and_saveexec_b64 s[4:5], s[2:3]
	s_xor_b64 s[2:3], exec, s[4:5]
; %bb.29:                               ;   in Loop: Header=BB137_10 Depth=1
	v_bfe_u32 v0, v4, 16, 1
	v_add3_u32 v56, v4, v0, s11
; %bb.30:                               ;   in Loop: Header=BB137_10 Depth=1
	s_andn2_saveexec_b64 s[4:5], s[2:3]
; %bb.31:                               ;   in Loop: Header=BB137_10 Depth=1
	v_or_b32_e32 v0, 0x10000, v4
	v_cmp_eq_u32_sdwa s[2:3], v4, v51 src0_sel:WORD_0 src1_sel:DWORD
	v_cndmask_b32_e64 v56, v0, v4, s[2:3]
; %bb.32:                               ;   in Loop: Header=BB137_10 Depth=1
	s_or_b64 exec, exec, s[4:5]
	v_and_b32_e32 v0, 0x7f800000, v5
	v_cmp_ne_u32_e64 s[2:3], s10, v0
                                        ; implicit-def: $vgpr57
	s_and_saveexec_b64 s[4:5], s[2:3]
	s_xor_b64 s[2:3], exec, s[4:5]
; %bb.33:                               ;   in Loop: Header=BB137_10 Depth=1
	v_bfe_u32 v0, v5, 16, 1
	v_add3_u32 v57, v5, v0, s11
; %bb.34:                               ;   in Loop: Header=BB137_10 Depth=1
	s_andn2_saveexec_b64 s[4:5], s[2:3]
; %bb.35:                               ;   in Loop: Header=BB137_10 Depth=1
	v_or_b32_e32 v0, 0x10000, v5
	v_cmp_eq_u32_sdwa s[2:3], v5, v51 src0_sel:WORD_0 src1_sel:DWORD
	v_cndmask_b32_e64 v57, v0, v5, s[2:3]
; %bb.36:                               ;   in Loop: Header=BB137_10 Depth=1
	s_or_b64 exec, exec, s[4:5]
	v_and_b32_e32 v0, 0x7f800000, v6
	v_cmp_ne_u32_e64 s[2:3], s10, v0
                                        ; implicit-def: $vgpr58
	s_and_saveexec_b64 s[4:5], s[2:3]
	s_xor_b64 s[2:3], exec, s[4:5]
; %bb.37:                               ;   in Loop: Header=BB137_10 Depth=1
	v_bfe_u32 v0, v6, 16, 1
	v_add3_u32 v58, v6, v0, s11
; %bb.38:                               ;   in Loop: Header=BB137_10 Depth=1
	s_andn2_saveexec_b64 s[4:5], s[2:3]
; %bb.39:                               ;   in Loop: Header=BB137_10 Depth=1
	v_or_b32_e32 v0, 0x10000, v6
	v_cmp_eq_u32_sdwa s[2:3], v6, v51 src0_sel:WORD_0 src1_sel:DWORD
	v_cndmask_b32_e64 v58, v0, v6, s[2:3]
; %bb.40:                               ;   in Loop: Header=BB137_10 Depth=1
	s_or_b64 exec, exec, s[4:5]
	v_and_b32_e32 v0, 0x7f800000, v7
	v_cmp_ne_u32_e64 s[2:3], s10, v0
                                        ; implicit-def: $vgpr59
	s_and_saveexec_b64 s[4:5], s[2:3]
	s_xor_b64 s[2:3], exec, s[4:5]
; %bb.41:                               ;   in Loop: Header=BB137_10 Depth=1
	v_bfe_u32 v0, v7, 16, 1
	v_add3_u32 v59, v7, v0, s11
                                        ; implicit-def: $vgpr0_vgpr1_vgpr2_vgpr3_vgpr4_vgpr5_vgpr6_vgpr7
; %bb.42:                               ;   in Loop: Header=BB137_10 Depth=1
	s_andn2_saveexec_b64 s[4:5], s[2:3]
	s_cbranch_execz .LBB137_9
; %bb.43:                               ;   in Loop: Header=BB137_10 Depth=1
	v_or_b32_e32 v0, 0x10000, v7
	v_cmp_eq_u32_sdwa s[2:3], v7, v51 src0_sel:WORD_0 src1_sel:DWORD
	v_cndmask_b32_e64 v59, v0, v7, s[2:3]
	s_branch .LBB137_9
.LBB137_44:
	s_endpgm
	.section	.rodata,"a",@progbits
	.p2align	6, 0x0
	.amdhsa_kernel _ZN12tensorrt_llm7kernels32fusedQKNormRopeKernelNTokenHeadsIN3c108BFloat16ES3_Li256ELb0ELi4EEEvPviiifPKvS6_S6_PKlii
		.amdhsa_group_segment_fixed_size 0
		.amdhsa_private_segment_fixed_size 0
		.amdhsa_kernarg_size 320
		.amdhsa_user_sgpr_count 6
		.amdhsa_user_sgpr_private_segment_buffer 1
		.amdhsa_user_sgpr_dispatch_ptr 0
		.amdhsa_user_sgpr_queue_ptr 0
		.amdhsa_user_sgpr_kernarg_segment_ptr 1
		.amdhsa_user_sgpr_dispatch_id 0
		.amdhsa_user_sgpr_flat_scratch_init 0
		.amdhsa_user_sgpr_kernarg_preload_length 0
		.amdhsa_user_sgpr_kernarg_preload_offset 0
		.amdhsa_user_sgpr_private_segment_size 0
		.amdhsa_uses_dynamic_stack 0
		.amdhsa_system_sgpr_private_segment_wavefront_offset 0
		.amdhsa_system_sgpr_workgroup_id_x 1
		.amdhsa_system_sgpr_workgroup_id_y 0
		.amdhsa_system_sgpr_workgroup_id_z 0
		.amdhsa_system_sgpr_workgroup_info 0
		.amdhsa_system_vgpr_workitem_id 0
		.amdhsa_next_free_vgpr 62
		.amdhsa_next_free_sgpr 24
		.amdhsa_accum_offset 64
		.amdhsa_reserve_vcc 1
		.amdhsa_reserve_flat_scratch 0
		.amdhsa_float_round_mode_32 0
		.amdhsa_float_round_mode_16_64 0
		.amdhsa_float_denorm_mode_32 3
		.amdhsa_float_denorm_mode_16_64 3
		.amdhsa_dx10_clamp 1
		.amdhsa_ieee_mode 1
		.amdhsa_fp16_overflow 0
		.amdhsa_tg_split 0
		.amdhsa_exception_fp_ieee_invalid_op 0
		.amdhsa_exception_fp_denorm_src 0
		.amdhsa_exception_fp_ieee_div_zero 0
		.amdhsa_exception_fp_ieee_overflow 0
		.amdhsa_exception_fp_ieee_underflow 0
		.amdhsa_exception_fp_ieee_inexact 0
		.amdhsa_exception_int_div_zero 0
	.end_amdhsa_kernel
	.section	.text._ZN12tensorrt_llm7kernels32fusedQKNormRopeKernelNTokenHeadsIN3c108BFloat16ES3_Li256ELb0ELi4EEEvPviiifPKvS6_S6_PKlii,"axG",@progbits,_ZN12tensorrt_llm7kernels32fusedQKNormRopeKernelNTokenHeadsIN3c108BFloat16ES3_Li256ELb0ELi4EEEvPviiifPKvS6_S6_PKlii,comdat
.Lfunc_end137:
	.size	_ZN12tensorrt_llm7kernels32fusedQKNormRopeKernelNTokenHeadsIN3c108BFloat16ES3_Li256ELb0ELi4EEEvPviiifPKvS6_S6_PKlii, .Lfunc_end137-_ZN12tensorrt_llm7kernels32fusedQKNormRopeKernelNTokenHeadsIN3c108BFloat16ES3_Li256ELb0ELi4EEEvPviiifPKvS6_S6_PKlii
                                        ; -- End function
	.section	.AMDGPU.csdata,"",@progbits
; Kernel info:
; codeLenInByte = 3296
; NumSgprs: 28
; NumVgprs: 62
; NumAgprs: 0
; TotalNumVgprs: 62
; ScratchSize: 0
; MemoryBound: 0
; FloatMode: 240
; IeeeMode: 1
; LDSByteSize: 0 bytes/workgroup (compile time only)
; SGPRBlocks: 3
; VGPRBlocks: 7
; NumSGPRsForWavesPerEU: 28
; NumVGPRsForWavesPerEU: 62
; AccumOffset: 64
; Occupancy: 8
; WaveLimiterHint : 0
; COMPUTE_PGM_RSRC2:SCRATCH_EN: 0
; COMPUTE_PGM_RSRC2:USER_SGPR: 6
; COMPUTE_PGM_RSRC2:TRAP_HANDLER: 0
; COMPUTE_PGM_RSRC2:TGID_X_EN: 1
; COMPUTE_PGM_RSRC2:TGID_Y_EN: 0
; COMPUTE_PGM_RSRC2:TGID_Z_EN: 0
; COMPUTE_PGM_RSRC2:TIDIG_COMP_CNT: 0
; COMPUTE_PGM_RSRC3_GFX90A:ACCUM_OFFSET: 15
; COMPUTE_PGM_RSRC3_GFX90A:TG_SPLIT: 0
	.section	.text._ZN12tensorrt_llm7kernels32fusedQKNormRopeKernelNTokenHeadsIN3c108BFloat16ES3_Li64ELb1ELi8EEEvPviiifPKvS6_S6_PKlii,"axG",@progbits,_ZN12tensorrt_llm7kernels32fusedQKNormRopeKernelNTokenHeadsIN3c108BFloat16ES3_Li64ELb1ELi8EEEvPviiifPKvS6_S6_PKlii,comdat
	.protected	_ZN12tensorrt_llm7kernels32fusedQKNormRopeKernelNTokenHeadsIN3c108BFloat16ES3_Li64ELb1ELi8EEEvPviiifPKvS6_S6_PKlii ; -- Begin function _ZN12tensorrt_llm7kernels32fusedQKNormRopeKernelNTokenHeadsIN3c108BFloat16ES3_Li64ELb1ELi8EEEvPviiifPKvS6_S6_PKlii
	.globl	_ZN12tensorrt_llm7kernels32fusedQKNormRopeKernelNTokenHeadsIN3c108BFloat16ES3_Li64ELb1ELi8EEEvPviiifPKvS6_S6_PKlii
	.p2align	8
	.type	_ZN12tensorrt_llm7kernels32fusedQKNormRopeKernelNTokenHeadsIN3c108BFloat16ES3_Li64ELb1ELi8EEEvPviiifPKvS6_S6_PKlii,@function
_ZN12tensorrt_llm7kernels32fusedQKNormRopeKernelNTokenHeadsIN3c108BFloat16ES3_Li64ELb1ELi8EEEvPviiifPKvS6_S6_PKlii: ; @_ZN12tensorrt_llm7kernels32fusedQKNormRopeKernelNTokenHeadsIN3c108BFloat16ES3_Li64ELb1ELi8EEEvPviiifPKvS6_S6_PKlii
; %bb.0:
	s_load_dwordx4 s[12:15], s[4:5], 0x8
	s_load_dwordx2 s[2:3], s[4:5], 0x38
	s_load_dword s0, s[4:5], 0x4c
	v_lshrrev_b32_e32 v13, 5, v0
	s_waitcnt lgkmcnt(0)
	s_add_i32 s21, s13, s12
	s_add_i32 s1, s21, 7
	s_ashr_i32 s7, s1, 31
	s_lshr_b32 s7, s7, 29
	s_add_i32 s1, s1, s7
	s_ashr_i32 s20, s1, 3
	s_abs_i32 s1, s20
	v_cvt_f32_u32_e32 v1, s1
	s_bfe_u32 s0, s0, 0xb0005
	s_mul_i32 s6, s6, s0
	v_add_u32_e32 v9, s6, v13
	v_rcp_iflag_f32_e32 v1, v1
	s_sub_i32 s6, 0, s1
	v_sub_u32_e32 v2, 0, v9
	v_max_i32_e32 v2, v9, v2
	v_mul_f32_e32 v1, 0x4f7ffffe, v1
	v_cvt_u32_f32_e32 v1, v1
	v_xor_b32_e32 v3, s20, v9
	v_ashrrev_i32_e32 v3, 31, v3
	v_mul_lo_u32 v4, s6, v1
	v_mul_hi_u32 v4, v1, v4
	v_add_u32_e32 v1, v1, v4
	v_mul_hi_u32 v1, v2, v1
	v_mul_lo_u32 v4, v1, s1
	v_sub_u32_e32 v2, v2, v4
	v_add_u32_e32 v4, 1, v1
	v_cmp_le_u32_e32 vcc, s1, v2
	v_cndmask_b32_e32 v1, v1, v4, vcc
	v_subrev_u32_e32 v4, s1, v2
	v_cndmask_b32_e32 v2, v2, v4, vcc
	v_add_u32_e32 v4, 1, v1
	v_cmp_le_u32_e32 vcc, s1, v2
	v_cndmask_b32_e32 v1, v1, v4, vcc
	v_xor_b32_e32 v1, v1, v3
	v_sub_u32_e32 v2, v1, v3
	v_cmp_gt_i32_e32 vcc, s2, v2
	s_and_saveexec_b64 s[6:7], vcc
	s_cbranch_execz .LBB138_25
; %bb.1:
	v_and_b32_e32 v10, 31, v0
	v_mul_lo_u32 v0, v2, s20
	v_sub_u32_e32 v0, v9, v0
	s_load_dwordx2 s[16:17], s[4:5], 0x0
	v_lshlrev_b32_e32 v0, 3, v0
	v_add_u32_e32 v1, 8, v0
	v_sub_u32_e32 v3, s21, v0
	v_cmp_lt_i32_e32 vcc, s21, v1
	v_cndmask_b32_e32 v8, 8, v3, vcc
	s_lshl_b32 s18, s3, 1
	s_mul_i32 s2, s18, s0
	v_lshlrev_b32_e32 v12, 10, v13
	v_cmp_lt_i32_e64 s[0:1], 0, v8
	v_lshlrev_b32_e32 v4, 1, v10
	v_lshlrev_b32_e32 v11, 2, v10
	s_and_saveexec_b64 s[6:7], s[0:1]
	s_cbranch_execz .LBB138_9
; %bb.2:
	s_mov_b32 s19, 1
	v_cmp_ne_u32_e32 vcc, 1, v8
	s_mov_b64 s[10:11], -1
	v_mov_b32_e32 v1, 0
	s_and_saveexec_b64 s[8:9], vcc
	s_cbranch_execz .LBB138_6
; %bb.3:
	s_add_i32 s21, s21, s14
	s_add_i32 s10, s2, 0
	v_mul_lo_u32 v6, v2, s21
	s_mov_b32 s22, 0
	v_add3_u32 v7, s10, v12, v11
	v_mov_b32_e32 v1, v0
	s_mov_b32 s21, s12
	s_mov_b32 s23, s12
	v_mov_b32_e32 v3, v6
	v_mov_b32_e32 v5, v4
	v_and_b32_e32 v14, 0x7ffffffe, v8
	s_mov_b64 s[10:11], 0
	v_mov_b32_e32 v15, s12
	v_mov_b32_e32 v16, s12
	s_waitcnt lgkmcnt(0)
	v_mov_b32_e32 v17, s17
.LBB138_4:                              ; =>This Inner Loop Header: Depth=1
	v_add_u32_e32 v19, s19, v1
	v_add_u32_e32 v18, s22, v0
	v_cmp_le_i32_e32 vcc, s23, v19
	v_cndmask_b32_e32 v20, 0, v15, vcc
	v_cmp_le_i32_e32 vcc, s21, v18
	v_cndmask_b32_e32 v21, 0, v16, vcc
	v_sub_u32_e32 v18, v18, v21
	v_sub_u32_e32 v19, v19, v20
	v_add3_u32 v18, v6, v21, v18
	v_add3_u32 v19, v3, v20, v19
	v_lshl_or_b32 v18, v18, 6, v4
	v_lshl_or_b32 v20, v19, 6, v5
	v_ashrrev_i32_e32 v19, 31, v18
	v_lshlrev_b64 v[18:19], 1, v[18:19]
	v_ashrrev_i32_e32 v21, 31, v20
	v_add_co_u32_e32 v18, vcc, s16, v18
	v_lshlrev_b64 v[20:21], 1, v[20:21]
	v_addc_co_u32_e32 v19, vcc, v17, v19, vcc
	v_add_co_u32_e32 v20, vcc, s16, v20
	v_addc_co_u32_e32 v21, vcc, v17, v21, vcc
	global_load_dword v22, v[18:19], off
	global_load_dword v23, v[20:21], off
	v_add_u32_e32 v14, -2, v14
	v_lshl_add_u32 v18, s22, 7, v7
	v_lshl_add_u32 v19, s19, 7, v7
	s_add_i32 s22, s22, 2
	s_add_i32 s19, s19, 2
	v_cmp_eq_u32_e32 vcc, 0, v14
	s_or_b64 s[10:11], vcc, s[10:11]
	s_waitcnt vmcnt(1)
	ds_write_b32 v18, v22
	s_waitcnt vmcnt(0)
	ds_write_b32 v19, v23
	s_andn2_b64 exec, exec, s[10:11]
	s_cbranch_execnz .LBB138_4
; %bb.5:
	s_or_b64 exec, exec, s[10:11]
	v_and_b32_e32 v1, 0x7ffffffe, v8
	v_cmp_ne_u32_e32 vcc, v8, v1
	s_orn2_b64 s[10:11], vcc, exec
.LBB138_6:
	s_or_b64 exec, exec, s[8:9]
	s_and_b64 exec, exec, s[10:11]
	s_cbranch_execz .LBB138_9
; %bb.7:
	s_add_i32 s8, s14, s13
	s_add_i32 s8, s8, s12
	s_lshl_b32 s9, s20, 3
	s_sub_i32 s8, s8, s9
	v_mul_lo_u32 v3, s8, v2
	v_lshlrev_b32_e32 v5, 3, v9
	v_add3_u32 v3, v1, v3, v5
	v_lshl_or_b32 v6, v3, 6, v4
	v_lshlrev_b32_e32 v3, 7, v1
	v_add3_u32 v3, s2, v12, v3
	v_add3_u32 v3, v3, v11, 0
	s_mov_b64 s[8:9], 0
	s_waitcnt lgkmcnt(0)
	v_mov_b32_e32 v5, s17
.LBB138_8:                              ; =>This Inner Loop Header: Depth=1
	v_ashrrev_i32_e32 v7, 31, v6
	v_lshlrev_b64 v[14:15], 1, v[6:7]
	v_add_co_u32_e32 v14, vcc, s16, v14
	v_addc_co_u32_e32 v15, vcc, v5, v15, vcc
	global_load_dword v7, v[14:15], off
	v_add_u32_e32 v1, 1, v1
	v_cmp_ge_i32_e32 vcc, v1, v8
	v_add_u32_e32 v6, 64, v6
	s_or_b64 s[8:9], vcc, s[8:9]
	s_waitcnt vmcnt(0)
	ds_write_b32 v3, v7
	v_add_u32_e32 v3, 0x80, v3
	s_andn2_b64 exec, exec, s[8:9]
	s_cbranch_execnz .LBB138_8
.LBB138_9:
	s_or_b64 exec, exec, s[6:7]
	s_add_i32 s18, s18, 15
	s_load_dwordx8 s[4:11], s[4:5], 0x18
	s_ashr_i32 s19, s18, 31
	s_lshr_b32 s19, s19, 28
	s_add_i32 s18, s18, s19
	s_ashr_i32 s21, s18, 4
	v_mul_lo_u32 v1, v13, s3
	v_cmp_gt_i32_e32 vcc, s21, v10
	v_lshlrev_b32_e32 v5, 1, v1
	s_and_saveexec_b64 s[18:19], vcc
	s_cbranch_execz .LBB138_12
; %bb.10:
	v_ashrrev_i32_e32 v3, 31, v2
	v_lshlrev_b64 v[6:7], 3, v[2:3]
	s_waitcnt lgkmcnt(0)
	v_mov_b32_e32 v1, s11
	v_add_co_u32_e32 v6, vcc, s10, v6
	v_addc_co_u32_e32 v7, vcc, v1, v7, vcc
	global_load_dwordx2 v[6:7], v[6:7], off
	s_ashr_i32 s22, s3, 31
	v_lshlrev_b32_e32 v3, 4, v10
	v_add3_u32 v1, v5, v3, 0
	v_mov_b32_e32 v13, s9
	s_mov_b64 s[10:11], 0
	s_waitcnt vmcnt(0)
	v_mul_lo_u32 v14, v7, s3
	v_mul_lo_u32 v15, v6, s22
	v_mad_u64_u32 v[6:7], s[22:23], v6, s3, 0
	v_add3_u32 v7, v7, v15, v14
	v_lshlrev_b64 v[6:7], 1, v[6:7]
	v_add_co_u32_e32 v3, vcc, v6, v3
	v_addc_co_u32_e32 v7, vcc, 0, v7, vcc
	v_add_co_u32_e32 v6, vcc, s8, v3
	v_addc_co_u32_e32 v7, vcc, v13, v7, vcc
	v_mov_b32_e32 v3, v10
.LBB138_11:                             ; =>This Inner Loop Header: Depth=1
	global_load_dwordx4 v[14:17], v[6:7], off
	v_add_co_u32_e32 v6, vcc, 0x200, v6
	v_add_u32_e32 v3, 32, v3
	v_addc_co_u32_e32 v7, vcc, 0, v7, vcc
	v_cmp_le_i32_e32 vcc, s21, v3
	s_or_b64 s[10:11], vcc, s[10:11]
	s_waitcnt vmcnt(0)
	ds_write_b128 v1, v[14:17]
	v_add_u32_e32 v1, 0x200, v1
	s_andn2_b64 exec, exec, s[10:11]
	s_cbranch_execnz .LBB138_11
.LBB138_12:
	s_or_b64 exec, exec, s[18:19]
	s_and_b64 exec, exec, s[0:1]
	s_cbranch_execz .LBB138_25
; %bb.13:
	s_waitcnt lgkmcnt(0)
	global_load_dword v1, v11, s[4:5]
	global_load_dword v6, v11, s[6:7]
	v_mbcnt_lo_u32_b32 v3, -1, 0
	s_lshr_b32 s0, s3, 31
	s_add_i32 s1, s14, s13
	v_add_u32_e32 v13, s2, v12
	v_mbcnt_hi_u32_b32 v3, -1, v3
	s_lshl_b32 s11, s20, 3
	s_add_i32 s0, s3, s0
	s_add_i32 s1, s1, s12
	v_add3_u32 v11, v13, v11, 0
	v_and_b32_e32 v13, 0x60, v3
	v_add3_u32 v7, 0, v5, v4
	s_ashr_i32 s2, s0, 1
	s_and_b32 s0, s0, -2
	v_xor_b32_e32 v14, 16, v3
	s_sub_i32 s1, s1, s11
	v_add_u32_e32 v13, 32, v13
	v_xor_b32_e32 v15, 8, v3
	v_cmp_gt_i32_e32 vcc, s2, v10
	v_add_u32_e32 v10, s0, v7
	v_mul_lo_u32 v2, s1, v2
	v_cmp_lt_i32_e64 s[0:1], v14, v13
	v_xor_b32_e32 v16, 4, v3
	v_cndmask_b32_e64 v14, v3, v14, s[0:1]
	v_cmp_lt_i32_e64 s[0:1], v15, v13
	v_xor_b32_e32 v17, 2, v3
	v_cndmask_b32_e64 v15, v3, v15, s[0:1]
	;; [unrolled: 3-line block ×3, first 2 shown]
	v_cmp_lt_i32_e64 s[0:1], v17, v13
	v_lshlrev_b32_e32 v5, 9, v9
	v_cndmask_b32_e64 v17, v3, v17, s[0:1]
	v_cmp_lt_i32_e64 s[0:1], v18, v13
	v_cndmask_b32_e64 v3, v3, v18, s[0:1]
	v_lshl_add_u32 v2, v2, 6, v5
	s_mov_b32 s6, 0
	s_mov_b64 s[4:5], 0
	s_mov_b32 s7, 0xffff0000
	v_mov_b32_e32 v9, s15
	s_mov_b32 s8, 0x800000
	s_mov_b32 s9, 0x7f800000
	s_movk_i32 s10, 0x7fff
	v_mov_b32_e32 v12, s17
	v_lshlrev_b32_e32 v13, 2, v14
	v_lshlrev_b32_e32 v14, 2, v15
	;; [unrolled: 1-line block ×5, first 2 shown]
	v_or_b32_e32 v2, v2, v4
	v_mov_b32_e32 v20, 0
	s_waitcnt vmcnt(1)
	v_lshrrev_b32_e32 v18, 16, v1
	s_waitcnt vmcnt(0)
	v_lshrrev_b32_e32 v19, 16, v6
	s_branch .LBB138_15
.LBB138_14:                             ;   in Loop: Header=BB138_15 Depth=1
	s_or_b64 exec, exec, s[2:3]
	v_lshrrev_b32_e32 v3, 16, v3
	v_and_or_b32 v21, v4, s7, v3
	v_ashrrev_i32_e32 v3, 31, v2
	v_lshlrev_b64 v[4:5], 1, v[2:3]
	v_add_co_u32_e64 v4, s[0:1], s16, v4
	v_addc_co_u32_e64 v5, s[0:1], v12, v5, s[0:1]
	s_add_i32 s6, s6, 1
	v_cmp_ge_i32_e64 s[0:1], s6, v8
	v_add_u32_e32 v2, 64, v2
	s_or_b64 s[4:5], s[0:1], s[4:5]
	v_add_u32_e32 v11, 0x80, v11
	global_store_dword v[4:5], v21, off
	s_andn2_b64 exec, exec, s[4:5]
	s_cbranch_execz .LBB138_25
.LBB138_15:                             ; =>This Inner Loop Header: Depth=1
	ds_read_b32 v3, v11
	s_waitcnt lgkmcnt(0)
	v_and_b32_e32 v5, 0xffff0000, v3
	v_lshlrev_b32_e32 v4, 16, v3
	v_pk_mul_f32 v[22:23], v[4:5], v[4:5]
	v_add_f32_e32 v3, v23, v22
	ds_bpermute_b32 v21, v13, v3
	v_mov_b32_e32 v23, v9
	v_add_u32_e32 v22, s6, v0
	v_cmp_gt_i32_e64 s[2:3], s12, v22
	v_cndmask_b32_e64 v22, v6, v1, s[2:3]
	s_waitcnt lgkmcnt(0)
	v_add_f32_e32 v3, v3, v21
	ds_bpermute_b32 v21, v14, v3
	v_lshlrev_b32_e32 v22, 16, v22
	s_waitcnt lgkmcnt(0)
	v_add_f32_e32 v3, v3, v21
	ds_bpermute_b32 v21, v15, v3
	s_waitcnt lgkmcnt(0)
	v_add_f32_e32 v3, v3, v21
	ds_bpermute_b32 v21, v16, v3
	;; [unrolled: 3-line block ×3, first 2 shown]
	s_waitcnt lgkmcnt(0)
	v_add_f32_e32 v3, v3, v21
	v_fmac_f32_e32 v23, 0x3c800000, v3
	v_mul_f32_e32 v3, 0x4b800000, v23
	v_cmp_gt_f32_e64 s[0:1], s8, v23
	v_cndmask_b32_e64 v3, v23, v3, s[0:1]
	v_rsq_f32_e32 v3, v3
	v_cndmask_b32_e64 v21, v19, v18, s[2:3]
	v_lshlrev_b32_e32 v23, 16, v21
	v_mul_f32_e32 v21, 0x45800000, v3
	v_cndmask_b32_e64 v24, v3, v21, s[0:1]
	v_pk_mul_f32 v[22:23], v[24:25], v[22:23] op_sel_hi:[0,1]
	v_pk_mul_f32 v[4:5], v[22:23], v[4:5]
	s_and_saveexec_b64 s[0:1], vcc
	s_cbranch_execz .LBB138_17
; %bb.16:                               ;   in Loop: Header=BB138_15 Depth=1
	ds_read_u16 v3, v7
	ds_read_u16 v21, v10
	s_waitcnt lgkmcnt(1)
	v_lshlrev_b32_e32 v23, 16, v3
	s_waitcnt lgkmcnt(0)
	v_lshlrev_b32_e32 v22, 16, v21
	v_pk_mul_f32 v[24:25], v[4:5], v[22:23]
	v_mov_b32_e32 v3, v24
	v_mul_f32_e32 v21, v4, v23
	v_pk_fma_f32 v[24:25], v[4:5], v[22:23], v[2:3]
	v_fma_f32 v4, -v5, v22, v21
	v_mov_b32_e32 v5, v25
.LBB138_17:                             ;   in Loop: Header=BB138_15 Depth=1
	s_or_b64 exec, exec, s[0:1]
	v_and_b32_e32 v3, 0x7f800000, v4
	v_cmp_ne_u32_e64 s[0:1], s9, v3
                                        ; implicit-def: $vgpr3
	s_and_saveexec_b64 s[2:3], s[0:1]
	s_xor_b64 s[0:1], exec, s[2:3]
; %bb.18:                               ;   in Loop: Header=BB138_15 Depth=1
	v_bfe_u32 v3, v4, 16, 1
	v_add3_u32 v3, v4, v3, s10
; %bb.19:                               ;   in Loop: Header=BB138_15 Depth=1
	s_andn2_saveexec_b64 s[2:3], s[0:1]
; %bb.20:                               ;   in Loop: Header=BB138_15 Depth=1
	v_or_b32_e32 v3, 0x10000, v4
	v_cmp_eq_u32_sdwa s[0:1], v4, v20 src0_sel:WORD_0 src1_sel:DWORD
	v_cndmask_b32_e64 v3, v3, v4, s[0:1]
; %bb.21:                               ;   in Loop: Header=BB138_15 Depth=1
	s_or_b64 exec, exec, s[2:3]
	v_and_b32_e32 v4, 0x7f800000, v5
	v_cmp_ne_u32_e64 s[0:1], s9, v4
                                        ; implicit-def: $vgpr4
	s_and_saveexec_b64 s[2:3], s[0:1]
	s_xor_b64 s[0:1], exec, s[2:3]
; %bb.22:                               ;   in Loop: Header=BB138_15 Depth=1
	v_bfe_u32 v4, v5, 16, 1
	v_add3_u32 v4, v5, v4, s10
                                        ; implicit-def: $vgpr5
; %bb.23:                               ;   in Loop: Header=BB138_15 Depth=1
	s_andn2_saveexec_b64 s[2:3], s[0:1]
	s_cbranch_execz .LBB138_14
; %bb.24:                               ;   in Loop: Header=BB138_15 Depth=1
	v_or_b32_e32 v4, 0x10000, v5
	v_cmp_eq_u32_sdwa s[0:1], v5, v20 src0_sel:WORD_0 src1_sel:DWORD
	v_cndmask_b32_e64 v4, v4, v5, s[0:1]
	s_branch .LBB138_14
.LBB138_25:
	s_endpgm
	.section	.rodata,"a",@progbits
	.p2align	6, 0x0
	.amdhsa_kernel _ZN12tensorrt_llm7kernels32fusedQKNormRopeKernelNTokenHeadsIN3c108BFloat16ES3_Li64ELb1ELi8EEEvPviiifPKvS6_S6_PKlii
		.amdhsa_group_segment_fixed_size 0
		.amdhsa_private_segment_fixed_size 0
		.amdhsa_kernarg_size 320
		.amdhsa_user_sgpr_count 6
		.amdhsa_user_sgpr_private_segment_buffer 1
		.amdhsa_user_sgpr_dispatch_ptr 0
		.amdhsa_user_sgpr_queue_ptr 0
		.amdhsa_user_sgpr_kernarg_segment_ptr 1
		.amdhsa_user_sgpr_dispatch_id 0
		.amdhsa_user_sgpr_flat_scratch_init 0
		.amdhsa_user_sgpr_kernarg_preload_length 0
		.amdhsa_user_sgpr_kernarg_preload_offset 0
		.amdhsa_user_sgpr_private_segment_size 0
		.amdhsa_uses_dynamic_stack 0
		.amdhsa_system_sgpr_private_segment_wavefront_offset 0
		.amdhsa_system_sgpr_workgroup_id_x 1
		.amdhsa_system_sgpr_workgroup_id_y 0
		.amdhsa_system_sgpr_workgroup_id_z 0
		.amdhsa_system_sgpr_workgroup_info 0
		.amdhsa_system_vgpr_workitem_id 0
		.amdhsa_next_free_vgpr 26
		.amdhsa_next_free_sgpr 24
		.amdhsa_accum_offset 28
		.amdhsa_reserve_vcc 1
		.amdhsa_reserve_flat_scratch 0
		.amdhsa_float_round_mode_32 0
		.amdhsa_float_round_mode_16_64 0
		.amdhsa_float_denorm_mode_32 3
		.amdhsa_float_denorm_mode_16_64 3
		.amdhsa_dx10_clamp 1
		.amdhsa_ieee_mode 1
		.amdhsa_fp16_overflow 0
		.amdhsa_tg_split 0
		.amdhsa_exception_fp_ieee_invalid_op 0
		.amdhsa_exception_fp_denorm_src 0
		.amdhsa_exception_fp_ieee_div_zero 0
		.amdhsa_exception_fp_ieee_overflow 0
		.amdhsa_exception_fp_ieee_underflow 0
		.amdhsa_exception_fp_ieee_inexact 0
		.amdhsa_exception_int_div_zero 0
	.end_amdhsa_kernel
	.section	.text._ZN12tensorrt_llm7kernels32fusedQKNormRopeKernelNTokenHeadsIN3c108BFloat16ES3_Li64ELb1ELi8EEEvPviiifPKvS6_S6_PKlii,"axG",@progbits,_ZN12tensorrt_llm7kernels32fusedQKNormRopeKernelNTokenHeadsIN3c108BFloat16ES3_Li64ELb1ELi8EEEvPviiifPKvS6_S6_PKlii,comdat
.Lfunc_end138:
	.size	_ZN12tensorrt_llm7kernels32fusedQKNormRopeKernelNTokenHeadsIN3c108BFloat16ES3_Li64ELb1ELi8EEEvPviiifPKvS6_S6_PKlii, .Lfunc_end138-_ZN12tensorrt_llm7kernels32fusedQKNormRopeKernelNTokenHeadsIN3c108BFloat16ES3_Li64ELb1ELi8EEEvPviiifPKvS6_S6_PKlii
                                        ; -- End function
	.section	.AMDGPU.csdata,"",@progbits
; Kernel info:
; codeLenInByte = 1872
; NumSgprs: 28
; NumVgprs: 26
; NumAgprs: 0
; TotalNumVgprs: 26
; ScratchSize: 0
; MemoryBound: 0
; FloatMode: 240
; IeeeMode: 1
; LDSByteSize: 0 bytes/workgroup (compile time only)
; SGPRBlocks: 3
; VGPRBlocks: 3
; NumSGPRsForWavesPerEU: 28
; NumVGPRsForWavesPerEU: 26
; AccumOffset: 28
; Occupancy: 8
; WaveLimiterHint : 0
; COMPUTE_PGM_RSRC2:SCRATCH_EN: 0
; COMPUTE_PGM_RSRC2:USER_SGPR: 6
; COMPUTE_PGM_RSRC2:TRAP_HANDLER: 0
; COMPUTE_PGM_RSRC2:TGID_X_EN: 1
; COMPUTE_PGM_RSRC2:TGID_Y_EN: 0
; COMPUTE_PGM_RSRC2:TGID_Z_EN: 0
; COMPUTE_PGM_RSRC2:TIDIG_COMP_CNT: 0
; COMPUTE_PGM_RSRC3_GFX90A:ACCUM_OFFSET: 6
; COMPUTE_PGM_RSRC3_GFX90A:TG_SPLIT: 0
	.section	.text._ZN12tensorrt_llm7kernels32fusedQKNormRopeKernelNTokenHeadsIN3c108BFloat16ES3_Li64ELb0ELi8EEEvPviiifPKvS6_S6_PKlii,"axG",@progbits,_ZN12tensorrt_llm7kernels32fusedQKNormRopeKernelNTokenHeadsIN3c108BFloat16ES3_Li64ELb0ELi8EEEvPviiifPKvS6_S6_PKlii,comdat
	.protected	_ZN12tensorrt_llm7kernels32fusedQKNormRopeKernelNTokenHeadsIN3c108BFloat16ES3_Li64ELb0ELi8EEEvPviiifPKvS6_S6_PKlii ; -- Begin function _ZN12tensorrt_llm7kernels32fusedQKNormRopeKernelNTokenHeadsIN3c108BFloat16ES3_Li64ELb0ELi8EEEvPviiifPKvS6_S6_PKlii
	.globl	_ZN12tensorrt_llm7kernels32fusedQKNormRopeKernelNTokenHeadsIN3c108BFloat16ES3_Li64ELb0ELi8EEEvPviiifPKvS6_S6_PKlii
	.p2align	8
	.type	_ZN12tensorrt_llm7kernels32fusedQKNormRopeKernelNTokenHeadsIN3c108BFloat16ES3_Li64ELb0ELi8EEEvPviiifPKvS6_S6_PKlii,@function
_ZN12tensorrt_llm7kernels32fusedQKNormRopeKernelNTokenHeadsIN3c108BFloat16ES3_Li64ELb0ELi8EEEvPviiifPKvS6_S6_PKlii: ; @_ZN12tensorrt_llm7kernels32fusedQKNormRopeKernelNTokenHeadsIN3c108BFloat16ES3_Li64ELb0ELi8EEEvPviiifPKvS6_S6_PKlii
; %bb.0:
	s_load_dwordx4 s[12:15], s[4:5], 0x8
	s_load_dwordx2 s[2:3], s[4:5], 0x38
	s_load_dword s0, s[4:5], 0x4c
	v_lshrrev_b32_e32 v12, 5, v0
	s_waitcnt lgkmcnt(0)
	s_add_i32 s19, s13, s12
	s_add_i32 s1, s19, 7
	s_ashr_i32 s7, s1, 31
	s_lshr_b32 s7, s7, 29
	s_add_i32 s1, s1, s7
	s_ashr_i32 s21, s1, 3
	s_abs_i32 s1, s21
	v_cvt_f32_u32_e32 v1, s1
	s_bfe_u32 s0, s0, 0xb0005
	s_mul_i32 s6, s6, s0
	v_add_u32_e32 v8, s6, v12
	v_rcp_iflag_f32_e32 v1, v1
	s_sub_i32 s6, 0, s1
	v_sub_u32_e32 v2, 0, v8
	v_max_i32_e32 v2, v8, v2
	v_mul_f32_e32 v1, 0x4f7ffffe, v1
	v_cvt_u32_f32_e32 v1, v1
	v_xor_b32_e32 v3, s21, v8
	v_ashrrev_i32_e32 v3, 31, v3
	v_mul_lo_u32 v4, s6, v1
	v_mul_hi_u32 v4, v1, v4
	v_add_u32_e32 v1, v1, v4
	v_mul_hi_u32 v1, v2, v1
	v_mul_lo_u32 v4, v1, s1
	v_sub_u32_e32 v2, v2, v4
	v_add_u32_e32 v4, 1, v1
	v_cmp_le_u32_e32 vcc, s1, v2
	v_cndmask_b32_e32 v1, v1, v4, vcc
	v_subrev_u32_e32 v4, s1, v2
	v_cndmask_b32_e32 v2, v2, v4, vcc
	v_add_u32_e32 v4, 1, v1
	v_cmp_le_u32_e32 vcc, s1, v2
	v_cndmask_b32_e32 v1, v1, v4, vcc
	v_xor_b32_e32 v1, v1, v3
	v_sub_u32_e32 v2, v1, v3
	v_cmp_gt_i32_e32 vcc, s2, v2
	s_and_saveexec_b64 s[6:7], vcc
	s_cbranch_execz .LBB139_25
; %bb.1:
	v_and_b32_e32 v9, 31, v0
	v_mul_lo_u32 v0, v2, s21
	v_sub_u32_e32 v0, v8, v0
	s_load_dwordx2 s[16:17], s[4:5], 0x0
	v_lshlrev_b32_e32 v0, 3, v0
	v_add_u32_e32 v1, 8, v0
	v_sub_u32_e32 v3, s19, v0
	v_cmp_lt_i32_e32 vcc, s19, v1
	v_cndmask_b32_e32 v7, 8, v3, vcc
	s_lshl_b32 s2, s3, 1
	s_mul_i32 s20, s2, s0
	v_lshlrev_b32_e32 v10, 10, v12
	v_cmp_lt_i32_e64 s[0:1], 0, v7
	v_lshlrev_b32_e32 v11, 2, v9
	s_and_saveexec_b64 s[6:7], s[0:1]
	s_cbranch_execz .LBB139_9
; %bb.2:
	s_mov_b32 s18, 1
	v_lshlrev_b32_e32 v4, 1, v9
	v_cmp_ne_u32_e32 vcc, 1, v7
	s_mov_b64 s[10:11], -1
	v_mov_b32_e32 v1, 0
	s_and_saveexec_b64 s[8:9], vcc
	s_cbranch_execz .LBB139_6
; %bb.3:
	s_add_i32 s19, s19, s14
	s_add_i32 s10, s20, 0
	v_mul_lo_u32 v6, v2, s19
	s_mov_b32 s22, 0
	v_add3_u32 v13, s10, v10, v11
	v_mov_b32_e32 v1, v0
	s_mov_b32 s19, s12
	s_mov_b32 s23, s12
	v_mov_b32_e32 v3, v6
	v_mov_b32_e32 v5, v4
	v_and_b32_e32 v14, 0x7ffffffe, v7
	s_mov_b64 s[10:11], 0
	v_mov_b32_e32 v15, s12
	v_mov_b32_e32 v16, s12
	s_waitcnt lgkmcnt(0)
	v_mov_b32_e32 v17, s17
.LBB139_4:                              ; =>This Inner Loop Header: Depth=1
	v_add_u32_e32 v19, s18, v1
	v_add_u32_e32 v18, s22, v0
	v_cmp_le_i32_e32 vcc, s23, v19
	v_cndmask_b32_e32 v20, 0, v15, vcc
	v_cmp_le_i32_e32 vcc, s19, v18
	v_cndmask_b32_e32 v21, 0, v16, vcc
	v_sub_u32_e32 v18, v18, v21
	v_sub_u32_e32 v19, v19, v20
	v_add3_u32 v18, v6, v21, v18
	v_add3_u32 v19, v3, v20, v19
	v_lshl_or_b32 v18, v18, 6, v4
	v_lshl_or_b32 v20, v19, 6, v5
	v_ashrrev_i32_e32 v19, 31, v18
	v_lshlrev_b64 v[18:19], 1, v[18:19]
	v_ashrrev_i32_e32 v21, 31, v20
	v_add_co_u32_e32 v18, vcc, s16, v18
	v_lshlrev_b64 v[20:21], 1, v[20:21]
	v_addc_co_u32_e32 v19, vcc, v17, v19, vcc
	v_add_co_u32_e32 v20, vcc, s16, v20
	v_addc_co_u32_e32 v21, vcc, v17, v21, vcc
	global_load_dword v22, v[18:19], off
	global_load_dword v23, v[20:21], off
	v_add_u32_e32 v14, -2, v14
	v_lshl_add_u32 v18, s22, 7, v13
	v_lshl_add_u32 v19, s18, 7, v13
	s_add_i32 s22, s22, 2
	s_add_i32 s18, s18, 2
	v_cmp_eq_u32_e32 vcc, 0, v14
	s_or_b64 s[10:11], vcc, s[10:11]
	s_waitcnt vmcnt(1)
	ds_write_b32 v18, v22
	s_waitcnt vmcnt(0)
	ds_write_b32 v19, v23
	s_andn2_b64 exec, exec, s[10:11]
	s_cbranch_execnz .LBB139_4
; %bb.5:
	s_or_b64 exec, exec, s[10:11]
	v_and_b32_e32 v1, 0x7ffffffe, v7
	v_cmp_ne_u32_e32 vcc, v7, v1
	s_orn2_b64 s[10:11], vcc, exec
.LBB139_6:
	s_or_b64 exec, exec, s[8:9]
	s_and_b64 exec, exec, s[10:11]
	s_cbranch_execz .LBB139_9
; %bb.7:
	s_add_i32 s8, s14, s13
	s_add_i32 s8, s8, s12
	s_lshl_b32 s9, s21, 3
	s_sub_i32 s8, s8, s9
	v_mul_lo_u32 v3, s8, v2
	v_lshlrev_b32_e32 v5, 3, v8
	v_add3_u32 v3, v1, v3, v5
	v_lshl_or_b32 v4, v3, 6, v4
	v_lshlrev_b32_e32 v3, 7, v1
	v_add3_u32 v3, s20, v10, v3
	v_add3_u32 v3, v3, v11, 0
	s_mov_b64 s[8:9], 0
	s_waitcnt lgkmcnt(0)
	v_mov_b32_e32 v6, s17
.LBB139_8:                              ; =>This Inner Loop Header: Depth=1
	v_ashrrev_i32_e32 v5, 31, v4
	v_lshlrev_b64 v[14:15], 1, v[4:5]
	v_add_co_u32_e32 v14, vcc, s16, v14
	v_addc_co_u32_e32 v15, vcc, v6, v15, vcc
	global_load_dword v5, v[14:15], off
	v_add_u32_e32 v1, 1, v1
	v_cmp_ge_i32_e32 vcc, v1, v7
	v_add_u32_e32 v4, 64, v4
	s_or_b64 s[8:9], vcc, s[8:9]
	s_waitcnt vmcnt(0)
	ds_write_b32 v3, v5
	v_add_u32_e32 v3, 0x80, v3
	s_andn2_b64 exec, exec, s[8:9]
	s_cbranch_execnz .LBB139_8
.LBB139_9:
	s_or_b64 exec, exec, s[6:7]
	s_add_i32 s2, s2, 15
	s_load_dwordx8 s[4:11], s[4:5], 0x18
	s_ashr_i32 s18, s2, 31
	s_lshr_b32 s18, s18, 28
	s_add_i32 s2, s2, s18
	s_ashr_i32 s2, s2, 4
	v_cmp_gt_i32_e32 vcc, s2, v9
	v_mul_lo_u32 v12, v12, s3
	s_and_saveexec_b64 s[18:19], vcc
	s_cbranch_execz .LBB139_12
; %bb.10:
	v_ashrrev_i32_e32 v3, 31, v2
	v_lshlrev_b64 v[4:5], 3, v[2:3]
	s_waitcnt lgkmcnt(0)
	v_mov_b32_e32 v1, s11
	v_add_co_u32_e32 v4, vcc, s10, v4
	v_addc_co_u32_e32 v5, vcc, v1, v5, vcc
	global_load_dwordx2 v[4:5], v[4:5], off
	s_ashr_i32 s22, s3, 31
	v_lshlrev_b32_e32 v1, 1, v12
	v_lshlrev_b32_e32 v3, 4, v9
	v_add3_u32 v1, v1, v3, 0
	v_mov_b32_e32 v6, s9
	s_mov_b64 s[10:11], 0
	s_waitcnt vmcnt(0)
	v_mul_lo_u32 v13, v5, s3
	v_mul_lo_u32 v14, v4, s22
	v_mad_u64_u32 v[4:5], s[22:23], v4, s3, 0
	v_add3_u32 v5, v5, v14, v13
	v_lshlrev_b64 v[4:5], 1, v[4:5]
	v_add_co_u32_e32 v3, vcc, v4, v3
	v_addc_co_u32_e32 v5, vcc, 0, v5, vcc
	v_add_co_u32_e32 v4, vcc, s8, v3
	v_addc_co_u32_e32 v5, vcc, v6, v5, vcc
	v_mov_b32_e32 v3, v9
.LBB139_11:                             ; =>This Inner Loop Header: Depth=1
	global_load_dwordx4 v[14:17], v[4:5], off
	v_add_co_u32_e32 v4, vcc, 0x200, v4
	v_add_u32_e32 v3, 32, v3
	v_addc_co_u32_e32 v5, vcc, 0, v5, vcc
	v_cmp_le_i32_e32 vcc, s2, v3
	s_or_b64 s[10:11], vcc, s[10:11]
	s_waitcnt vmcnt(0)
	ds_write_b128 v1, v[14:17]
	v_add_u32_e32 v1, 0x200, v1
	s_andn2_b64 exec, exec, s[10:11]
	s_cbranch_execnz .LBB139_11
.LBB139_12:
	s_or_b64 exec, exec, s[18:19]
	s_and_b64 exec, exec, s[0:1]
	s_cbranch_execz .LBB139_25
; %bb.13:
	s_waitcnt lgkmcnt(0)
	global_load_dword v1, v11, s[4:5]
	global_load_dword v6, v11, s[6:7]
	v_mbcnt_lo_u32_b32 v4, -1, 0
	s_abs_i32 s4, s3
	s_lshr_b32 s0, s3, 31
	v_mbcnt_hi_u32_b32 v4, -1, v4
	v_cvt_f32_u32_e32 v14, s4
	v_lshl_add_u32 v3, v12, 1, 0
	s_add_i32 s1, s14, s13
	s_add_i32 s0, s3, s0
	v_and_b32_e32 v12, 0x60, v4
	s_add_i32 s7, s1, s12
	s_ashr_i32 s1, s0, 1
	s_and_b32 s0, s0, -2
	v_xor_b32_e32 v13, 16, v4
	v_add_u32_e32 v12, 32, v12
	v_xor_b32_e32 v15, 8, v4
	v_add_u32_e32 v21, s0, v3
	v_cmp_gt_i32_e32 vcc, s1, v9
	s_lshr_b32 s2, s1, 1
	v_cmp_lt_i32_e64 s[0:1], v13, v12
	v_xor_b32_e32 v16, 4, v4
	v_cndmask_b32_e64 v13, v4, v13, s[0:1]
	v_cmp_lt_i32_e64 s[0:1], v15, v12
	v_rcp_iflag_f32_e32 v22, v14
	v_xor_b32_e32 v17, 2, v4
	v_cndmask_b32_e64 v15, v4, v15, s[0:1]
	v_cmp_lt_i32_e64 s[0:1], v16, v12
	v_xor_b32_e32 v18, 1, v4
	v_cndmask_b32_e64 v16, v4, v16, s[0:1]
	v_cmp_lt_i32_e64 s[0:1], v17, v12
	v_cndmask_b32_e64 v17, v4, v17, s[0:1]
	v_cmp_lt_i32_e64 s[0:1], v18, v12
	v_cndmask_b32_e64 v18, v4, v18, s[0:1]
	v_lshlrev_b32_e32 v12, 2, v13
	v_lshlrev_b32_e32 v13, 2, v15
	;; [unrolled: 1-line block ×3, first 2 shown]
	v_mul_f32_e32 v17, 0x4f7ffffe, v22
	v_and_b32_e32 v19, 64, v4
	v_lshlrev_b32_e32 v14, 2, v16
	v_lshlrev_b32_e32 v16, 2, v18
	v_cvt_u32_f32_e32 v18, v17
	v_add_u32_e32 v19, 64, v19
	v_xor_b32_e32 v20, s2, v4
	v_cmp_gt_u32_e64 s[0:1], s2, v9
	v_cmp_lt_i32_e64 s[2:3], v20, v19
	s_sub_i32 s6, 0, s4
	v_cndmask_b32_e64 v4, v4, v20, s[2:3]
	v_lshlrev_b32_e32 v17, 2, v4
	v_mul_lo_u32 v4, s6, v18
	v_mul_hi_u32 v4, v18, v4
	v_add_u32_e32 v4, v18, v4
	v_or_b32_e32 v5, 2, v11
	v_mul_hi_u32 v18, v11, v4
	v_mul_hi_u32 v4, v5, v4
	v_mul_lo_u32 v18, v18, s4
	v_mul_lo_u32 v4, v4, s4
	v_sub_u32_e32 v18, v11, v18
	v_sub_u32_e32 v4, v5, v4
	v_subrev_u32_e32 v5, s4, v18
	v_cmp_le_u32_e64 s[2:3], s4, v18
	v_subrev_u32_e32 v19, s4, v4
	v_cndmask_b32_e64 v5, v18, v5, s[2:3]
	v_cmp_le_u32_e64 s[2:3], s4, v4
	v_cndmask_b32_e64 v4, v4, v19, s[2:3]
	v_subrev_u32_e32 v18, s4, v5
	v_cmp_le_u32_e64 s[2:3], s4, v5
	v_subrev_u32_e32 v19, s4, v4
	v_cndmask_b32_e64 v5, v5, v18, s[2:3]
	v_cmp_le_u32_e64 s[2:3], s4, v4
	s_lshl_b32 s5, s21, 3
	v_cndmask_b32_e64 v4, v4, v19, s[2:3]
	v_and_b32_e32 v5, -2, v5
	v_and_b32_e32 v4, -2, v4
	s_sub_i32 s2, s7, s5
	v_add_u32_e32 v18, v3, v5
	v_add_u32_e32 v20, v3, v4
	v_mul_lo_u32 v2, s2, v2
	v_lshlrev_b32_e32 v3, 9, v8
	v_lshl_add_u32 v2, v2, 6, v3
	v_add_u32_e32 v3, s20, v10
	s_mov_b32 s8, 0
	v_add_u32_e32 v19, v21, v5
	v_add_u32_e32 v21, v21, v4
	s_waitcnt vmcnt(1)
	v_lshrrev_b32_e32 v22, 16, v1
	s_waitcnt vmcnt(0)
	v_lshrrev_b32_e32 v23, 16, v6
	v_lshl_or_b32 v2, v9, 1, v2
	v_add3_u32 v8, v3, v11, 0
	s_mov_b64 s[6:7], 0
	s_mov_b32 s9, 0xffff0000
	v_mov_b32_e32 v9, s15
	s_mov_b32 s10, 0x800000
	s_mov_b32 s11, 0x7f800000
	s_movk_i32 s13, 0x7fff
	v_mov_b32_e32 v10, 0
	s_branch .LBB139_15
.LBB139_14:                             ;   in Loop: Header=BB139_15 Depth=1
	s_or_b64 exec, exec, s[4:5]
	v_lshrrev_b32_e32 v3, 16, v3
	v_and_or_b32 v11, v11, s9, v3
	v_ashrrev_i32_e32 v3, 31, v2
	v_lshlrev_b64 v[4:5], 1, v[2:3]
	v_mov_b32_e32 v3, s17
	v_add_co_u32_e64 v4, s[2:3], s16, v4
	v_addc_co_u32_e64 v5, s[2:3], v3, v5, s[2:3]
	s_add_i32 s8, s8, 1
	v_cmp_ge_i32_e64 s[2:3], s8, v7
	v_add_u32_e32 v2, 64, v2
	s_or_b64 s[6:7], s[2:3], s[6:7]
	v_add_u32_e32 v8, 0x80, v8
	global_store_dword v[4:5], v11, off
	s_andn2_b64 exec, exec, s[6:7]
	s_cbranch_execz .LBB139_25
.LBB139_15:                             ; =>This Inner Loop Header: Depth=1
	ds_read_b32 v3, v8
	v_mov_b32_e32 v11, v9
	s_waitcnt lgkmcnt(0)
	v_and_b32_e32 v24, 0xffff0000, v3
	v_lshlrev_b32_e32 v25, 16, v3
	v_pk_mul_f32 v[4:5], v[24:25], v[24:25]
	v_add_f32_e32 v3, v4, v5
	ds_bpermute_b32 v4, v12, v3
	v_add_u32_e32 v5, s8, v0
	v_cmp_gt_i32_e64 s[2:3], s12, v5
	v_cndmask_b32_e64 v5, v6, v1, s[2:3]
	s_waitcnt lgkmcnt(0)
	v_add_f32_e32 v3, v3, v4
	ds_bpermute_b32 v4, v13, v3
	s_waitcnt lgkmcnt(0)
	v_add_f32_e32 v3, v3, v4
	ds_bpermute_b32 v4, v14, v3
	;; [unrolled: 3-line block ×4, first 2 shown]
	s_waitcnt lgkmcnt(0)
	v_add_f32_e32 v3, v3, v4
	v_fmac_f32_e32 v11, 0x3c800000, v3
	v_mul_f32_e32 v3, 0x4b800000, v11
	v_cmp_gt_f32_e64 s[4:5], s10, v11
	v_cndmask_b32_e64 v3, v11, v3, s[4:5]
	v_rsq_f32_e32 v3, v3
	v_lshlrev_b32_e32 v4, 16, v5
	v_cndmask_b32_e64 v5, v23, v22, s[2:3]
	v_lshlrev_b32_e32 v5, 16, v5
	v_mul_f32_e32 v11, 0x45800000, v3
	v_cndmask_b32_e64 v3, v3, v11, s[4:5]
	v_mul_f32_e32 v4, v3, v4
	v_mul_f32_e32 v3, v3, v5
	;; [unrolled: 1-line block ×4, first 2 shown]
	s_and_saveexec_b64 s[2:3], vcc
	s_cbranch_execz .LBB139_17
; %bb.16:                               ;   in Loop: Header=BB139_15 Depth=1
	ds_bpermute_b32 v3, v17, v4
	; wave barrier
	ds_read_u16 v11, v18
	ds_read_u16 v24, v19
	ds_bpermute_b32 v25, v17, v5
	ds_read_u16 v26, v20
	ds_read_u16 v27, v21
	s_waitcnt lgkmcnt(5)
	v_cndmask_b32_e64 v3, v3, -v3, s[0:1]
	s_waitcnt lgkmcnt(4)
	v_lshlrev_b32_e32 v11, 16, v11
	s_waitcnt lgkmcnt(3)
	v_lshlrev_b32_e32 v24, 16, v24
	v_mul_f32_e32 v24, v3, v24
	v_fmac_f32_e32 v24, v4, v11
	s_waitcnt lgkmcnt(2)
	v_cndmask_b32_e64 v3, v25, -v25, s[0:1]
	s_waitcnt lgkmcnt(0)
	v_lshlrev_b32_e32 v11, 16, v27
	v_lshlrev_b32_e32 v4, 16, v26
	v_mul_f32_e32 v25, v3, v11
	v_fmac_f32_e32 v25, v5, v4
	v_pk_mov_b32 v[4:5], v[24:25], v[24:25] op_sel:[0,1]
	; wave barrier
.LBB139_17:                             ;   in Loop: Header=BB139_15 Depth=1
	s_or_b64 exec, exec, s[2:3]
	v_and_b32_e32 v3, 0x7f800000, v4
	v_cmp_ne_u32_e64 s[2:3], s11, v3
                                        ; implicit-def: $vgpr3
	s_and_saveexec_b64 s[4:5], s[2:3]
	s_xor_b64 s[2:3], exec, s[4:5]
; %bb.18:                               ;   in Loop: Header=BB139_15 Depth=1
	v_bfe_u32 v3, v4, 16, 1
	v_add3_u32 v3, v4, v3, s13
; %bb.19:                               ;   in Loop: Header=BB139_15 Depth=1
	s_andn2_saveexec_b64 s[4:5], s[2:3]
; %bb.20:                               ;   in Loop: Header=BB139_15 Depth=1
	v_or_b32_e32 v3, 0x10000, v4
	v_cmp_eq_u32_sdwa s[2:3], v4, v10 src0_sel:WORD_0 src1_sel:DWORD
	v_cndmask_b32_e64 v3, v3, v4, s[2:3]
; %bb.21:                               ;   in Loop: Header=BB139_15 Depth=1
	s_or_b64 exec, exec, s[4:5]
	v_and_b32_e32 v4, 0x7f800000, v5
	v_cmp_ne_u32_e64 s[2:3], s11, v4
                                        ; implicit-def: $vgpr11
	s_and_saveexec_b64 s[4:5], s[2:3]
	s_xor_b64 s[2:3], exec, s[4:5]
; %bb.22:                               ;   in Loop: Header=BB139_15 Depth=1
	v_bfe_u32 v4, v5, 16, 1
	v_add3_u32 v11, v5, v4, s13
                                        ; implicit-def: $vgpr4_vgpr5
; %bb.23:                               ;   in Loop: Header=BB139_15 Depth=1
	s_andn2_saveexec_b64 s[4:5], s[2:3]
	s_cbranch_execz .LBB139_14
; %bb.24:                               ;   in Loop: Header=BB139_15 Depth=1
	v_or_b32_e32 v4, 0x10000, v5
	v_cmp_eq_u32_sdwa s[2:3], v5, v10 src0_sel:WORD_0 src1_sel:DWORD
	v_cndmask_b32_e64 v11, v4, v5, s[2:3]
	s_branch .LBB139_14
.LBB139_25:
	s_endpgm
	.section	.rodata,"a",@progbits
	.p2align	6, 0x0
	.amdhsa_kernel _ZN12tensorrt_llm7kernels32fusedQKNormRopeKernelNTokenHeadsIN3c108BFloat16ES3_Li64ELb0ELi8EEEvPviiifPKvS6_S6_PKlii
		.amdhsa_group_segment_fixed_size 0
		.amdhsa_private_segment_fixed_size 0
		.amdhsa_kernarg_size 320
		.amdhsa_user_sgpr_count 6
		.amdhsa_user_sgpr_private_segment_buffer 1
		.amdhsa_user_sgpr_dispatch_ptr 0
		.amdhsa_user_sgpr_queue_ptr 0
		.amdhsa_user_sgpr_kernarg_segment_ptr 1
		.amdhsa_user_sgpr_dispatch_id 0
		.amdhsa_user_sgpr_flat_scratch_init 0
		.amdhsa_user_sgpr_kernarg_preload_length 0
		.amdhsa_user_sgpr_kernarg_preload_offset 0
		.amdhsa_user_sgpr_private_segment_size 0
		.amdhsa_uses_dynamic_stack 0
		.amdhsa_system_sgpr_private_segment_wavefront_offset 0
		.amdhsa_system_sgpr_workgroup_id_x 1
		.amdhsa_system_sgpr_workgroup_id_y 0
		.amdhsa_system_sgpr_workgroup_id_z 0
		.amdhsa_system_sgpr_workgroup_info 0
		.amdhsa_system_vgpr_workitem_id 0
		.amdhsa_next_free_vgpr 28
		.amdhsa_next_free_sgpr 24
		.amdhsa_accum_offset 28
		.amdhsa_reserve_vcc 1
		.amdhsa_reserve_flat_scratch 0
		.amdhsa_float_round_mode_32 0
		.amdhsa_float_round_mode_16_64 0
		.amdhsa_float_denorm_mode_32 3
		.amdhsa_float_denorm_mode_16_64 3
		.amdhsa_dx10_clamp 1
		.amdhsa_ieee_mode 1
		.amdhsa_fp16_overflow 0
		.amdhsa_tg_split 0
		.amdhsa_exception_fp_ieee_invalid_op 0
		.amdhsa_exception_fp_denorm_src 0
		.amdhsa_exception_fp_ieee_div_zero 0
		.amdhsa_exception_fp_ieee_overflow 0
		.amdhsa_exception_fp_ieee_underflow 0
		.amdhsa_exception_fp_ieee_inexact 0
		.amdhsa_exception_int_div_zero 0
	.end_amdhsa_kernel
	.section	.text._ZN12tensorrt_llm7kernels32fusedQKNormRopeKernelNTokenHeadsIN3c108BFloat16ES3_Li64ELb0ELi8EEEvPviiifPKvS6_S6_PKlii,"axG",@progbits,_ZN12tensorrt_llm7kernels32fusedQKNormRopeKernelNTokenHeadsIN3c108BFloat16ES3_Li64ELb0ELi8EEEvPviiifPKvS6_S6_PKlii,comdat
.Lfunc_end139:
	.size	_ZN12tensorrt_llm7kernels32fusedQKNormRopeKernelNTokenHeadsIN3c108BFloat16ES3_Li64ELb0ELi8EEEvPviiifPKvS6_S6_PKlii, .Lfunc_end139-_ZN12tensorrt_llm7kernels32fusedQKNormRopeKernelNTokenHeadsIN3c108BFloat16ES3_Li64ELb0ELi8EEEvPviiifPKvS6_S6_PKlii
                                        ; -- End function
	.section	.AMDGPU.csdata,"",@progbits
; Kernel info:
; codeLenInByte = 2172
; NumSgprs: 28
; NumVgprs: 28
; NumAgprs: 0
; TotalNumVgprs: 28
; ScratchSize: 0
; MemoryBound: 0
; FloatMode: 240
; IeeeMode: 1
; LDSByteSize: 0 bytes/workgroup (compile time only)
; SGPRBlocks: 3
; VGPRBlocks: 3
; NumSGPRsForWavesPerEU: 28
; NumVGPRsForWavesPerEU: 28
; AccumOffset: 28
; Occupancy: 8
; WaveLimiterHint : 0
; COMPUTE_PGM_RSRC2:SCRATCH_EN: 0
; COMPUTE_PGM_RSRC2:USER_SGPR: 6
; COMPUTE_PGM_RSRC2:TRAP_HANDLER: 0
; COMPUTE_PGM_RSRC2:TGID_X_EN: 1
; COMPUTE_PGM_RSRC2:TGID_Y_EN: 0
; COMPUTE_PGM_RSRC2:TGID_Z_EN: 0
; COMPUTE_PGM_RSRC2:TIDIG_COMP_CNT: 0
; COMPUTE_PGM_RSRC3_GFX90A:ACCUM_OFFSET: 6
; COMPUTE_PGM_RSRC3_GFX90A:TG_SPLIT: 0
	.section	.text._ZN12tensorrt_llm7kernels32fusedQKNormRopeKernelNTokenHeadsIN3c108BFloat16ES3_Li128ELb1ELi8EEEvPviiifPKvS6_S6_PKlii,"axG",@progbits,_ZN12tensorrt_llm7kernels32fusedQKNormRopeKernelNTokenHeadsIN3c108BFloat16ES3_Li128ELb1ELi8EEEvPviiifPKvS6_S6_PKlii,comdat
	.protected	_ZN12tensorrt_llm7kernels32fusedQKNormRopeKernelNTokenHeadsIN3c108BFloat16ES3_Li128ELb1ELi8EEEvPviiifPKvS6_S6_PKlii ; -- Begin function _ZN12tensorrt_llm7kernels32fusedQKNormRopeKernelNTokenHeadsIN3c108BFloat16ES3_Li128ELb1ELi8EEEvPviiifPKvS6_S6_PKlii
	.globl	_ZN12tensorrt_llm7kernels32fusedQKNormRopeKernelNTokenHeadsIN3c108BFloat16ES3_Li128ELb1ELi8EEEvPviiifPKvS6_S6_PKlii
	.p2align	8
	.type	_ZN12tensorrt_llm7kernels32fusedQKNormRopeKernelNTokenHeadsIN3c108BFloat16ES3_Li128ELb1ELi8EEEvPviiifPKvS6_S6_PKlii,@function
_ZN12tensorrt_llm7kernels32fusedQKNormRopeKernelNTokenHeadsIN3c108BFloat16ES3_Li128ELb1ELi8EEEvPviiifPKvS6_S6_PKlii: ; @_ZN12tensorrt_llm7kernels32fusedQKNormRopeKernelNTokenHeadsIN3c108BFloat16ES3_Li128ELb1ELi8EEEvPviiifPKvS6_S6_PKlii
; %bb.0:
	s_load_dwordx4 s[12:15], s[4:5], 0x8
	s_load_dwordx2 s[16:17], s[4:5], 0x38
	s_load_dword s1, s[4:5], 0x4c
	v_lshrrev_b32_e32 v2, 5, v0
	s_waitcnt lgkmcnt(0)
	s_add_i32 s0, s13, s12
	s_add_i32 s2, s0, 7
	s_ashr_i32 s3, s2, 31
	s_lshr_b32 s3, s3, 29
	s_add_i32 s2, s2, s3
	s_ashr_i32 s20, s2, 3
	s_abs_i32 s2, s20
	v_cvt_f32_u32_e32 v1, s2
	s_bfe_u32 s1, s1, 0xb0005
	s_mul_i32 s6, s6, s1
	s_sub_i32 s3, 0, s2
	v_rcp_iflag_f32_e32 v3, v1
	v_add_u32_e32 v1, s6, v2
	v_sub_u32_e32 v4, 0, v1
	v_max_i32_e32 v4, v1, v4
	v_mul_f32_e32 v3, 0x4f7ffffe, v3
	v_cvt_u32_f32_e32 v3, v3
	v_xor_b32_e32 v5, s20, v1
	v_ashrrev_i32_e32 v5, 31, v5
	v_mul_lo_u32 v6, s3, v3
	v_mul_hi_u32 v6, v3, v6
	v_add_u32_e32 v3, v3, v6
	v_mul_hi_u32 v3, v4, v3
	v_mul_lo_u32 v6, v3, s2
	v_sub_u32_e32 v4, v4, v6
	v_add_u32_e32 v6, 1, v3
	v_cmp_le_u32_e32 vcc, s2, v4
	v_cndmask_b32_e32 v3, v3, v6, vcc
	v_subrev_u32_e32 v6, s2, v4
	v_cndmask_b32_e32 v4, v4, v6, vcc
	v_add_u32_e32 v6, 1, v3
	v_cmp_le_u32_e32 vcc, s2, v4
	v_cndmask_b32_e32 v3, v3, v6, vcc
	v_xor_b32_e32 v3, v3, v5
	v_sub_u32_e32 v4, v3, v5
	v_cmp_gt_i32_e32 vcc, s16, v4
	s_and_saveexec_b64 s[2:3], vcc
	s_cbranch_execz .LBB140_28
; %bb.1:
	v_and_b32_e32 v6, 31, v0
	v_mul_lo_u32 v0, v4, s20
	v_sub_u32_e32 v0, v1, v0
	s_load_dwordx2 s[2:3], s[4:5], 0x0
	v_lshlrev_b32_e32 v10, 3, v0
	v_add_u32_e32 v0, 8, v10
	v_sub_u32_e32 v3, s0, v10
	v_cmp_lt_i32_e32 vcc, s0, v0
	v_cndmask_b32_e32 v11, 8, v3, vcc
	s_lshl_b32 s18, s17, 1
	s_mul_i32 s16, s18, s1
	v_lshlrev_b32_e32 v9, 11, v2
	v_cmp_lt_i32_e64 s[0:1], 0, v11
	v_lshlrev_b32_e32 v8, 3, v6
	v_lshlrev_b32_e32 v7, 10, v1
	s_and_saveexec_b64 s[6:7], s[0:1]
	s_cbranch_execz .LBB140_4
; %bb.2:
	s_add_i32 s8, s16, 0
	v_add3_u32 v3, s8, v9, v8
	s_add_i32 s8, s14, s13
	s_add_i32 s8, s8, s12
	s_lshl_b32 s9, s20, 3
	s_sub_i32 s8, s8, s9
	v_mul_lo_u32 v0, s8, v4
	v_lshl_add_u32 v0, v0, 7, v7
	s_mov_b32 s10, 0
	v_lshl_or_b32 v0, v6, 2, v0
	s_mov_b64 s[8:9], 0
	s_waitcnt lgkmcnt(0)
	v_mov_b32_e32 v5, s3
.LBB140_3:                              ; =>This Inner Loop Header: Depth=1
	v_ashrrev_i32_e32 v1, 31, v0
	v_lshlrev_b64 v[12:13], 1, v[0:1]
	v_add_co_u32_e32 v12, vcc, s2, v12
	v_addc_co_u32_e32 v13, vcc, v5, v13, vcc
	global_load_dwordx2 v[12:13], v[12:13], off
	s_add_i32 s10, s10, 1
	v_cmp_ge_i32_e32 vcc, s10, v11
	v_add_u32_e32 v0, 0x80, v0
	s_or_b64 s[8:9], vcc, s[8:9]
	s_waitcnt vmcnt(0)
	ds_write_b64 v3, v[12:13]
	v_add_u32_e32 v3, 0x100, v3
	s_andn2_b64 exec, exec, s[8:9]
	s_cbranch_execnz .LBB140_3
.LBB140_4:
	s_or_b64 exec, exec, s[6:7]
	s_add_i32 s18, s18, 15
	s_load_dwordx8 s[4:11], s[4:5], 0x18
	s_ashr_i32 s19, s18, 31
	s_lshr_b32 s19, s19, 28
	s_add_i32 s18, s18, s19
	s_ashr_i32 s21, s18, 4
	v_mul_lo_u32 v0, v2, s17
	v_cmp_gt_i32_e32 vcc, s21, v6
	v_lshlrev_b32_e32 v13, 1, v0
	s_and_saveexec_b64 s[18:19], vcc
	s_cbranch_execz .LBB140_7
; %bb.5:
	v_ashrrev_i32_e32 v5, 31, v4
	v_lshlrev_b64 v[0:1], 3, v[4:5]
	s_waitcnt lgkmcnt(0)
	v_mov_b32_e32 v2, s11
	v_add_co_u32_e32 v0, vcc, s10, v0
	v_addc_co_u32_e32 v1, vcc, v2, v1, vcc
	global_load_dwordx2 v[0:1], v[0:1], off
	s_ashr_i32 s22, s17, 31
	v_lshlrev_b32_e32 v3, 4, v6
	v_mov_b32_e32 v5, s9
	s_mov_b64 s[10:11], 0
	v_add3_u32 v2, v13, v3, 0
	s_waitcnt vmcnt(0)
	v_mul_lo_u32 v12, v1, s17
	v_mul_lo_u32 v14, v0, s22
	v_mad_u64_u32 v[0:1], s[22:23], v0, s17, 0
	v_add3_u32 v1, v1, v14, v12
	v_lshlrev_b64 v[0:1], 1, v[0:1]
	v_add_co_u32_e32 v0, vcc, v0, v3
	v_addc_co_u32_e32 v1, vcc, 0, v1, vcc
	v_add_co_u32_e32 v0, vcc, s8, v0
	v_addc_co_u32_e32 v1, vcc, v5, v1, vcc
	v_mov_b32_e32 v3, v6
.LBB140_6:                              ; =>This Inner Loop Header: Depth=1
	global_load_dwordx4 v[14:17], v[0:1], off
	v_add_co_u32_e32 v0, vcc, 0x200, v0
	v_add_u32_e32 v3, 32, v3
	v_addc_co_u32_e32 v1, vcc, 0, v1, vcc
	v_cmp_le_i32_e32 vcc, s21, v3
	s_or_b64 s[10:11], vcc, s[10:11]
	s_waitcnt vmcnt(0)
	ds_write_b128 v2, v[14:17]
	v_add_u32_e32 v2, 0x200, v2
	s_andn2_b64 exec, exec, s[10:11]
	s_cbranch_execnz .LBB140_6
.LBB140_7:
	s_or_b64 exec, exec, s[18:19]
	s_and_b64 exec, exec, s[0:1]
	s_cbranch_execz .LBB140_28
; %bb.8:
	s_waitcnt lgkmcnt(0)
	global_load_dwordx2 v[0:1], v8, s[4:5]
	global_load_dwordx2 v[2:3], v8, s[6:7]
	v_mbcnt_lo_u32_b32 v14, -1, 0
	v_add_u32_e32 v9, s16, v9
	v_mbcnt_hi_u32_b32 v16, -1, v14
	v_add3_u32 v14, v9, v8, 0
	v_and_b32_e32 v8, 0x60, v16
	v_xor_b32_e32 v9, 16, v16
	v_add_u32_e32 v8, 32, v8
	v_xor_b32_e32 v17, 8, v16
	v_cmp_lt_i32_e32 vcc, v9, v8
	s_add_i32 s6, s14, s13
	v_xor_b32_e32 v18, 4, v16
	v_cndmask_b32_e32 v9, v16, v9, vcc
	v_cmp_lt_i32_e32 vcc, v17, v8
	s_ashr_i32 s1, s17, 31
	s_lshl_b32 s7, s20, 3
	s_add_i32 s6, s6, s12
	v_xor_b32_e32 v19, 2, v16
	v_cndmask_b32_e32 v17, v16, v17, vcc
	v_cmp_lt_i32_e32 vcc, v18, v8
	s_lshr_b32 s0, s17, 31
	s_lshr_b32 s1, s1, 30
	v_xor_b32_e32 v20, 1, v16
	s_sub_i32 s6, s6, s7
	v_cndmask_b32_e32 v18, v16, v18, vcc
	v_cmp_lt_i32_e32 vcc, v19, v8
	v_lshlrev_b32_e32 v5, 2, v6
	s_add_i32 s0, s17, s0
	s_add_i32 s1, s17, s1
	v_mul_lo_u32 v4, s6, v4
	v_cndmask_b32_e32 v19, v16, v19, vcc
	v_cmp_lt_i32_e32 vcc, v20, v8
	v_add3_u32 v13, 0, v13, v5
	s_and_b32 s0, s0, -2
	s_ashr_i32 s1, s1, 2
	v_cndmask_b32_e32 v8, v16, v20, vcc
	v_lshl_add_u32 v4, v4, 7, v7
	s_mov_b32 s8, 0
	s_mov_b64 s[4:5], 0
	s_mov_b32 s9, 0xffff0000
	v_mov_b32_e32 v12, s15
	s_mov_b32 s10, 0x800000
	s_mov_b32 s11, 0x7f800000
	s_movk_i32 s13, 0x7fff
	v_add_u32_e32 v15, s0, v13
	v_cmp_gt_i32_e32 vcc, s1, v6
	v_lshlrev_b32_e32 v16, 2, v9
	v_lshlrev_b32_e32 v17, 2, v17
	;; [unrolled: 1-line block ×5, first 2 shown]
	v_or_b32_e32 v4, v4, v5
	v_mov_b32_e32 v25, 0
	s_waitcnt vmcnt(1)
	v_lshrrev_b32_e32 v21, 16, v0
	s_waitcnt vmcnt(0)
	v_lshrrev_b32_e32 v22, 16, v2
	v_lshrrev_b32_e32 v23, 16, v1
	;; [unrolled: 1-line block ×3, first 2 shown]
	s_branch .LBB140_10
.LBB140_9:                              ;   in Loop: Header=BB140_10 Depth=1
	s_or_b64 exec, exec, s[6:7]
	v_lshrrev_b32_e32 v28, 16, v5
	v_ashrrev_i32_e32 v5, 31, v4
	v_lshlrev_b64 v[26:27], 1, v[4:5]
	v_mov_b32_e32 v5, s3
	v_add_co_u32_e64 v26, s[0:1], s2, v26
	v_addc_co_u32_e64 v27, s[0:1], v5, v27, s[0:1]
	s_add_i32 s8, s8, 1
	v_and_b32_e32 v5, 0xffff0000, v6
	v_cmp_ge_i32_e64 s[0:1], s8, v11
	v_or_b32_sdwa v7, v5, v9 dst_sel:DWORD dst_unused:UNUSED_PAD src0_sel:DWORD src1_sel:WORD_1
	v_and_or_b32 v6, v8, s9, v28
	v_add_u32_e32 v4, 0x80, v4
	s_or_b64 s[4:5], s[0:1], s[4:5]
	v_add_u32_e32 v14, 0x100, v14
	global_store_dwordx2 v[26:27], v[6:7], off
	s_andn2_b64 exec, exec, s[4:5]
	s_cbranch_execz .LBB140_28
.LBB140_10:                             ; =>This Inner Loop Header: Depth=1
	ds_read_b64 v[6:7], v14
	s_waitcnt lgkmcnt(0)
	v_alignbit_b32 v5, v7, v6, 16
	v_lshlrev_b32_e32 v8, 16, v6
	v_and_b32_e32 v9, 0xffff0000, v6
	v_and_b32_e32 v7, 0xffff0000, v7
	;; [unrolled: 1-line block ×3, first 2 shown]
	v_pk_mul_f32 v[26:27], v[8:9], v[8:9]
	v_pk_mul_f32 v[28:29], v[6:7], v[6:7]
	v_add_f32_e32 v5, v26, v27
	v_add_f32_e32 v5, v5, v28
	;; [unrolled: 1-line block ×3, first 2 shown]
	ds_bpermute_b32 v26, v16, v5
	v_add_u32_e32 v27, s8, v10
	v_mov_b32_e32 v28, v12
	v_cmp_gt_i32_e64 s[0:1], s12, v27
	v_cndmask_b32_e64 v27, v22, v21, s[0:1]
	s_waitcnt lgkmcnt(0)
	v_add_f32_e32 v5, v5, v26
	ds_bpermute_b32 v26, v17, v5
	v_cndmask_b32_e64 v29, v2, v0, s[0:1]
	v_cndmask_b32_e64 v30, v24, v23, s[0:1]
	;; [unrolled: 1-line block ×3, first 2 shown]
	v_lshlrev_b32_e32 v27, 16, v27
	s_waitcnt lgkmcnt(0)
	v_add_f32_e32 v5, v5, v26
	ds_bpermute_b32 v26, v18, v5
	s_waitcnt lgkmcnt(0)
	v_add_f32_e32 v5, v5, v26
	ds_bpermute_b32 v26, v19, v5
	s_waitcnt lgkmcnt(0)
	v_add_f32_e32 v5, v5, v26
	ds_bpermute_b32 v26, v20, v5
	s_waitcnt lgkmcnt(0)
	v_add_f32_e32 v5, v5, v26
	v_fmac_f32_e32 v28, 0x3c000000, v5
	v_mul_f32_e32 v5, 0x4b800000, v28
	v_cmp_gt_f32_e64 s[0:1], s10, v28
	v_cndmask_b32_e64 v5, v28, v5, s[0:1]
	v_rsq_f32_e32 v5, v5
	v_lshlrev_b32_e32 v26, 16, v29
	v_lshlrev_b32_e32 v29, 16, v30
	;; [unrolled: 1-line block ×3, first 2 shown]
	v_mul_f32_e32 v30, 0x45800000, v5
	v_cndmask_b32_e64 v30, v5, v30, s[0:1]
	v_pk_mul_f32 v[26:27], v[30:31], v[26:27] op_sel_hi:[0,1]
	v_pk_mul_f32 v[28:29], v[30:31], v[28:29] op_sel_hi:[0,1]
	v_pk_mul_f32 v[8:9], v[26:27], v[8:9]
	v_pk_mul_f32 v[6:7], v[28:29], v[6:7]
	s_and_saveexec_b64 s[0:1], vcc
	s_cbranch_execz .LBB140_12
; %bb.11:                               ;   in Loop: Header=BB140_10 Depth=1
	ds_read_u16 v5, v13
	ds_read_u16 v27, v15
	ds_read_u16 v32, v13 offset:2
	ds_read_u16 v33, v15 offset:2
	s_waitcnt lgkmcnt(3)
	v_lshlrev_b32_e32 v26, 16, v5
	s_waitcnt lgkmcnt(2)
	v_lshlrev_b32_e32 v28, 16, v27
	v_pk_mul_f32 v[28:29], v[8:9], v[28:29] op_sel_hi:[1,0]
	v_pk_mul_f32 v[30:31], v[8:9], v[26:27] op_sel_hi:[1,0]
	v_pk_fma_f32 v[8:9], v[8:9], v[26:27], v[28:29] op_sel:[0,0,1] op_sel_hi:[1,0,0]
	s_waitcnt lgkmcnt(1)
	v_lshlrev_b32_e32 v27, 16, v32
	s_waitcnt lgkmcnt(0)
	v_lshlrev_b32_e32 v26, 16, v33
	v_mov_b32_e32 v28, v7
	v_mov_b32_e32 v8, v27
	v_pk_mul_f32 v[32:33], v[28:29], v[26:27]
	v_pk_mul_f32 v[34:35], v[6:7], v[26:27]
	v_pk_fma_f32 v[32:33], v[6:7], v[8:9], v[32:33] op_sel_hi:[1,0,1] neg_lo:[0,0,1] neg_hi:[0,0,1]
	v_mov_b32_e32 v8, v35
	v_pk_fma_f32 v[26:27], v[6:7], v[26:27], v[8:9]
	v_sub_f32_e32 v8, v30, v29
	v_mov_b32_e32 v6, v32
	v_mov_b32_e32 v7, v26
.LBB140_12:                             ;   in Loop: Header=BB140_10 Depth=1
	s_or_b64 exec, exec, s[0:1]
	v_and_b32_e32 v5, 0x7f800000, v8
	v_cmp_ne_u32_e64 s[0:1], s11, v5
                                        ; implicit-def: $vgpr5
	s_and_saveexec_b64 s[6:7], s[0:1]
	s_xor_b64 s[0:1], exec, s[6:7]
; %bb.13:                               ;   in Loop: Header=BB140_10 Depth=1
	v_bfe_u32 v5, v8, 16, 1
	v_add3_u32 v5, v8, v5, s13
; %bb.14:                               ;   in Loop: Header=BB140_10 Depth=1
	s_andn2_saveexec_b64 s[6:7], s[0:1]
; %bb.15:                               ;   in Loop: Header=BB140_10 Depth=1
	v_or_b32_e32 v5, 0x10000, v8
	v_cmp_eq_u32_sdwa s[0:1], v8, v25 src0_sel:WORD_0 src1_sel:DWORD
	v_cndmask_b32_e64 v5, v5, v8, s[0:1]
; %bb.16:                               ;   in Loop: Header=BB140_10 Depth=1
	s_or_b64 exec, exec, s[6:7]
	v_and_b32_e32 v8, 0x7f800000, v9
	v_cmp_ne_u32_e64 s[0:1], s11, v8
                                        ; implicit-def: $vgpr8
	s_and_saveexec_b64 s[6:7], s[0:1]
	s_xor_b64 s[0:1], exec, s[6:7]
; %bb.17:                               ;   in Loop: Header=BB140_10 Depth=1
	v_bfe_u32 v8, v9, 16, 1
	v_add3_u32 v8, v9, v8, s13
                                        ; implicit-def: $vgpr9
; %bb.18:                               ;   in Loop: Header=BB140_10 Depth=1
	s_andn2_saveexec_b64 s[6:7], s[0:1]
; %bb.19:                               ;   in Loop: Header=BB140_10 Depth=1
	v_or_b32_e32 v8, 0x10000, v9
	v_cmp_eq_u32_sdwa s[0:1], v9, v25 src0_sel:WORD_0 src1_sel:DWORD
	v_cndmask_b32_e64 v8, v8, v9, s[0:1]
; %bb.20:                               ;   in Loop: Header=BB140_10 Depth=1
	s_or_b64 exec, exec, s[6:7]
	v_and_b32_e32 v9, 0x7f800000, v6
	v_cmp_ne_u32_e64 s[0:1], s11, v9
                                        ; implicit-def: $vgpr9
	s_and_saveexec_b64 s[6:7], s[0:1]
	s_xor_b64 s[0:1], exec, s[6:7]
; %bb.21:                               ;   in Loop: Header=BB140_10 Depth=1
	v_bfe_u32 v9, v6, 16, 1
	v_add3_u32 v9, v6, v9, s13
; %bb.22:                               ;   in Loop: Header=BB140_10 Depth=1
	s_andn2_saveexec_b64 s[6:7], s[0:1]
; %bb.23:                               ;   in Loop: Header=BB140_10 Depth=1
	v_or_b32_e32 v9, 0x10000, v6
	v_cmp_eq_u32_sdwa s[0:1], v6, v25 src0_sel:WORD_0 src1_sel:DWORD
	v_cndmask_b32_e64 v9, v9, v6, s[0:1]
; %bb.24:                               ;   in Loop: Header=BB140_10 Depth=1
	s_or_b64 exec, exec, s[6:7]
	v_and_b32_e32 v6, 0x7f800000, v7
	v_cmp_ne_u32_e64 s[0:1], s11, v6
                                        ; implicit-def: $vgpr6
	s_and_saveexec_b64 s[6:7], s[0:1]
	s_xor_b64 s[0:1], exec, s[6:7]
; %bb.25:                               ;   in Loop: Header=BB140_10 Depth=1
	v_bfe_u32 v6, v7, 16, 1
	v_add3_u32 v6, v7, v6, s13
                                        ; implicit-def: $vgpr7
; %bb.26:                               ;   in Loop: Header=BB140_10 Depth=1
	s_andn2_saveexec_b64 s[6:7], s[0:1]
	s_cbranch_execz .LBB140_9
; %bb.27:                               ;   in Loop: Header=BB140_10 Depth=1
	v_or_b32_e32 v6, 0x10000, v7
	v_cmp_eq_u32_sdwa s[0:1], v7, v25 src0_sel:WORD_0 src1_sel:DWORD
	v_cndmask_b32_e64 v6, v6, v7, s[0:1]
	s_branch .LBB140_9
.LBB140_28:
	s_endpgm
	.section	.rodata,"a",@progbits
	.p2align	6, 0x0
	.amdhsa_kernel _ZN12tensorrt_llm7kernels32fusedQKNormRopeKernelNTokenHeadsIN3c108BFloat16ES3_Li128ELb1ELi8EEEvPviiifPKvS6_S6_PKlii
		.amdhsa_group_segment_fixed_size 0
		.amdhsa_private_segment_fixed_size 0
		.amdhsa_kernarg_size 320
		.amdhsa_user_sgpr_count 6
		.amdhsa_user_sgpr_private_segment_buffer 1
		.amdhsa_user_sgpr_dispatch_ptr 0
		.amdhsa_user_sgpr_queue_ptr 0
		.amdhsa_user_sgpr_kernarg_segment_ptr 1
		.amdhsa_user_sgpr_dispatch_id 0
		.amdhsa_user_sgpr_flat_scratch_init 0
		.amdhsa_user_sgpr_kernarg_preload_length 0
		.amdhsa_user_sgpr_kernarg_preload_offset 0
		.amdhsa_user_sgpr_private_segment_size 0
		.amdhsa_uses_dynamic_stack 0
		.amdhsa_system_sgpr_private_segment_wavefront_offset 0
		.amdhsa_system_sgpr_workgroup_id_x 1
		.amdhsa_system_sgpr_workgroup_id_y 0
		.amdhsa_system_sgpr_workgroup_id_z 0
		.amdhsa_system_sgpr_workgroup_info 0
		.amdhsa_system_vgpr_workitem_id 0
		.amdhsa_next_free_vgpr 36
		.amdhsa_next_free_sgpr 24
		.amdhsa_accum_offset 36
		.amdhsa_reserve_vcc 1
		.amdhsa_reserve_flat_scratch 0
		.amdhsa_float_round_mode_32 0
		.amdhsa_float_round_mode_16_64 0
		.amdhsa_float_denorm_mode_32 3
		.amdhsa_float_denorm_mode_16_64 3
		.amdhsa_dx10_clamp 1
		.amdhsa_ieee_mode 1
		.amdhsa_fp16_overflow 0
		.amdhsa_tg_split 0
		.amdhsa_exception_fp_ieee_invalid_op 0
		.amdhsa_exception_fp_denorm_src 0
		.amdhsa_exception_fp_ieee_div_zero 0
		.amdhsa_exception_fp_ieee_overflow 0
		.amdhsa_exception_fp_ieee_underflow 0
		.amdhsa_exception_fp_ieee_inexact 0
		.amdhsa_exception_int_div_zero 0
	.end_amdhsa_kernel
	.section	.text._ZN12tensorrt_llm7kernels32fusedQKNormRopeKernelNTokenHeadsIN3c108BFloat16ES3_Li128ELb1ELi8EEEvPviiifPKvS6_S6_PKlii,"axG",@progbits,_ZN12tensorrt_llm7kernels32fusedQKNormRopeKernelNTokenHeadsIN3c108BFloat16ES3_Li128ELb1ELi8EEEvPviiifPKvS6_S6_PKlii,comdat
.Lfunc_end140:
	.size	_ZN12tensorrt_llm7kernels32fusedQKNormRopeKernelNTokenHeadsIN3c108BFloat16ES3_Li128ELb1ELi8EEEvPviiifPKvS6_S6_PKlii, .Lfunc_end140-_ZN12tensorrt_llm7kernels32fusedQKNormRopeKernelNTokenHeadsIN3c108BFloat16ES3_Li128ELb1ELi8EEEvPviiifPKvS6_S6_PKlii
                                        ; -- End function
	.section	.AMDGPU.csdata,"",@progbits
; Kernel info:
; codeLenInByte = 1848
; NumSgprs: 28
; NumVgprs: 36
; NumAgprs: 0
; TotalNumVgprs: 36
; ScratchSize: 0
; MemoryBound: 0
; FloatMode: 240
; IeeeMode: 1
; LDSByteSize: 0 bytes/workgroup (compile time only)
; SGPRBlocks: 3
; VGPRBlocks: 4
; NumSGPRsForWavesPerEU: 28
; NumVGPRsForWavesPerEU: 36
; AccumOffset: 36
; Occupancy: 8
; WaveLimiterHint : 0
; COMPUTE_PGM_RSRC2:SCRATCH_EN: 0
; COMPUTE_PGM_RSRC2:USER_SGPR: 6
; COMPUTE_PGM_RSRC2:TRAP_HANDLER: 0
; COMPUTE_PGM_RSRC2:TGID_X_EN: 1
; COMPUTE_PGM_RSRC2:TGID_Y_EN: 0
; COMPUTE_PGM_RSRC2:TGID_Z_EN: 0
; COMPUTE_PGM_RSRC2:TIDIG_COMP_CNT: 0
; COMPUTE_PGM_RSRC3_GFX90A:ACCUM_OFFSET: 8
; COMPUTE_PGM_RSRC3_GFX90A:TG_SPLIT: 0
	.section	.text._ZN12tensorrt_llm7kernels32fusedQKNormRopeKernelNTokenHeadsIN3c108BFloat16ES3_Li128ELb0ELi8EEEvPviiifPKvS6_S6_PKlii,"axG",@progbits,_ZN12tensorrt_llm7kernels32fusedQKNormRopeKernelNTokenHeadsIN3c108BFloat16ES3_Li128ELb0ELi8EEEvPviiifPKvS6_S6_PKlii,comdat
	.protected	_ZN12tensorrt_llm7kernels32fusedQKNormRopeKernelNTokenHeadsIN3c108BFloat16ES3_Li128ELb0ELi8EEEvPviiifPKvS6_S6_PKlii ; -- Begin function _ZN12tensorrt_llm7kernels32fusedQKNormRopeKernelNTokenHeadsIN3c108BFloat16ES3_Li128ELb0ELi8EEEvPviiifPKvS6_S6_PKlii
	.globl	_ZN12tensorrt_llm7kernels32fusedQKNormRopeKernelNTokenHeadsIN3c108BFloat16ES3_Li128ELb0ELi8EEEvPviiifPKvS6_S6_PKlii
	.p2align	8
	.type	_ZN12tensorrt_llm7kernels32fusedQKNormRopeKernelNTokenHeadsIN3c108BFloat16ES3_Li128ELb0ELi8EEEvPviiifPKvS6_S6_PKlii,@function
_ZN12tensorrt_llm7kernels32fusedQKNormRopeKernelNTokenHeadsIN3c108BFloat16ES3_Li128ELb0ELi8EEEvPviiifPKvS6_S6_PKlii: ; @_ZN12tensorrt_llm7kernels32fusedQKNormRopeKernelNTokenHeadsIN3c108BFloat16ES3_Li128ELb0ELi8EEEvPviiifPKvS6_S6_PKlii
; %bb.0:
	s_load_dwordx4 s[12:15], s[4:5], 0x8
	s_load_dwordx2 s[2:3], s[4:5], 0x38
	s_load_dword s1, s[4:5], 0x4c
	v_lshrrev_b32_e32 v3, 5, v0
	s_waitcnt lgkmcnt(0)
	s_add_i32 s0, s13, s12
	s_add_i32 s7, s0, 7
	s_ashr_i32 s8, s7, 31
	s_lshr_b32 s8, s8, 29
	s_add_i32 s7, s7, s8
	s_ashr_i32 s20, s7, 3
	s_abs_i32 s7, s20
	v_cvt_f32_u32_e32 v1, s7
	s_bfe_u32 s1, s1, 0xb0005
	s_mul_i32 s6, s6, s1
	v_rcp_iflag_f32_e32 v2, v1
	v_add_u32_e32 v1, s6, v3
	s_sub_i32 s6, 0, s7
	v_sub_u32_e32 v4, 0, v1
	v_mul_f32_e32 v2, 0x4f7ffffe, v2
	v_cvt_u32_f32_e32 v2, v2
	v_max_i32_e32 v4, v1, v4
	v_xor_b32_e32 v5, s20, v1
	v_ashrrev_i32_e32 v5, 31, v5
	v_mul_lo_u32 v6, s6, v2
	v_mul_hi_u32 v6, v2, v6
	v_add_u32_e32 v2, v2, v6
	v_mul_hi_u32 v2, v4, v2
	v_mul_lo_u32 v6, v2, s7
	v_sub_u32_e32 v4, v4, v6
	v_add_u32_e32 v6, 1, v2
	v_cmp_le_u32_e32 vcc, s7, v4
	v_cndmask_b32_e32 v2, v2, v6, vcc
	v_subrev_u32_e32 v6, s7, v4
	v_cndmask_b32_e32 v4, v4, v6, vcc
	v_add_u32_e32 v6, 1, v2
	v_cmp_le_u32_e32 vcc, s7, v4
	v_cndmask_b32_e32 v2, v2, v6, vcc
	v_xor_b32_e32 v2, v2, v5
	v_sub_u32_e32 v2, v2, v5
	v_cmp_gt_i32_e32 vcc, s2, v2
	s_and_saveexec_b64 s[6:7], vcc
	s_cbranch_execz .LBB141_28
; %bb.1:
	v_and_b32_e32 v8, 31, v0
	v_mul_lo_u32 v0, v2, s20
	v_sub_u32_e32 v0, v1, v0
	s_load_dwordx2 s[16:17], s[4:5], 0x0
	v_lshlrev_b32_e32 v10, 3, v0
	v_add_u32_e32 v0, 8, v10
	v_sub_u32_e32 v4, s0, v10
	v_cmp_lt_i32_e32 vcc, s0, v0
	v_cndmask_b32_e32 v11, 8, v4, vcc
	s_lshl_b32 s2, s3, 1
	s_mul_i32 s21, s2, s1
	v_lshlrev_b32_e32 v9, 11, v3
	v_cmp_lt_i32_e64 s[0:1], 0, v11
	v_lshlrev_b32_e32 v28, 3, v8
	v_lshlrev_b32_e32 v29, 10, v1
	s_and_saveexec_b64 s[6:7], s[0:1]
	s_cbranch_execz .LBB141_4
; %bb.2:
	s_add_i32 s8, s21, 0
	v_add3_u32 v4, s8, v9, v28
	s_add_i32 s8, s14, s13
	s_add_i32 s8, s8, s12
	s_lshl_b32 s9, s20, 3
	s_sub_i32 s8, s8, s9
	v_mul_lo_u32 v0, s8, v2
	v_lshl_add_u32 v0, v0, 7, v29
	s_mov_b32 s10, 0
	v_lshl_or_b32 v0, v8, 2, v0
	s_mov_b64 s[8:9], 0
	s_waitcnt lgkmcnt(0)
	v_mov_b32_e32 v5, s17
.LBB141_3:                              ; =>This Inner Loop Header: Depth=1
	v_ashrrev_i32_e32 v1, 31, v0
	v_lshlrev_b64 v[6:7], 1, v[0:1]
	v_add_co_u32_e32 v6, vcc, s16, v6
	v_addc_co_u32_e32 v7, vcc, v5, v7, vcc
	global_load_dwordx2 v[6:7], v[6:7], off
	s_add_i32 s10, s10, 1
	v_cmp_ge_i32_e32 vcc, s10, v11
	v_add_u32_e32 v0, 0x80, v0
	s_or_b64 s[8:9], vcc, s[8:9]
	s_waitcnt vmcnt(0)
	ds_write_b64 v4, v[6:7]
	v_add_u32_e32 v4, 0x100, v4
	s_andn2_b64 exec, exec, s[8:9]
	s_cbranch_execnz .LBB141_3
.LBB141_4:
	s_or_b64 exec, exec, s[6:7]
	s_add_i32 s2, s2, 15
	s_load_dwordx8 s[4:11], s[4:5], 0x18
	s_ashr_i32 s18, s2, 31
	s_lshr_b32 s18, s18, 28
	s_add_i32 s2, s2, s18
	s_ashr_i32 s2, s2, 4
	v_cmp_gt_i32_e32 vcc, s2, v8
	v_mul_lo_u32 v12, v3, s3
	s_and_saveexec_b64 s[18:19], vcc
	s_cbranch_execz .LBB141_7
; %bb.5:
	v_ashrrev_i32_e32 v3, 31, v2
	v_lshlrev_b64 v[0:1], 3, v[2:3]
	s_waitcnt lgkmcnt(0)
	v_mov_b32_e32 v3, s11
	v_add_co_u32_e32 v0, vcc, s10, v0
	v_addc_co_u32_e32 v1, vcc, v3, v1, vcc
	global_load_dwordx2 v[0:1], v[0:1], off
	s_ashr_i32 s22, s3, 31
	v_lshlrev_b32_e32 v4, 4, v8
	v_lshlrev_b32_e32 v3, 1, v12
	v_mov_b32_e32 v5, s9
	s_mov_b64 s[10:11], 0
	v_add3_u32 v3, v3, v4, 0
	s_waitcnt vmcnt(0)
	v_mul_lo_u32 v6, v1, s3
	v_mul_lo_u32 v7, v0, s22
	v_mad_u64_u32 v[0:1], s[22:23], v0, s3, 0
	v_add3_u32 v1, v1, v7, v6
	v_lshlrev_b64 v[0:1], 1, v[0:1]
	v_add_co_u32_e32 v0, vcc, v0, v4
	v_addc_co_u32_e32 v1, vcc, 0, v1, vcc
	v_add_co_u32_e32 v0, vcc, s8, v0
	v_addc_co_u32_e32 v1, vcc, v5, v1, vcc
	v_mov_b32_e32 v4, v8
.LBB141_6:                              ; =>This Inner Loop Header: Depth=1
	global_load_dwordx4 v[14:17], v[0:1], off
	v_add_co_u32_e32 v0, vcc, 0x200, v0
	v_add_u32_e32 v4, 32, v4
	v_addc_co_u32_e32 v1, vcc, 0, v1, vcc
	v_cmp_le_i32_e32 vcc, s2, v4
	s_or_b64 s[10:11], vcc, s[10:11]
	s_waitcnt vmcnt(0)
	ds_write_b128 v3, v[14:17]
	v_add_u32_e32 v3, 0x200, v3
	s_andn2_b64 exec, exec, s[10:11]
	s_cbranch_execnz .LBB141_6
.LBB141_7:
	s_or_b64 exec, exec, s[18:19]
	s_and_b64 exec, exec, s[0:1]
	s_cbranch_execz .LBB141_28
; %bb.8:
	s_waitcnt lgkmcnt(0)
	global_load_dwordx2 v[4:5], v28, s[4:5]
	global_load_dwordx2 v[6:7], v28, s[6:7]
	v_mbcnt_lo_u32_b32 v1, -1, 0
	s_abs_i32 s4, s3
	v_mbcnt_hi_u32_b32 v1, -1, v1
	v_cvt_f32_u32_e32 v14, s4
	v_lshl_add_u32 v0, v12, 1, 0
	v_and_b32_e32 v12, 0x60, v1
	v_xor_b32_e32 v13, 16, v1
	v_add_u32_e32 v12, 32, v12
	v_xor_b32_e32 v15, 8, v1
	v_cmp_lt_i32_e32 vcc, v13, v12
	v_xor_b32_e32 v16, 4, v1
	v_cndmask_b32_e32 v13, v1, v13, vcc
	v_cmp_lt_i32_e32 vcc, v15, v12
	v_rcp_iflag_f32_e32 v21, v14
	v_xor_b32_e32 v17, 2, v1
	v_cndmask_b32_e32 v15, v1, v15, vcc
	v_cmp_lt_i32_e32 vcc, v16, v12
	s_ashr_i32 s1, s3, 31
	v_xor_b32_e32 v18, 1, v1
	v_cndmask_b32_e32 v16, v1, v16, vcc
	v_cmp_lt_i32_e32 vcc, v17, v12
	s_lshr_b32 s2, s1, 30
	s_lshr_b32 s1, s1, 29
	v_cndmask_b32_e32 v17, v1, v17, vcc
	v_cmp_lt_i32_e32 vcc, v18, v12
	s_lshr_b32 s0, s3, 31
	s_add_i32 s1, s3, s1
	v_cndmask_b32_e32 v18, v1, v18, vcc
	v_lshlrev_b32_e32 v12, 2, v13
	v_lshlrev_b32_e32 v13, 2, v15
	;; [unrolled: 1-line block ×3, first 2 shown]
	v_mul_f32_e32 v17, 0x4f7ffffe, v21
	s_add_i32 s0, s3, s0
	v_and_b32_e32 v19, 64, v1
	s_ashr_i32 s1, s1, 3
	v_lshlrev_b32_e32 v14, 2, v16
	v_lshlrev_b32_e32 v16, 2, v18
	v_cvt_u32_f32_e32 v18, v17
	s_and_b32 s0, s0, -2
	s_add_i32 s2, s3, s2
	v_add_u32_e32 v19, 64, v19
	v_xor_b32_e32 v20, s1, v1
	v_add_u32_e32 v31, s0, v0
	s_ashr_i32 s0, s2, 2
	v_cmp_lt_i32_e64 s[2:3], v20, v19
	s_sub_i32 s5, 0, s4
	v_cndmask_b32_e64 v1, v1, v20, s[2:3]
	v_lshlrev_b32_e32 v17, 2, v1
	v_mul_lo_u32 v1, s5, v18
	v_mul_hi_u32 v1, v18, v1
	v_add_u32_e32 v1, v18, v1
	v_or_b32_e32 v3, 2, v28
	v_mul_hi_u32 v18, v28, v1
	v_mul_hi_u32 v19, v3, v1
	v_mul_lo_u32 v18, v18, s4
	v_mul_lo_u32 v19, v19, s4
	v_sub_u32_e32 v18, v28, v18
	v_sub_u32_e32 v3, v3, v19
	v_subrev_u32_e32 v19, s4, v18
	v_cmp_le_u32_e64 s[2:3], s4, v18
	v_subrev_u32_e32 v20, s4, v3
	v_cndmask_b32_e64 v18, v18, v19, s[2:3]
	v_cmp_le_u32_e64 s[2:3], s4, v3
	v_cndmask_b32_e64 v3, v3, v20, s[2:3]
	v_subrev_u32_e32 v19, s4, v18
	v_cmp_le_u32_e64 s[2:3], s4, v18
	v_cndmask_b32_e64 v18, v18, v19, s[2:3]
	v_subrev_u32_e32 v24, s4, v3
	v_cmp_le_u32_e64 s[2:3], s4, v3
	v_cndmask_b32_e64 v3, v3, v24, s[2:3]
	v_or_b32_e32 v26, 4, v28
	v_and_b32_e32 v3, -2, v3
	v_add_u32_e32 v24, v0, v3
	v_add_u32_e32 v25, v31, v3
	v_mul_hi_u32 v3, v26, v1
	v_mul_lo_u32 v3, v3, s4
	v_sub_u32_e32 v3, v26, v3
	v_subrev_u32_e32 v26, s4, v3
	v_cmp_le_u32_e64 s[2:3], s4, v3
	v_or_b32_e32 v30, 6, v28
	v_cndmask_b32_e64 v3, v3, v26, s[2:3]
	v_subrev_u32_e32 v26, s4, v3
	v_cmp_le_u32_e64 s[2:3], s4, v3
	v_mul_hi_u32 v1, v30, v1
	v_cndmask_b32_e64 v3, v3, v26, s[2:3]
	v_mul_lo_u32 v1, v1, s4
	v_and_b32_e32 v3, -2, v3
	v_sub_u32_e32 v1, v30, v1
	v_add_u32_e32 v26, v0, v3
	v_add_u32_e32 v27, v31, v3
	v_subrev_u32_e32 v3, s4, v1
	v_cmp_le_u32_e64 s[2:3], s4, v1
	v_cndmask_b32_e64 v1, v1, v3, s[2:3]
	v_subrev_u32_e32 v3, s4, v1
	v_cmp_le_u32_e64 s[2:3], s4, v1
	v_cndmask_b32_e64 v1, v1, v3, s[2:3]
	s_add_i32 s2, s14, s13
	s_add_i32 s2, s2, s12
	s_lshl_b32 s3, s20, 3
	v_and_b32_e32 v19, -2, v18
	v_and_b32_e32 v1, -2, v1
	s_sub_i32 s2, s2, s3
	v_add_u32_e32 v18, v0, v19
	v_add_u32_e32 v30, v0, v1
	v_mul_lo_u32 v0, s2, v2
	v_lshl_add_u32 v0, v0, 7, v29
	v_cmp_gt_i32_e32 vcc, s0, v8
	v_cmp_gt_i32_e64 s[0:1], s1, v8
	v_lshl_or_b32 v8, v8, 2, v0
	v_add_u32_e32 v0, s21, v9
	s_mov_b32 s8, 0
	v_add_u32_e32 v19, v31, v19
	s_waitcnt vmcnt(1)
	v_lshrrev_b32_e32 v20, 16, v4
	v_lshrrev_b32_e32 v21, 16, v5
	s_waitcnt vmcnt(0)
	v_lshrrev_b32_e32 v22, 16, v6
	v_lshrrev_b32_e32 v23, 16, v7
	v_add_u32_e32 v31, v31, v1
	v_add3_u32 v28, v0, v28, 0
	s_mov_b64 s[4:5], 0
	s_mov_b32 s9, 0xffff0000
	s_mov_b32 s10, 0x800000
	;; [unrolled: 1-line block ×3, first 2 shown]
	s_movk_i32 s13, 0x7fff
	v_mov_b32_e32 v29, s15
	v_mov_b32_e32 v32, 0
	s_branch .LBB141_10
.LBB141_9:                              ;   in Loop: Header=BB141_10 Depth=1
	s_or_b64 exec, exec, s[6:7]
	v_lshrrev_b32_e32 v2, 16, v9
	v_ashrrev_i32_e32 v9, 31, v8
	v_lshlrev_b64 v[0:1], 1, v[8:9]
	v_mov_b32_e32 v3, s17
	v_add_co_u32_e64 v0, s[2:3], s16, v0
	v_addc_co_u32_e64 v1, s[2:3], v3, v1, s[2:3]
	s_add_i32 s8, s8, 1
	v_and_b32_e32 v3, 0xffff0000, v35
	v_cmp_ge_i32_e64 s[2:3], s8, v11
	v_or_b32_sdwa v3, v3, v34 dst_sel:DWORD dst_unused:UNUSED_PAD src0_sel:DWORD src1_sel:WORD_1
	v_and_or_b32 v2, v33, s9, v2
	v_add_u32_e32 v8, 0x80, v8
	s_or_b64 s[4:5], s[2:3], s[4:5]
	v_add_u32_e32 v28, 0x100, v28
	global_store_dwordx2 v[0:1], v[2:3], off
	s_andn2_b64 exec, exec, s[4:5]
	s_cbranch_execz .LBB141_28
.LBB141_10:                             ; =>This Inner Loop Header: Depth=1
	ds_read_b64 v[0:1], v28
	v_add_u32_e32 v34, s8, v10
	v_mov_b32_e32 v35, v29
	v_cmp_gt_i32_e64 s[2:3], s12, v34
	v_cndmask_b32_e64 v34, v6, v4, s[2:3]
	s_waitcnt lgkmcnt(0)
	v_and_b32_e32 v2, 0xffff0000, v0
	v_lshlrev_b32_e32 v3, 16, v0
	v_alignbit_b32 v0, v1, v0, 16
	v_and_b32_e32 v9, 0xffff0000, v1
	v_mul_f32_e32 v1, v2, v2
	v_and_b32_e32 v33, 0xffff0000, v0
	v_fmac_f32_e32 v1, v3, v3
	v_fmac_f32_e32 v1, v33, v33
	;; [unrolled: 1-line block ×3, first 2 shown]
	ds_bpermute_b32 v0, v12, v1
	v_cndmask_b32_e64 v36, v22, v20, s[2:3]
	v_cndmask_b32_e64 v37, v7, v5, s[2:3]
	;; [unrolled: 1-line block ×3, first 2 shown]
	v_lshlrev_b32_e32 v34, 16, v34
	s_waitcnt lgkmcnt(0)
	v_add_f32_e32 v0, v1, v0
	ds_bpermute_b32 v1, v13, v0
	s_waitcnt lgkmcnt(0)
	v_add_f32_e32 v0, v0, v1
	ds_bpermute_b32 v1, v14, v0
	;; [unrolled: 3-line block ×4, first 2 shown]
	s_waitcnt lgkmcnt(0)
	v_add_f32_e32 v0, v0, v1
	v_fmac_f32_e32 v35, 0x3c000000, v0
	v_mul_f32_e32 v0, 0x4b800000, v35
	v_cmp_gt_f32_e64 s[2:3], s10, v35
	v_cndmask_b32_e64 v0, v35, v0, s[2:3]
	v_rsq_f32_e32 v0, v0
	v_lshlrev_b32_e32 v35, 16, v37
	v_lshlrev_b32_e32 v1, 16, v36
	;; [unrolled: 1-line block ×3, first 2 shown]
	v_mul_f32_e32 v37, 0x45800000, v0
	v_cndmask_b32_e64 v0, v0, v37, s[2:3]
	v_mul_f32_e32 v34, v0, v34
	v_mul_f32_e32 v1, v0, v1
	;; [unrolled: 1-line block ×8, first 2 shown]
	s_and_saveexec_b64 s[2:3], vcc
	s_cbranch_execz .LBB141_12
; %bb.11:                               ;   in Loop: Header=BB141_10 Depth=1
	ds_bpermute_b32 v9, v17, v0
	ds_bpermute_b32 v33, v17, v1
	; wave barrier
	ds_read_u16 v34, v18
	ds_read_u16 v35, v19
	;; [unrolled: 1-line block ×8, first 2 shown]
	s_waitcnt lgkmcnt(9)
	v_cndmask_b32_e64 v9, v9, -v9, s[0:1]
	s_waitcnt lgkmcnt(7)
	v_lshlrev_b32_e32 v42, 16, v34
	s_waitcnt lgkmcnt(6)
	v_lshlrev_b32_e32 v34, 16, v35
	v_mul_f32_e32 v34, v9, v34
	v_fmac_f32_e32 v34, v0, v42
	v_cndmask_b32_e64 v0, v33, -v33, s[0:1]
	ds_bpermute_b32 v9, v17, v2
	s_waitcnt lgkmcnt(5)
	v_lshlrev_b32_e32 v35, 16, v37
	v_lshlrev_b32_e32 v33, 16, v36
	v_mul_f32_e32 v35, v0, v35
	v_fmac_f32_e32 v35, v1, v33
	ds_bpermute_b32 v1, v17, v3
	s_waitcnt lgkmcnt(1)
	v_cndmask_b32_e64 v0, v9, -v9, s[0:1]
	v_lshlrev_b32_e32 v33, 16, v39
	v_lshlrev_b32_e32 v9, 16, v38
	v_mul_f32_e32 v36, v0, v33
	v_fmac_f32_e32 v36, v2, v9
	s_waitcnt lgkmcnt(0)
	v_cndmask_b32_e64 v0, v1, -v1, s[0:1]
	v_lshlrev_b32_e32 v2, 16, v41
	v_lshlrev_b32_e32 v1, 16, v40
	v_mul_f32_e32 v37, v0, v2
	v_fmac_f32_e32 v37, v3, v1
	v_pk_mov_b32 v[0:1], v[34:35], v[34:35] op_sel:[0,1]
	v_pk_mov_b32 v[2:3], v[36:37], v[36:37] op_sel:[0,1]
	; wave barrier
.LBB141_12:                             ;   in Loop: Header=BB141_10 Depth=1
	s_or_b64 exec, exec, s[2:3]
	v_and_b32_e32 v9, 0x7f800000, v0
	v_cmp_ne_u32_e64 s[2:3], s11, v9
                                        ; implicit-def: $vgpr9
	s_and_saveexec_b64 s[6:7], s[2:3]
	s_xor_b64 s[2:3], exec, s[6:7]
; %bb.13:                               ;   in Loop: Header=BB141_10 Depth=1
	v_bfe_u32 v9, v0, 16, 1
	v_add3_u32 v9, v0, v9, s13
; %bb.14:                               ;   in Loop: Header=BB141_10 Depth=1
	s_andn2_saveexec_b64 s[6:7], s[2:3]
; %bb.15:                               ;   in Loop: Header=BB141_10 Depth=1
	v_or_b32_e32 v9, 0x10000, v0
	v_cmp_eq_u32_sdwa s[2:3], v0, v32 src0_sel:WORD_0 src1_sel:DWORD
	v_cndmask_b32_e64 v9, v9, v0, s[2:3]
; %bb.16:                               ;   in Loop: Header=BB141_10 Depth=1
	s_or_b64 exec, exec, s[6:7]
	v_and_b32_e32 v0, 0x7f800000, v1
	v_cmp_ne_u32_e64 s[2:3], s11, v0
                                        ; implicit-def: $vgpr33
	s_and_saveexec_b64 s[6:7], s[2:3]
	s_xor_b64 s[2:3], exec, s[6:7]
; %bb.17:                               ;   in Loop: Header=BB141_10 Depth=1
	v_bfe_u32 v0, v1, 16, 1
	v_add3_u32 v33, v1, v0, s13
; %bb.18:                               ;   in Loop: Header=BB141_10 Depth=1
	s_andn2_saveexec_b64 s[6:7], s[2:3]
; %bb.19:                               ;   in Loop: Header=BB141_10 Depth=1
	v_or_b32_e32 v0, 0x10000, v1
	v_cmp_eq_u32_sdwa s[2:3], v1, v32 src0_sel:WORD_0 src1_sel:DWORD
	v_cndmask_b32_e64 v33, v0, v1, s[2:3]
; %bb.20:                               ;   in Loop: Header=BB141_10 Depth=1
	s_or_b64 exec, exec, s[6:7]
	v_and_b32_e32 v0, 0x7f800000, v2
	v_cmp_ne_u32_e64 s[2:3], s11, v0
                                        ; implicit-def: $vgpr34
	s_and_saveexec_b64 s[6:7], s[2:3]
	s_xor_b64 s[2:3], exec, s[6:7]
; %bb.21:                               ;   in Loop: Header=BB141_10 Depth=1
	v_bfe_u32 v0, v2, 16, 1
	v_add3_u32 v34, v2, v0, s13
; %bb.22:                               ;   in Loop: Header=BB141_10 Depth=1
	s_andn2_saveexec_b64 s[6:7], s[2:3]
; %bb.23:                               ;   in Loop: Header=BB141_10 Depth=1
	v_or_b32_e32 v0, 0x10000, v2
	v_cmp_eq_u32_sdwa s[2:3], v2, v32 src0_sel:WORD_0 src1_sel:DWORD
	v_cndmask_b32_e64 v34, v0, v2, s[2:3]
; %bb.24:                               ;   in Loop: Header=BB141_10 Depth=1
	s_or_b64 exec, exec, s[6:7]
	v_and_b32_e32 v0, 0x7f800000, v3
	v_cmp_ne_u32_e64 s[2:3], s11, v0
                                        ; implicit-def: $vgpr35
	s_and_saveexec_b64 s[6:7], s[2:3]
	s_xor_b64 s[2:3], exec, s[6:7]
; %bb.25:                               ;   in Loop: Header=BB141_10 Depth=1
	v_bfe_u32 v0, v3, 16, 1
	v_add3_u32 v35, v3, v0, s13
                                        ; implicit-def: $vgpr0_vgpr1_vgpr2_vgpr3
; %bb.26:                               ;   in Loop: Header=BB141_10 Depth=1
	s_andn2_saveexec_b64 s[6:7], s[2:3]
	s_cbranch_execz .LBB141_9
; %bb.27:                               ;   in Loop: Header=BB141_10 Depth=1
	v_or_b32_e32 v0, 0x10000, v3
	v_cmp_eq_u32_sdwa s[2:3], v3, v32 src0_sel:WORD_0 src1_sel:DWORD
	v_cndmask_b32_e64 v35, v0, v3, s[2:3]
	s_branch .LBB141_9
.LBB141_28:
	s_endpgm
	.section	.rodata,"a",@progbits
	.p2align	6, 0x0
	.amdhsa_kernel _ZN12tensorrt_llm7kernels32fusedQKNormRopeKernelNTokenHeadsIN3c108BFloat16ES3_Li128ELb0ELi8EEEvPviiifPKvS6_S6_PKlii
		.amdhsa_group_segment_fixed_size 0
		.amdhsa_private_segment_fixed_size 0
		.amdhsa_kernarg_size 320
		.amdhsa_user_sgpr_count 6
		.amdhsa_user_sgpr_private_segment_buffer 1
		.amdhsa_user_sgpr_dispatch_ptr 0
		.amdhsa_user_sgpr_queue_ptr 0
		.amdhsa_user_sgpr_kernarg_segment_ptr 1
		.amdhsa_user_sgpr_dispatch_id 0
		.amdhsa_user_sgpr_flat_scratch_init 0
		.amdhsa_user_sgpr_kernarg_preload_length 0
		.amdhsa_user_sgpr_kernarg_preload_offset 0
		.amdhsa_user_sgpr_private_segment_size 0
		.amdhsa_uses_dynamic_stack 0
		.amdhsa_system_sgpr_private_segment_wavefront_offset 0
		.amdhsa_system_sgpr_workgroup_id_x 1
		.amdhsa_system_sgpr_workgroup_id_y 0
		.amdhsa_system_sgpr_workgroup_id_z 0
		.amdhsa_system_sgpr_workgroup_info 0
		.amdhsa_system_vgpr_workitem_id 0
		.amdhsa_next_free_vgpr 43
		.amdhsa_next_free_sgpr 24
		.amdhsa_accum_offset 44
		.amdhsa_reserve_vcc 1
		.amdhsa_reserve_flat_scratch 0
		.amdhsa_float_round_mode_32 0
		.amdhsa_float_round_mode_16_64 0
		.amdhsa_float_denorm_mode_32 3
		.amdhsa_float_denorm_mode_16_64 3
		.amdhsa_dx10_clamp 1
		.amdhsa_ieee_mode 1
		.amdhsa_fp16_overflow 0
		.amdhsa_tg_split 0
		.amdhsa_exception_fp_ieee_invalid_op 0
		.amdhsa_exception_fp_denorm_src 0
		.amdhsa_exception_fp_ieee_div_zero 0
		.amdhsa_exception_fp_ieee_overflow 0
		.amdhsa_exception_fp_ieee_underflow 0
		.amdhsa_exception_fp_ieee_inexact 0
		.amdhsa_exception_int_div_zero 0
	.end_amdhsa_kernel
	.section	.text._ZN12tensorrt_llm7kernels32fusedQKNormRopeKernelNTokenHeadsIN3c108BFloat16ES3_Li128ELb0ELi8EEEvPviiifPKvS6_S6_PKlii,"axG",@progbits,_ZN12tensorrt_llm7kernels32fusedQKNormRopeKernelNTokenHeadsIN3c108BFloat16ES3_Li128ELb0ELi8EEEvPviiifPKvS6_S6_PKlii,comdat
.Lfunc_end141:
	.size	_ZN12tensorrt_llm7kernels32fusedQKNormRopeKernelNTokenHeadsIN3c108BFloat16ES3_Li128ELb0ELi8EEEvPviiifPKvS6_S6_PKlii, .Lfunc_end141-_ZN12tensorrt_llm7kernels32fusedQKNormRopeKernelNTokenHeadsIN3c108BFloat16ES3_Li128ELb0ELi8EEEvPviiifPKvS6_S6_PKlii
                                        ; -- End function
	.section	.AMDGPU.csdata,"",@progbits
; Kernel info:
; codeLenInByte = 2324
; NumSgprs: 28
; NumVgprs: 43
; NumAgprs: 0
; TotalNumVgprs: 43
; ScratchSize: 0
; MemoryBound: 0
; FloatMode: 240
; IeeeMode: 1
; LDSByteSize: 0 bytes/workgroup (compile time only)
; SGPRBlocks: 3
; VGPRBlocks: 5
; NumSGPRsForWavesPerEU: 28
; NumVGPRsForWavesPerEU: 43
; AccumOffset: 44
; Occupancy: 8
; WaveLimiterHint : 0
; COMPUTE_PGM_RSRC2:SCRATCH_EN: 0
; COMPUTE_PGM_RSRC2:USER_SGPR: 6
; COMPUTE_PGM_RSRC2:TRAP_HANDLER: 0
; COMPUTE_PGM_RSRC2:TGID_X_EN: 1
; COMPUTE_PGM_RSRC2:TGID_Y_EN: 0
; COMPUTE_PGM_RSRC2:TGID_Z_EN: 0
; COMPUTE_PGM_RSRC2:TIDIG_COMP_CNT: 0
; COMPUTE_PGM_RSRC3_GFX90A:ACCUM_OFFSET: 10
; COMPUTE_PGM_RSRC3_GFX90A:TG_SPLIT: 0
	.section	.text._ZN12tensorrt_llm7kernels32fusedQKNormRopeKernelNTokenHeadsIN3c108BFloat16ES3_Li256ELb1ELi8EEEvPviiifPKvS6_S6_PKlii,"axG",@progbits,_ZN12tensorrt_llm7kernels32fusedQKNormRopeKernelNTokenHeadsIN3c108BFloat16ES3_Li256ELb1ELi8EEEvPviiifPKvS6_S6_PKlii,comdat
	.protected	_ZN12tensorrt_llm7kernels32fusedQKNormRopeKernelNTokenHeadsIN3c108BFloat16ES3_Li256ELb1ELi8EEEvPviiifPKvS6_S6_PKlii ; -- Begin function _ZN12tensorrt_llm7kernels32fusedQKNormRopeKernelNTokenHeadsIN3c108BFloat16ES3_Li256ELb1ELi8EEEvPviiifPKvS6_S6_PKlii
	.globl	_ZN12tensorrt_llm7kernels32fusedQKNormRopeKernelNTokenHeadsIN3c108BFloat16ES3_Li256ELb1ELi8EEEvPviiifPKvS6_S6_PKlii
	.p2align	8
	.type	_ZN12tensorrt_llm7kernels32fusedQKNormRopeKernelNTokenHeadsIN3c108BFloat16ES3_Li256ELb1ELi8EEEvPviiifPKvS6_S6_PKlii,@function
_ZN12tensorrt_llm7kernels32fusedQKNormRopeKernelNTokenHeadsIN3c108BFloat16ES3_Li256ELb1ELi8EEEvPviiifPKvS6_S6_PKlii: ; @_ZN12tensorrt_llm7kernels32fusedQKNormRopeKernelNTokenHeadsIN3c108BFloat16ES3_Li256ELb1ELi8EEEvPviiifPKvS6_S6_PKlii
; %bb.0:
	s_load_dwordx4 s[12:15], s[4:5], 0x8
	s_load_dwordx2 s[2:3], s[4:5], 0x38
	s_load_dword s1, s[4:5], 0x4c
	v_lshrrev_b32_e32 v1, 5, v0
	s_waitcnt lgkmcnt(0)
	s_add_i32 s0, s13, s12
	s_add_i32 s7, s0, 7
	s_ashr_i32 s8, s7, 31
	s_lshr_b32 s8, s8, 29
	s_add_i32 s7, s7, s8
	s_ashr_i32 s20, s7, 3
	s_abs_i32 s7, s20
	v_cvt_f32_u32_e32 v2, s7
	s_bfe_u32 s1, s1, 0xb0005
	s_mul_i32 s6, s6, s1
	v_rcp_iflag_f32_e32 v3, v2
	v_add_u32_e32 v2, s6, v1
	s_sub_i32 s6, 0, s7
	v_sub_u32_e32 v4, 0, v2
	v_mul_f32_e32 v3, 0x4f7ffffe, v3
	v_cvt_u32_f32_e32 v3, v3
	v_max_i32_e32 v4, v2, v4
	v_xor_b32_e32 v5, s20, v2
	v_ashrrev_i32_e32 v5, 31, v5
	v_mul_lo_u32 v6, s6, v3
	v_mul_hi_u32 v6, v3, v6
	v_add_u32_e32 v3, v3, v6
	v_mul_hi_u32 v3, v4, v3
	v_mul_lo_u32 v6, v3, s7
	v_sub_u32_e32 v4, v4, v6
	v_add_u32_e32 v6, 1, v3
	v_cmp_le_u32_e32 vcc, s7, v4
	v_cndmask_b32_e32 v3, v3, v6, vcc
	v_subrev_u32_e32 v6, s7, v4
	v_cndmask_b32_e32 v4, v4, v6, vcc
	v_add_u32_e32 v6, 1, v3
	v_cmp_le_u32_e32 vcc, s7, v4
	v_cndmask_b32_e32 v3, v3, v6, vcc
	v_xor_b32_e32 v3, v3, v5
	v_sub_u32_e32 v8, v3, v5
	v_cmp_gt_i32_e32 vcc, s2, v8
	s_and_saveexec_b64 s[6:7], vcc
	s_cbranch_execz .LBB142_44
; %bb.1:
	v_mul_lo_u32 v3, v8, s20
	v_sub_u32_e32 v3, v2, v3
	s_load_dwordx2 s[16:17], s[4:5], 0x0
	v_lshlrev_b32_e32 v18, 3, v3
	v_add_u32_e32 v3, 8, v18
	v_sub_u32_e32 v4, s0, v18
	v_cmp_lt_i32_e32 vcc, s0, v3
	v_and_b32_e32 v10, 31, v0
	v_cndmask_b32_e32 v19, 8, v4, vcc
	s_lshl_b32 s18, s3, 1
	s_mul_i32 s2, s18, s1
	v_lshlrev_b32_e32 v13, 12, v1
	v_cmp_lt_i32_e64 s[0:1], 0, v19
	v_lshlrev_b32_e32 v12, 4, v10
	v_lshlrev_b32_e32 v11, 11, v2
	s_and_saveexec_b64 s[6:7], s[0:1]
	s_cbranch_execz .LBB142_4
; %bb.2:
	s_add_i32 s8, s2, 0
	v_add3_u32 v4, s8, v13, v12
	s_add_i32 s8, s14, s13
	s_add_i32 s8, s8, s12
	s_lshl_b32 s9, s20, 3
	s_sub_i32 s8, s8, s9
	v_mul_lo_u32 v2, s8, v8
	v_lshl_add_u32 v2, v2, 8, v11
	s_mov_b32 s10, 0
	v_lshl_or_b32 v2, v10, 3, v2
	s_mov_b64 s[8:9], 0
	s_waitcnt lgkmcnt(0)
	v_mov_b32_e32 v5, s17
.LBB142_3:                              ; =>This Inner Loop Header: Depth=1
	v_ashrrev_i32_e32 v3, 31, v2
	v_lshlrev_b64 v[6:7], 1, v[2:3]
	v_add_co_u32_e32 v6, vcc, s16, v6
	v_addc_co_u32_e32 v7, vcc, v5, v7, vcc
	global_load_dwordx4 v[14:17], v[6:7], off
	s_add_i32 s10, s10, 1
	v_cmp_ge_i32_e32 vcc, s10, v19
	v_add_u32_e32 v2, 0x100, v2
	s_or_b64 s[8:9], vcc, s[8:9]
	s_waitcnt vmcnt(0)
	ds_write_b128 v4, v[14:17]
	v_add_u32_e32 v4, 0x200, v4
	s_andn2_b64 exec, exec, s[8:9]
	s_cbranch_execnz .LBB142_3
.LBB142_4:
	s_or_b64 exec, exec, s[6:7]
	s_add_i32 s18, s18, 15
	s_load_dwordx8 s[4:11], s[4:5], 0x18
	s_ashr_i32 s19, s18, 31
	s_lshr_b32 s19, s19, 28
	s_add_i32 s18, s18, s19
	s_ashr_i32 s21, s18, 4
	v_mul_lo_u32 v1, v1, s3
	v_cmp_gt_i32_e32 vcc, s21, v10
	v_lshlrev_b32_e32 v14, 1, v1
	s_and_saveexec_b64 s[18:19], vcc
	s_cbranch_execz .LBB142_7
; %bb.5:
	v_ashrrev_i32_e32 v9, 31, v8
	v_lshlrev_b64 v[2:3], 3, v[8:9]
	s_waitcnt lgkmcnt(0)
	v_mov_b32_e32 v1, s11
	v_add_co_u32_e32 v2, vcc, s10, v2
	v_addc_co_u32_e32 v3, vcc, v1, v3, vcc
	global_load_dwordx2 v[4:5], v[2:3], off
	s_ashr_i32 s22, s3, 31
	v_and_b32_e32 v0, 31, v0
	v_lshlrev_b32_e32 v6, 4, v0
	v_mov_b32_e32 v3, s9
	v_add3_u32 v2, v14, v12, 0
	s_mov_b64 s[10:11], 0
	s_waitcnt vmcnt(0)
	v_mul_lo_u32 v5, v5, s3
	v_mul_lo_u32 v7, v4, s22
	v_mad_u64_u32 v[0:1], s[22:23], v4, s3, 0
	v_add3_u32 v1, v1, v7, v5
	v_lshlrev_b64 v[0:1], 1, v[0:1]
	v_add_co_u32_e32 v0, vcc, v0, v6
	v_addc_co_u32_e32 v1, vcc, 0, v1, vcc
	v_add_co_u32_e32 v0, vcc, s8, v0
	v_addc_co_u32_e32 v1, vcc, v3, v1, vcc
	v_mov_b32_e32 v3, v10
.LBB142_6:                              ; =>This Inner Loop Header: Depth=1
	global_load_dwordx4 v[4:7], v[0:1], off
	v_add_co_u32_e32 v0, vcc, 0x200, v0
	v_add_u32_e32 v3, 32, v3
	v_addc_co_u32_e32 v1, vcc, 0, v1, vcc
	v_cmp_le_i32_e32 vcc, s21, v3
	s_or_b64 s[10:11], vcc, s[10:11]
	s_waitcnt vmcnt(0)
	ds_write_b128 v2, v[4:7]
	v_add_u32_e32 v2, 0x200, v2
	s_andn2_b64 exec, exec, s[10:11]
	s_cbranch_execnz .LBB142_6
.LBB142_7:
	s_or_b64 exec, exec, s[18:19]
	s_and_b64 exec, exec, s[0:1]
	s_cbranch_execz .LBB142_44
; %bb.8:
	s_waitcnt lgkmcnt(0)
	global_load_dwordx4 v[0:3], v12, s[4:5]
	global_load_dwordx4 v[4:7], v12, s[6:7]
	v_mbcnt_lo_u32_b32 v15, -1, 0
	v_add_u32_e32 v13, s2, v13
	v_mbcnt_hi_u32_b32 v15, -1, v15
	v_add3_u32 v22, v13, v12, 0
	v_and_b32_e32 v12, 0x60, v15
	v_lshlrev_b32_e32 v9, 3, v10
	v_xor_b32_e32 v13, 16, v15
	v_add_u32_e32 v12, 32, v12
	v_add3_u32 v21, 0, v14, v9
	v_xor_b32_e32 v14, 8, v15
	v_cmp_lt_i32_e32 vcc, v13, v12
	s_add_i32 s11, s14, s13
	v_xor_b32_e32 v16, 4, v15
	v_cndmask_b32_e32 v13, v15, v13, vcc
	v_cmp_lt_i32_e32 vcc, v14, v12
	s_ashr_i32 s1, s3, 31
	s_lshl_b32 s13, s20, 3
	s_add_i32 s11, s11, s12
	v_xor_b32_e32 v17, 2, v15
	v_cndmask_b32_e32 v14, v15, v14, vcc
	v_cmp_lt_i32_e32 vcc, v16, v12
	s_lshr_b32 s0, s3, 31
	s_lshr_b32 s1, s1, 29
	v_xor_b32_e32 v24, 1, v15
	s_sub_i32 s2, s11, s13
	v_cndmask_b32_e32 v16, v15, v16, vcc
	v_cmp_lt_i32_e32 vcc, v17, v12
	s_add_i32 s0, s3, s0
	s_add_i32 s1, s3, s1
	v_mul_lo_u32 v8, s2, v8
	v_cndmask_b32_e32 v17, v15, v17, vcc
	v_cmp_lt_i32_e32 vcc, v24, v12
	s_and_b32 s0, s0, -2
	s_ashr_i32 s1, s1, 3
	v_cndmask_b32_e32 v12, v15, v24, vcc
	v_lshl_add_u32 v8, v8, 8, v11
	s_mov_b32 s6, 0
	s_mov_b64 s[4:5], 0
	v_mov_b32_e32 v20, s15
	s_mov_b32 s7, 0x800000
	s_mov_b32 s8, 0x7f800000
	s_movk_i32 s9, 0x7fff
	s_mov_b32 s10, 0x7060302
	v_add_u32_e32 v23, s0, v21
	v_cmp_gt_i32_e32 vcc, s1, v10
	v_lshlrev_b32_e32 v24, 2, v13
	v_lshlrev_b32_e32 v25, 2, v14
	;; [unrolled: 1-line block ×5, first 2 shown]
	v_or_b32_e32 v8, v8, v9
	v_mov_b32_e32 v37, 0
	s_waitcnt vmcnt(1)
	v_lshrrev_b32_e32 v29, 16, v0
	s_waitcnt vmcnt(0)
	v_lshrrev_b32_e32 v30, 16, v4
	v_lshrrev_b32_e32 v31, 16, v1
	;; [unrolled: 1-line block ×7, first 2 shown]
	s_branch .LBB142_10
.LBB142_9:                              ;   in Loop: Header=BB142_10 Depth=1
	s_or_b64 exec, exec, s[2:3]
	v_ashrrev_i32_e32 v9, 31, v8
	v_lshlrev_b64 v[40:41], 1, v[8:9]
	v_mov_b32_e32 v9, s17
	v_add_co_u32_e64 v40, s[0:1], s16, v40
	v_addc_co_u32_e64 v41, s[0:1], v9, v41, s[0:1]
	s_add_i32 s6, s6, 1
	v_cmp_ge_i32_e64 s[0:1], s6, v19
	v_perm_b32 v13, v10, v13, s10
	v_perm_b32 v12, v12, v15, s10
	;; [unrolled: 1-line block ×4, first 2 shown]
	v_add_u32_e32 v8, 0x100, v8
	s_or_b64 s[4:5], s[0:1], s[4:5]
	v_add_u32_e32 v22, 0x200, v22
	global_store_dwordx4 v[40:41], v[10:13], off
	s_andn2_b64 exec, exec, s[4:5]
	s_cbranch_execz .LBB142_44
.LBB142_10:                             ; =>This Inner Loop Header: Depth=1
	ds_read_b128 v[10:13], v22
	s_waitcnt lgkmcnt(0)
	v_and_b32_e32 v15, 0xffff0000, v10
	v_lshlrev_b32_e32 v14, 16, v10
	v_pk_mul_f32 v[40:41], v[14:15], v[14:15]
	v_and_b32_e32 v43, 0xffff0000, v11
	v_lshlrev_b32_e32 v42, 16, v11
	v_pk_mul_f32 v[10:11], v[42:43], v[42:43]
	v_add_f32_e32 v9, v40, v41
	v_and_b32_e32 v39, 0xffff0000, v13
	v_lshlrev_b32_e32 v38, 16, v13
	v_and_b32_e32 v13, 0xffff0000, v12
	v_lshlrev_b32_e32 v12, 16, v12
	v_add_f32_e32 v9, v9, v10
	v_pk_mul_f32 v[44:45], v[12:13], v[12:13]
	v_add_f32_e32 v9, v9, v11
	v_add_f32_e32 v9, v9, v44
	v_pk_mul_f32 v[16:17], v[38:39], v[38:39]
	v_add_f32_e32 v9, v9, v45
	v_add_f32_e32 v9, v9, v16
	;; [unrolled: 1-line block ×3, first 2 shown]
	ds_bpermute_b32 v10, v24, v9
	v_mov_b32_e32 v16, v20
	v_add_u32_e32 v11, s6, v18
	v_cmp_gt_i32_e64 s[0:1], s12, v11
	v_cndmask_b32_e64 v11, v30, v29, s[0:1]
	s_waitcnt lgkmcnt(0)
	v_add_f32_e32 v9, v9, v10
	ds_bpermute_b32 v10, v25, v9
	v_cndmask_b32_e64 v17, v4, v0, s[0:1]
	v_lshlrev_b32_e32 v11, 16, v11
	v_cndmask_b32_e64 v40, v32, v31, s[0:1]
	v_cndmask_b32_e64 v41, v5, v1, s[0:1]
	s_waitcnt lgkmcnt(0)
	v_add_f32_e32 v9, v9, v10
	ds_bpermute_b32 v10, v26, v9
	v_cndmask_b32_e64 v45, v34, v33, s[0:1]
	v_cndmask_b32_e64 v46, v6, v2, s[0:1]
	s_waitcnt lgkmcnt(0)
	v_add_f32_e32 v9, v9, v10
	ds_bpermute_b32 v10, v27, v9
	s_waitcnt lgkmcnt(0)
	v_add_f32_e32 v9, v9, v10
	ds_bpermute_b32 v44, v28, v9
	v_lshlrev_b32_e32 v10, 16, v17
	v_lshlrev_b32_e32 v17, 16, v40
	;; [unrolled: 1-line block ×3, first 2 shown]
	s_waitcnt lgkmcnt(0)
	v_add_f32_e32 v9, v9, v44
	v_fmac_f32_e32 v16, 0x3b800000, v9
	v_mul_f32_e32 v9, 0x4b800000, v16
	v_cmp_gt_f32_e64 s[2:3], s7, v16
	v_cndmask_b32_e64 v9, v16, v9, s[2:3]
	v_rsq_f32_e32 v9, v9
	v_lshlrev_b32_e32 v16, 16, v41
	v_lshlrev_b32_e32 v41, 16, v45
	v_mul_f32_e32 v44, 0x45800000, v9
	v_cndmask_b32_e64 v44, v9, v44, s[2:3]
	v_pk_mul_f32 v[10:11], v[44:45], v[10:11] op_sel_hi:[0,1]
	v_pk_mul_f32 v[46:47], v[44:45], v[16:17] op_sel_hi:[0,1]
	v_pk_mul_f32 v[16:17], v[10:11], v[14:15]
	v_pk_mul_f32 v[10:11], v[44:45], v[40:41] op_sel_hi:[0,1]
	v_pk_mul_f32 v[12:13], v[10:11], v[12:13]
	v_cndmask_b32_e64 v9, v36, v35, s[0:1]
	v_cndmask_b32_e64 v10, v7, v3, s[0:1]
	v_lshlrev_b32_e32 v11, 16, v9
	v_lshlrev_b32_e32 v10, 16, v10
	v_pk_mul_f32 v[10:11], v[44:45], v[10:11] op_sel_hi:[0,1]
	v_pk_mul_f32 v[14:15], v[46:47], v[42:43]
	v_pk_mul_f32 v[10:11], v[10:11], v[38:39]
	s_and_saveexec_b64 s[0:1], vcc
	s_cbranch_execz .LBB142_12
; %bb.11:                               ;   in Loop: Header=BB142_10 Depth=1
	ds_read_b64 v[38:39], v21
	ds_read_b64 v[40:41], v23
	s_waitcnt lgkmcnt(1)
	v_lshlrev_b32_e32 v42, 16, v38
	s_waitcnt lgkmcnt(0)
	v_lshlrev_b32_e32 v44, 16, v40
	v_pk_mul_f32 v[44:45], v[16:17], v[44:45] op_sel_hi:[1,0]
	v_pk_mul_f32 v[46:47], v[16:17], v[42:43] op_sel_hi:[1,0]
	v_pk_fma_f32 v[16:17], v[16:17], v[42:43], v[44:45] op_sel:[0,0,1] op_sel_hi:[1,0,0]
	v_and_b32_e32 v16, 0xffff0000, v40
	v_and_b32_e32 v38, 0xffff0000, v38
	v_pk_mul_f32 v[42:43], v[14:15], v[16:17] op_sel_hi:[1,0]
	v_pk_fma_f32 v[48:49], v[14:15], v[38:39], v[42:43] op_sel:[0,0,1] op_sel_hi:[1,0,0] neg_lo:[0,0,1] neg_hi:[0,0,1]
	v_pk_fma_f32 v[14:15], v[14:15], v[38:39], v[42:43] op_sel:[0,0,1] op_sel_hi:[1,0,0]
	v_lshlrev_b32_e32 v16, 16, v41
	v_lshlrev_b32_e32 v14, 16, v39
	v_pk_mul_f32 v[42:43], v[12:13], v[16:17] op_sel_hi:[1,0]
	v_pk_fma_f32 v[50:51], v[12:13], v[14:15], v[42:43] op_sel:[0,0,1] op_sel_hi:[1,0,0] neg_lo:[0,0,1] neg_hi:[0,0,1]
	v_pk_fma_f32 v[12:13], v[12:13], v[14:15], v[42:43] op_sel:[0,0,1] op_sel_hi:[1,0,0]
	v_and_b32_e32 v39, 0xffff0000, v39
	v_and_b32_e32 v38, 0xffff0000, v41
	v_mov_b32_e32 v14, v11
	v_mov_b32_e32 v12, v39
	v_pk_mul_f32 v[40:41], v[14:15], v[38:39]
	v_pk_mul_f32 v[42:43], v[10:11], v[38:39]
	v_pk_fma_f32 v[40:41], v[10:11], v[12:13], v[40:41] op_sel_hi:[1,0,1] neg_lo:[0,0,1] neg_hi:[0,0,1]
	v_mov_b32_e32 v12, v43
	v_pk_fma_f32 v[38:39], v[10:11], v[38:39], v[12:13]
	v_sub_f32_e32 v16, v46, v45
	v_mov_b32_e32 v14, v48
	v_mov_b32_e32 v12, v50
	;; [unrolled: 1-line block ×4, first 2 shown]
.LBB142_12:                             ;   in Loop: Header=BB142_10 Depth=1
	s_or_b64 exec, exec, s[0:1]
	v_and_b32_e32 v9, 0x7f800000, v16
	v_cmp_ne_u32_e64 s[0:1], s8, v9
                                        ; implicit-def: $vgpr38
	s_and_saveexec_b64 s[2:3], s[0:1]
	s_xor_b64 s[0:1], exec, s[2:3]
; %bb.13:                               ;   in Loop: Header=BB142_10 Depth=1
	v_bfe_u32 v9, v16, 16, 1
	v_add3_u32 v38, v16, v9, s9
; %bb.14:                               ;   in Loop: Header=BB142_10 Depth=1
	s_andn2_saveexec_b64 s[2:3], s[0:1]
; %bb.15:                               ;   in Loop: Header=BB142_10 Depth=1
	v_or_b32_e32 v9, 0x10000, v16
	v_cmp_eq_u32_sdwa s[0:1], v16, v37 src0_sel:WORD_0 src1_sel:DWORD
	v_cndmask_b32_e64 v38, v9, v16, s[0:1]
; %bb.16:                               ;   in Loop: Header=BB142_10 Depth=1
	s_or_b64 exec, exec, s[2:3]
	v_and_b32_e32 v9, 0x7f800000, v17
	v_cmp_ne_u32_e64 s[0:1], s8, v9
                                        ; implicit-def: $vgpr16
	s_and_saveexec_b64 s[2:3], s[0:1]
	s_xor_b64 s[0:1], exec, s[2:3]
; %bb.17:                               ;   in Loop: Header=BB142_10 Depth=1
	v_bfe_u32 v9, v17, 16, 1
	v_add3_u32 v16, v17, v9, s9
                                        ; implicit-def: $vgpr17
; %bb.18:                               ;   in Loop: Header=BB142_10 Depth=1
	s_andn2_saveexec_b64 s[2:3], s[0:1]
; %bb.19:                               ;   in Loop: Header=BB142_10 Depth=1
	v_or_b32_e32 v9, 0x10000, v17
	v_cmp_eq_u32_sdwa s[0:1], v17, v37 src0_sel:WORD_0 src1_sel:DWORD
	v_cndmask_b32_e64 v16, v9, v17, s[0:1]
; %bb.20:                               ;   in Loop: Header=BB142_10 Depth=1
	s_or_b64 exec, exec, s[2:3]
	v_and_b32_e32 v9, 0x7f800000, v14
	v_cmp_ne_u32_e64 s[0:1], s8, v9
                                        ; implicit-def: $vgpr17
	s_and_saveexec_b64 s[2:3], s[0:1]
	s_xor_b64 s[0:1], exec, s[2:3]
; %bb.21:                               ;   in Loop: Header=BB142_10 Depth=1
	v_bfe_u32 v9, v14, 16, 1
	v_add3_u32 v17, v14, v9, s9
; %bb.22:                               ;   in Loop: Header=BB142_10 Depth=1
	s_andn2_saveexec_b64 s[2:3], s[0:1]
; %bb.23:                               ;   in Loop: Header=BB142_10 Depth=1
	v_or_b32_e32 v9, 0x10000, v14
	v_cmp_eq_u32_sdwa s[0:1], v14, v37 src0_sel:WORD_0 src1_sel:DWORD
	v_cndmask_b32_e64 v17, v9, v14, s[0:1]
; %bb.24:                               ;   in Loop: Header=BB142_10 Depth=1
	s_or_b64 exec, exec, s[2:3]
	v_and_b32_e32 v9, 0x7f800000, v15
	v_cmp_ne_u32_e64 s[0:1], s8, v9
                                        ; implicit-def: $vgpr14
	s_and_saveexec_b64 s[2:3], s[0:1]
	s_xor_b64 s[0:1], exec, s[2:3]
; %bb.25:                               ;   in Loop: Header=BB142_10 Depth=1
	v_bfe_u32 v9, v15, 16, 1
	v_add3_u32 v14, v15, v9, s9
                                        ; implicit-def: $vgpr15
; %bb.26:                               ;   in Loop: Header=BB142_10 Depth=1
	s_andn2_saveexec_b64 s[2:3], s[0:1]
; %bb.27:                               ;   in Loop: Header=BB142_10 Depth=1
	v_or_b32_e32 v9, 0x10000, v15
	v_cmp_eq_u32_sdwa s[0:1], v15, v37 src0_sel:WORD_0 src1_sel:DWORD
	v_cndmask_b32_e64 v14, v9, v15, s[0:1]
; %bb.28:                               ;   in Loop: Header=BB142_10 Depth=1
	s_or_b64 exec, exec, s[2:3]
	v_and_b32_e32 v9, 0x7f800000, v12
	v_cmp_ne_u32_e64 s[0:1], s8, v9
                                        ; implicit-def: $vgpr15
	s_and_saveexec_b64 s[2:3], s[0:1]
	s_xor_b64 s[0:1], exec, s[2:3]
; %bb.29:                               ;   in Loop: Header=BB142_10 Depth=1
	v_bfe_u32 v9, v12, 16, 1
	v_add3_u32 v15, v12, v9, s9
; %bb.30:                               ;   in Loop: Header=BB142_10 Depth=1
	s_andn2_saveexec_b64 s[2:3], s[0:1]
; %bb.31:                               ;   in Loop: Header=BB142_10 Depth=1
	v_or_b32_e32 v9, 0x10000, v12
	v_cmp_eq_u32_sdwa s[0:1], v12, v37 src0_sel:WORD_0 src1_sel:DWORD
	v_cndmask_b32_e64 v15, v9, v12, s[0:1]
; %bb.32:                               ;   in Loop: Header=BB142_10 Depth=1
	s_or_b64 exec, exec, s[2:3]
	v_and_b32_e32 v9, 0x7f800000, v13
	v_cmp_ne_u32_e64 s[0:1], s8, v9
                                        ; implicit-def: $vgpr12
	s_and_saveexec_b64 s[2:3], s[0:1]
	s_xor_b64 s[0:1], exec, s[2:3]
; %bb.33:                               ;   in Loop: Header=BB142_10 Depth=1
	v_bfe_u32 v9, v13, 16, 1
	v_add3_u32 v12, v13, v9, s9
                                        ; implicit-def: $vgpr13
; %bb.34:                               ;   in Loop: Header=BB142_10 Depth=1
	s_andn2_saveexec_b64 s[2:3], s[0:1]
; %bb.35:                               ;   in Loop: Header=BB142_10 Depth=1
	v_or_b32_e32 v9, 0x10000, v13
	v_cmp_eq_u32_sdwa s[0:1], v13, v37 src0_sel:WORD_0 src1_sel:DWORD
	v_cndmask_b32_e64 v12, v9, v13, s[0:1]
; %bb.36:                               ;   in Loop: Header=BB142_10 Depth=1
	s_or_b64 exec, exec, s[2:3]
	v_and_b32_e32 v9, 0x7f800000, v10
	v_cmp_ne_u32_e64 s[0:1], s8, v9
                                        ; implicit-def: $vgpr13
	s_and_saveexec_b64 s[2:3], s[0:1]
	s_xor_b64 s[0:1], exec, s[2:3]
; %bb.37:                               ;   in Loop: Header=BB142_10 Depth=1
	v_bfe_u32 v9, v10, 16, 1
	v_add3_u32 v13, v10, v9, s9
; %bb.38:                               ;   in Loop: Header=BB142_10 Depth=1
	s_andn2_saveexec_b64 s[2:3], s[0:1]
; %bb.39:                               ;   in Loop: Header=BB142_10 Depth=1
	v_or_b32_e32 v9, 0x10000, v10
	v_cmp_eq_u32_sdwa s[0:1], v10, v37 src0_sel:WORD_0 src1_sel:DWORD
	v_cndmask_b32_e64 v13, v9, v10, s[0:1]
; %bb.40:                               ;   in Loop: Header=BB142_10 Depth=1
	s_or_b64 exec, exec, s[2:3]
	v_and_b32_e32 v9, 0x7f800000, v11
	v_cmp_ne_u32_e64 s[0:1], s8, v9
                                        ; implicit-def: $vgpr10
	s_and_saveexec_b64 s[2:3], s[0:1]
	s_xor_b64 s[0:1], exec, s[2:3]
; %bb.41:                               ;   in Loop: Header=BB142_10 Depth=1
	v_bfe_u32 v9, v11, 16, 1
	v_add3_u32 v10, v11, v9, s9
                                        ; implicit-def: $vgpr11
; %bb.42:                               ;   in Loop: Header=BB142_10 Depth=1
	s_andn2_saveexec_b64 s[2:3], s[0:1]
	s_cbranch_execz .LBB142_9
; %bb.43:                               ;   in Loop: Header=BB142_10 Depth=1
	v_or_b32_e32 v9, 0x10000, v11
	v_cmp_eq_u32_sdwa s[0:1], v11, v37 src0_sel:WORD_0 src1_sel:DWORD
	v_cndmask_b32_e64 v10, v9, v11, s[0:1]
	s_branch .LBB142_9
.LBB142_44:
	s_endpgm
	.section	.rodata,"a",@progbits
	.p2align	6, 0x0
	.amdhsa_kernel _ZN12tensorrt_llm7kernels32fusedQKNormRopeKernelNTokenHeadsIN3c108BFloat16ES3_Li256ELb1ELi8EEEvPviiifPKvS6_S6_PKlii
		.amdhsa_group_segment_fixed_size 0
		.amdhsa_private_segment_fixed_size 0
		.amdhsa_kernarg_size 320
		.amdhsa_user_sgpr_count 6
		.amdhsa_user_sgpr_private_segment_buffer 1
		.amdhsa_user_sgpr_dispatch_ptr 0
		.amdhsa_user_sgpr_queue_ptr 0
		.amdhsa_user_sgpr_kernarg_segment_ptr 1
		.amdhsa_user_sgpr_dispatch_id 0
		.amdhsa_user_sgpr_flat_scratch_init 0
		.amdhsa_user_sgpr_kernarg_preload_length 0
		.amdhsa_user_sgpr_kernarg_preload_offset 0
		.amdhsa_user_sgpr_private_segment_size 0
		.amdhsa_uses_dynamic_stack 0
		.amdhsa_system_sgpr_private_segment_wavefront_offset 0
		.amdhsa_system_sgpr_workgroup_id_x 1
		.amdhsa_system_sgpr_workgroup_id_y 0
		.amdhsa_system_sgpr_workgroup_id_z 0
		.amdhsa_system_sgpr_workgroup_info 0
		.amdhsa_system_vgpr_workitem_id 0
		.amdhsa_next_free_vgpr 52
		.amdhsa_next_free_sgpr 24
		.amdhsa_accum_offset 52
		.amdhsa_reserve_vcc 1
		.amdhsa_reserve_flat_scratch 0
		.amdhsa_float_round_mode_32 0
		.amdhsa_float_round_mode_16_64 0
		.amdhsa_float_denorm_mode_32 3
		.amdhsa_float_denorm_mode_16_64 3
		.amdhsa_dx10_clamp 1
		.amdhsa_ieee_mode 1
		.amdhsa_fp16_overflow 0
		.amdhsa_tg_split 0
		.amdhsa_exception_fp_ieee_invalid_op 0
		.amdhsa_exception_fp_denorm_src 0
		.amdhsa_exception_fp_ieee_div_zero 0
		.amdhsa_exception_fp_ieee_overflow 0
		.amdhsa_exception_fp_ieee_underflow 0
		.amdhsa_exception_fp_ieee_inexact 0
		.amdhsa_exception_int_div_zero 0
	.end_amdhsa_kernel
	.section	.text._ZN12tensorrt_llm7kernels32fusedQKNormRopeKernelNTokenHeadsIN3c108BFloat16ES3_Li256ELb1ELi8EEEvPviiifPKvS6_S6_PKlii,"axG",@progbits,_ZN12tensorrt_llm7kernels32fusedQKNormRopeKernelNTokenHeadsIN3c108BFloat16ES3_Li256ELb1ELi8EEEvPviiifPKvS6_S6_PKlii,comdat
.Lfunc_end142:
	.size	_ZN12tensorrt_llm7kernels32fusedQKNormRopeKernelNTokenHeadsIN3c108BFloat16ES3_Li256ELb1ELi8EEEvPviiifPKvS6_S6_PKlii, .Lfunc_end142-_ZN12tensorrt_llm7kernels32fusedQKNormRopeKernelNTokenHeadsIN3c108BFloat16ES3_Li256ELb1ELi8EEEvPviiifPKvS6_S6_PKlii
                                        ; -- End function
	.section	.AMDGPU.csdata,"",@progbits
; Kernel info:
; codeLenInByte = 2348
; NumSgprs: 28
; NumVgprs: 52
; NumAgprs: 0
; TotalNumVgprs: 52
; ScratchSize: 0
; MemoryBound: 0
; FloatMode: 240
; IeeeMode: 1
; LDSByteSize: 0 bytes/workgroup (compile time only)
; SGPRBlocks: 3
; VGPRBlocks: 6
; NumSGPRsForWavesPerEU: 28
; NumVGPRsForWavesPerEU: 52
; AccumOffset: 52
; Occupancy: 8
; WaveLimiterHint : 0
; COMPUTE_PGM_RSRC2:SCRATCH_EN: 0
; COMPUTE_PGM_RSRC2:USER_SGPR: 6
; COMPUTE_PGM_RSRC2:TRAP_HANDLER: 0
; COMPUTE_PGM_RSRC2:TGID_X_EN: 1
; COMPUTE_PGM_RSRC2:TGID_Y_EN: 0
; COMPUTE_PGM_RSRC2:TGID_Z_EN: 0
; COMPUTE_PGM_RSRC2:TIDIG_COMP_CNT: 0
; COMPUTE_PGM_RSRC3_GFX90A:ACCUM_OFFSET: 12
; COMPUTE_PGM_RSRC3_GFX90A:TG_SPLIT: 0
	.section	.text._ZN12tensorrt_llm7kernels32fusedQKNormRopeKernelNTokenHeadsIN3c108BFloat16ES3_Li256ELb0ELi8EEEvPviiifPKvS6_S6_PKlii,"axG",@progbits,_ZN12tensorrt_llm7kernels32fusedQKNormRopeKernelNTokenHeadsIN3c108BFloat16ES3_Li256ELb0ELi8EEEvPviiifPKvS6_S6_PKlii,comdat
	.protected	_ZN12tensorrt_llm7kernels32fusedQKNormRopeKernelNTokenHeadsIN3c108BFloat16ES3_Li256ELb0ELi8EEEvPviiifPKvS6_S6_PKlii ; -- Begin function _ZN12tensorrt_llm7kernels32fusedQKNormRopeKernelNTokenHeadsIN3c108BFloat16ES3_Li256ELb0ELi8EEEvPviiifPKvS6_S6_PKlii
	.globl	_ZN12tensorrt_llm7kernels32fusedQKNormRopeKernelNTokenHeadsIN3c108BFloat16ES3_Li256ELb0ELi8EEEvPviiifPKvS6_S6_PKlii
	.p2align	8
	.type	_ZN12tensorrt_llm7kernels32fusedQKNormRopeKernelNTokenHeadsIN3c108BFloat16ES3_Li256ELb0ELi8EEEvPviiifPKvS6_S6_PKlii,@function
_ZN12tensorrt_llm7kernels32fusedQKNormRopeKernelNTokenHeadsIN3c108BFloat16ES3_Li256ELb0ELi8EEEvPviiifPKvS6_S6_PKlii: ; @_ZN12tensorrt_llm7kernels32fusedQKNormRopeKernelNTokenHeadsIN3c108BFloat16ES3_Li256ELb0ELi8EEEvPviiifPKvS6_S6_PKlii
; %bb.0:
	s_load_dwordx4 s[12:15], s[4:5], 0x8
	s_load_dwordx2 s[2:3], s[4:5], 0x38
	s_load_dword s1, s[4:5], 0x4c
	v_lshrrev_b32_e32 v1, 5, v0
	s_waitcnt lgkmcnt(0)
	s_add_i32 s0, s13, s12
	s_add_i32 s7, s0, 7
	s_ashr_i32 s8, s7, 31
	s_lshr_b32 s8, s8, 29
	s_add_i32 s7, s7, s8
	s_ashr_i32 s20, s7, 3
	s_abs_i32 s7, s20
	v_cvt_f32_u32_e32 v2, s7
	s_bfe_u32 s1, s1, 0xb0005
	s_mul_i32 s6, s6, s1
	v_add_u32_e32 v3, s6, v1
	v_rcp_iflag_f32_e32 v2, v2
	s_sub_i32 s6, 0, s7
	v_sub_u32_e32 v4, 0, v3
	v_max_i32_e32 v4, v3, v4
	v_mul_f32_e32 v2, 0x4f7ffffe, v2
	v_cvt_u32_f32_e32 v2, v2
	v_xor_b32_e32 v5, s20, v3
	v_ashrrev_i32_e32 v5, 31, v5
	v_mul_lo_u32 v6, s6, v2
	v_mul_hi_u32 v6, v2, v6
	v_add_u32_e32 v2, v2, v6
	v_mul_hi_u32 v2, v4, v2
	v_mul_lo_u32 v6, v2, s7
	v_sub_u32_e32 v4, v4, v6
	v_add_u32_e32 v6, 1, v2
	v_cmp_le_u32_e32 vcc, s7, v4
	v_cndmask_b32_e32 v2, v2, v6, vcc
	v_subrev_u32_e32 v6, s7, v4
	v_cndmask_b32_e32 v4, v4, v6, vcc
	v_add_u32_e32 v6, 1, v2
	v_cmp_le_u32_e32 vcc, s7, v4
	v_cndmask_b32_e32 v2, v2, v6, vcc
	v_xor_b32_e32 v2, v2, v5
	v_sub_u32_e32 v2, v2, v5
	v_cmp_gt_i32_e32 vcc, s2, v2
	s_and_saveexec_b64 s[6:7], vcc
	s_cbranch_execz .LBB143_44
; %bb.1:
	v_mul_lo_u32 v4, v2, s20
	v_sub_u32_e32 v4, v3, v4
	s_load_dwordx2 s[16:17], s[4:5], 0x0
	v_lshlrev_b32_e32 v18, 3, v4
	v_add_u32_e32 v4, 8, v18
	v_sub_u32_e32 v5, s0, v18
	v_cmp_lt_i32_e32 vcc, s0, v4
	v_and_b32_e32 v6, 31, v0
	v_cndmask_b32_e32 v19, 8, v5, vcc
	s_lshl_b32 s2, s3, 1
	s_mul_i32 s21, s2, s1
	v_lshlrev_b32_e32 v7, 12, v1
	v_cmp_lt_i32_e64 s[0:1], 0, v19
	v_lshlrev_b32_e32 v17, 4, v6
	v_lshlrev_b32_e32 v16, 11, v3
	s_and_saveexec_b64 s[6:7], s[0:1]
	s_cbranch_execz .LBB143_4
; %bb.2:
	s_add_i32 s8, s21, 0
	v_add3_u32 v3, s8, v7, v17
	s_add_i32 s8, s14, s13
	s_add_i32 s8, s8, s12
	s_lshl_b32 s9, s20, 3
	s_sub_i32 s8, s8, s9
	v_mul_lo_u32 v4, s8, v2
	v_lshl_add_u32 v4, v4, 8, v16
	s_mov_b32 s10, 0
	v_lshl_or_b32 v4, v6, 3, v4
	s_mov_b64 s[8:9], 0
	s_waitcnt lgkmcnt(0)
	v_mov_b32_e32 v8, s17
.LBB143_3:                              ; =>This Inner Loop Header: Depth=1
	v_ashrrev_i32_e32 v5, 31, v4
	v_lshlrev_b64 v[10:11], 1, v[4:5]
	v_add_co_u32_e32 v10, vcc, s16, v10
	v_addc_co_u32_e32 v11, vcc, v8, v11, vcc
	global_load_dwordx4 v[10:13], v[10:11], off
	s_add_i32 s10, s10, 1
	v_cmp_ge_i32_e32 vcc, s10, v19
	v_add_u32_e32 v4, 0x100, v4
	s_or_b64 s[8:9], vcc, s[8:9]
	s_waitcnt vmcnt(0)
	ds_write_b128 v3, v[10:13]
	v_add_u32_e32 v3, 0x200, v3
	s_andn2_b64 exec, exec, s[8:9]
	s_cbranch_execnz .LBB143_3
.LBB143_4:
	s_or_b64 exec, exec, s[6:7]
	s_add_i32 s2, s2, 15
	s_load_dwordx8 s[4:11], s[4:5], 0x18
	s_ashr_i32 s18, s2, 31
	s_lshr_b32 s18, s18, 28
	s_add_i32 s2, s2, s18
	s_ashr_i32 s2, s2, 4
	v_cmp_gt_i32_e32 vcc, s2, v6
	v_mul_lo_u32 v4, v1, s3
	s_and_saveexec_b64 s[18:19], vcc
	s_cbranch_execz .LBB143_7
; %bb.5:
	v_ashrrev_i32_e32 v3, 31, v2
	v_lshlrev_b64 v[8:9], 3, v[2:3]
	s_waitcnt lgkmcnt(0)
	v_mov_b32_e32 v1, s11
	v_add_co_u32_e32 v8, vcc, s10, v8
	v_addc_co_u32_e32 v9, vcc, v1, v9, vcc
	global_load_dwordx2 v[8:9], v[8:9], off
	s_ashr_i32 s22, s3, 31
	v_lshlrev_b32_e32 v1, 1, v4
	v_and_b32_e32 v0, 31, v0
	v_add3_u32 v3, v1, v17, 0
	v_lshlrev_b32_e32 v10, 4, v0
	v_mov_b32_e32 v5, s9
	s_mov_b64 s[10:11], 0
	s_waitcnt vmcnt(0)
	v_mul_lo_u32 v9, v9, s3
	v_mul_lo_u32 v11, v8, s22
	v_mad_u64_u32 v[0:1], s[22:23], v8, s3, 0
	v_add3_u32 v1, v1, v11, v9
	v_lshlrev_b64 v[0:1], 1, v[0:1]
	v_add_co_u32_e32 v0, vcc, v0, v10
	v_addc_co_u32_e32 v1, vcc, 0, v1, vcc
	v_add_co_u32_e32 v0, vcc, s8, v0
	v_addc_co_u32_e32 v1, vcc, v5, v1, vcc
	v_mov_b32_e32 v5, v6
.LBB143_6:                              ; =>This Inner Loop Header: Depth=1
	global_load_dwordx4 v[8:11], v[0:1], off
	v_add_co_u32_e32 v0, vcc, 0x200, v0
	v_add_u32_e32 v5, 32, v5
	v_addc_co_u32_e32 v1, vcc, 0, v1, vcc
	v_cmp_le_i32_e32 vcc, s2, v5
	s_or_b64 s[10:11], vcc, s[10:11]
	s_waitcnt vmcnt(0)
	ds_write_b128 v3, v[8:11]
	v_add_u32_e32 v3, 0x200, v3
	s_andn2_b64 exec, exec, s[10:11]
	s_cbranch_execnz .LBB143_6
.LBB143_7:
	s_or_b64 exec, exec, s[18:19]
	s_and_b64 exec, exec, s[0:1]
	s_cbranch_execz .LBB143_44
; %bb.8:
	s_waitcnt lgkmcnt(0)
	global_load_dwordx4 v[8:11], v17, s[4:5]
	global_load_dwordx4 v[12:15], v17, s[6:7]
	v_mbcnt_lo_u32_b32 v1, -1, 0
	s_abs_i32 s4, s3
	v_mbcnt_hi_u32_b32 v1, -1, v1
	v_cvt_f32_u32_e32 v22, s4
	v_and_b32_e32 v20, 0x60, v1
	v_xor_b32_e32 v21, 16, v1
	v_add_u32_e32 v20, 32, v20
	v_xor_b32_e32 v23, 8, v1
	v_cmp_lt_i32_e32 vcc, v21, v20
	v_xor_b32_e32 v24, 4, v1
	v_cndmask_b32_e32 v21, v1, v21, vcc
	v_cmp_lt_i32_e32 vcc, v23, v20
	v_rcp_iflag_f32_e32 v29, v22
	v_xor_b32_e32 v25, 2, v1
	v_cndmask_b32_e32 v23, v1, v23, vcc
	v_cmp_lt_i32_e32 vcc, v24, v20
	s_ashr_i32 s1, s3, 31
	v_xor_b32_e32 v26, 1, v1
	v_cndmask_b32_e32 v24, v1, v24, vcc
	v_cmp_lt_i32_e32 vcc, v25, v20
	s_lshr_b32 s2, s1, 29
	s_lshr_b32 s1, s1, 28
	v_cndmask_b32_e32 v25, v1, v25, vcc
	v_cmp_lt_i32_e32 vcc, v26, v20
	s_lshr_b32 s0, s3, 31
	s_add_i32 s1, s3, s1
	v_cndmask_b32_e32 v26, v1, v26, vcc
	v_lshlrev_b32_e32 v20, 2, v21
	v_lshlrev_b32_e32 v21, 2, v23
	;; [unrolled: 1-line block ×3, first 2 shown]
	v_mul_f32_e32 v25, 0x4f7ffffe, v29
	s_add_i32 s0, s3, s0
	v_and_b32_e32 v27, 64, v1
	s_ashr_i32 s1, s1, 4
	v_lshlrev_b32_e32 v22, 2, v24
	v_lshlrev_b32_e32 v24, 2, v26
	v_cvt_u32_f32_e32 v26, v25
	v_lshl_add_u32 v0, v4, 1, 0
	s_and_b32 s0, s0, -2
	s_add_i32 s2, s3, s2
	v_add_u32_e32 v27, 64, v27
	v_xor_b32_e32 v28, s1, v1
	v_add_u32_e32 v49, s0, v0
	s_ashr_i32 s0, s2, 3
	v_cmp_lt_i32_e64 s[2:3], v28, v27
	s_sub_i32 s5, 0, s4
	v_cndmask_b32_e64 v1, v1, v28, s[2:3]
	v_lshlrev_b32_e32 v25, 2, v1
	v_mul_lo_u32 v1, s5, v26
	v_mul_hi_u32 v1, v26, v1
	v_add_u32_e32 v1, v26, v1
	v_mul_hi_u32 v26, v17, v1
	v_mul_lo_u32 v26, v26, s4
	v_or_b32_e32 v3, 2, v17
	v_sub_u32_e32 v26, v17, v26
	v_subrev_u32_e32 v27, s4, v26
	v_cmp_le_u32_e64 s[2:3], s4, v26
	v_mul_hi_u32 v36, v3, v1
	v_cndmask_b32_e64 v26, v26, v27, s[2:3]
	v_mul_lo_u32 v36, v36, s4
	v_subrev_u32_e32 v27, s4, v26
	v_cmp_le_u32_e64 s[2:3], s4, v26
	v_sub_u32_e32 v3, v3, v36
	v_cndmask_b32_e64 v26, v26, v27, s[2:3]
	v_subrev_u32_e32 v36, s4, v3
	v_cmp_le_u32_e64 s[2:3], s4, v3
	v_cndmask_b32_e64 v3, v3, v36, s[2:3]
	v_subrev_u32_e32 v36, s4, v3
	v_cmp_le_u32_e64 s[2:3], s4, v3
	v_cndmask_b32_e64 v3, v3, v36, s[2:3]
	v_or_b32_e32 v4, 4, v17
	v_and_b32_e32 v3, -2, v3
	v_add_u32_e32 v36, v0, v3
	v_add_u32_e32 v37, v49, v3
	v_mul_hi_u32 v3, v4, v1
	v_mul_lo_u32 v3, v3, s4
	v_sub_u32_e32 v3, v4, v3
	v_subrev_u32_e32 v4, s4, v3
	v_cmp_le_u32_e64 s[2:3], s4, v3
	v_cndmask_b32_e64 v3, v3, v4, s[2:3]
	v_subrev_u32_e32 v4, s4, v3
	v_cmp_le_u32_e64 s[2:3], s4, v3
	v_cndmask_b32_e64 v3, v3, v4, s[2:3]
	v_or_b32_e32 v5, 6, v17
	v_and_b32_e32 v3, -2, v3
	v_add_u32_e32 v38, v0, v3
	v_add_u32_e32 v39, v49, v3
	v_mul_hi_u32 v3, v5, v1
	v_mul_lo_u32 v3, v3, s4
	v_sub_u32_e32 v3, v5, v3
	;; [unrolled: 13-line block ×5, first 2 shown]
	v_subrev_u32_e32 v4, s4, v3
	v_cmp_le_u32_e64 s[2:3], s4, v3
	v_or_b32_e32 v48, 14, v17
	v_cndmask_b32_e64 v3, v3, v4, s[2:3]
	v_subrev_u32_e32 v4, s4, v3
	v_cmp_le_u32_e64 s[2:3], s4, v3
	v_mul_hi_u32 v1, v48, v1
	v_cndmask_b32_e64 v3, v3, v4, s[2:3]
	v_mul_lo_u32 v1, v1, s4
	v_and_b32_e32 v3, -2, v3
	v_sub_u32_e32 v1, v48, v1
	v_add_u32_e32 v46, v0, v3
	v_add_u32_e32 v47, v49, v3
	v_subrev_u32_e32 v3, s4, v1
	v_cmp_le_u32_e64 s[2:3], s4, v1
	v_cndmask_b32_e64 v1, v1, v3, s[2:3]
	v_subrev_u32_e32 v3, s4, v1
	v_cmp_le_u32_e64 s[2:3], s4, v1
	v_cndmask_b32_e64 v1, v1, v3, s[2:3]
	s_add_i32 s2, s14, s13
	s_add_i32 s2, s2, s12
	s_lshl_b32 s3, s20, 3
	v_and_b32_e32 v35, -2, v26
	v_and_b32_e32 v1, -2, v1
	s_sub_i32 s2, s2, s3
	v_add_u32_e32 v34, v0, v35
	v_add_u32_e32 v48, v0, v1
	v_mul_lo_u32 v0, s2, v2
	v_lshl_add_u32 v0, v0, 8, v16
	v_lshl_or_b32 v16, v6, 3, v0
	v_add_u32_e32 v0, s21, v7
	s_mov_b32 s8, 0
	v_cmp_gt_i32_e32 vcc, s0, v6
	v_cmp_gt_i32_e64 s[0:1], s1, v6
	s_waitcnt vmcnt(1)
	v_lshrrev_b32_e32 v26, 16, v8
	v_lshrrev_b32_e32 v27, 16, v9
	;; [unrolled: 1-line block ×4, first 2 shown]
	s_waitcnt vmcnt(0)
	v_lshrrev_b32_e32 v30, 16, v12
	v_lshrrev_b32_e32 v31, 16, v13
	;; [unrolled: 1-line block ×4, first 2 shown]
	v_add_u32_e32 v35, v49, v35
	v_add_u32_e32 v49, v49, v1
	v_add3_u32 v50, v0, v17, 0
	s_mov_b64 s[6:7], 0
	s_mov_b32 s9, 0x800000
	s_mov_b32 s10, 0x7f800000
	s_movk_i32 s11, 0x7fff
	s_mov_b32 s13, 0x7060302
	v_mov_b32_e32 v51, 0
	s_branch .LBB143_10
.LBB143_9:                              ;   in Loop: Header=BB143_10 Depth=1
	s_or_b64 exec, exec, s[4:5]
	v_ashrrev_i32_e32 v17, 31, v16
	v_lshlrev_b64 v[0:1], 1, v[16:17]
	v_mov_b32_e32 v2, s17
	v_add_co_u32_e64 v4, s[2:3], s16, v0
	v_addc_co_u32_e64 v5, s[2:3], v2, v1, s[2:3]
	s_add_i32 s8, s8, 1
	v_cmp_ge_i32_e64 s[2:3], s8, v19
	v_perm_b32 v3, v59, v58, s13
	v_perm_b32 v2, v57, v56, s13
	;; [unrolled: 1-line block ×4, first 2 shown]
	v_add_u32_e32 v16, 0x100, v16
	s_or_b64 s[6:7], s[2:3], s[6:7]
	v_add_u32_e32 v50, 0x200, v50
	global_store_dwordx4 v[4:5], v[0:3], off
	s_andn2_b64 exec, exec, s[6:7]
	s_cbranch_execz .LBB143_44
.LBB143_10:                             ; =>This Inner Loop Header: Depth=1
	ds_read_b128 v[0:3], v50
	s_waitcnt lgkmcnt(0)
	v_and_b32_e32 v54, 0xffff0000, v0
	v_lshlrev_b32_e32 v17, 16, v0
	v_and_b32_e32 v5, 0xffff0000, v1
	v_lshlrev_b32_e32 v4, 16, v1
	v_mul_f32_e32 v6, v54, v54
	v_pk_mul_f32 v[0:1], v[4:5], v[4:5]
	v_fmac_f32_e32 v6, v17, v17
	v_add_f32_e32 v0, v6, v0
	v_and_b32_e32 v7, 0xffff0000, v2
	v_lshlrev_b32_e32 v6, 16, v2
	v_add_f32_e32 v52, v0, v1
	v_pk_mul_f32 v[0:1], v[6:7], v[6:7]
	v_add_f32_e32 v0, v52, v0
	v_and_b32_e32 v53, 0xffff0000, v3
	v_lshlrev_b32_e32 v52, 16, v3
	v_add_f32_e32 v2, v0, v1
	v_pk_mul_f32 v[0:1], v[52:53], v[52:53]
	v_add_f32_e32 v0, v2, v0
	v_add_f32_e32 v0, v0, v1
	ds_bpermute_b32 v1, v20, v0
	v_mov_b32_e32 v3, s15
	v_add_u32_e32 v2, s8, v18
	v_cmp_gt_i32_e64 s[2:3], s12, v2
	v_cndmask_b32_e64 v56, v13, v9, s[2:3]
	s_waitcnt lgkmcnt(0)
	v_add_f32_e32 v0, v0, v1
	ds_bpermute_b32 v1, v21, v0
	v_cndmask_b32_e64 v2, v12, v8, s[2:3]
	v_cndmask_b32_e64 v55, v30, v26, s[2:3]
	;; [unrolled: 1-line block ×3, first 2 shown]
	v_lshlrev_b32_e32 v2, 16, v2
	s_waitcnt lgkmcnt(0)
	v_add_f32_e32 v0, v0, v1
	ds_bpermute_b32 v1, v22, v0
	s_waitcnt lgkmcnt(0)
	v_add_f32_e32 v0, v0, v1
	ds_bpermute_b32 v1, v23, v0
	;; [unrolled: 3-line block ×3, first 2 shown]
	s_waitcnt lgkmcnt(0)
	v_add_f32_e32 v0, v0, v1
	v_fmac_f32_e32 v3, 0x3b800000, v0
	v_mul_f32_e32 v0, 0x4b800000, v3
	v_cmp_gt_f32_e64 s[4:5], s9, v3
	v_cndmask_b32_e64 v0, v3, v0, s[4:5]
	v_rsq_f32_e32 v0, v0
	v_lshlrev_b32_e32 v3, 16, v56
	v_lshlrev_b32_e32 v1, 16, v55
	;; [unrolled: 1-line block ×3, first 2 shown]
	v_mul_f32_e32 v56, 0x45800000, v0
	v_cndmask_b32_e64 v56, v0, v56, s[4:5]
	v_mul_f32_e32 v0, v56, v2
	v_mul_f32_e32 v2, v56, v3
	;; [unrolled: 1-line block ×5, first 2 shown]
	v_cndmask_b32_e64 v4, v14, v10, s[2:3]
	v_cndmask_b32_e64 v5, v32, v28, s[2:3]
	v_lshlrev_b32_e32 v4, 16, v4
	v_lshlrev_b32_e32 v5, 16, v5
	v_mul_f32_e32 v4, v56, v4
	v_mul_f32_e32 v5, v56, v5
	v_mul_f32_e32 v4, v4, v6
	v_mul_f32_e32 v5, v5, v7
	v_cndmask_b32_e64 v6, v15, v11, s[2:3]
	v_cndmask_b32_e64 v7, v33, v29, s[2:3]
	v_lshlrev_b32_e32 v6, 16, v6
	v_lshlrev_b32_e32 v7, 16, v7
	v_mul_f32_e32 v1, v56, v1
	v_mul_f32_e32 v6, v56, v6
	;; [unrolled: 1-line block ×7, first 2 shown]
	s_and_saveexec_b64 s[2:3], vcc
	s_cbranch_execz .LBB143_12
; %bb.11:                               ;   in Loop: Header=BB143_10 Depth=1
	ds_bpermute_b32 v17, v25, v0
	ds_bpermute_b32 v53, v25, v1
	; wave barrier
	ds_read_u16 v52, v34
	ds_read_u16 v54, v35
	;; [unrolled: 1-line block ×8, first 2 shown]
	s_waitcnt lgkmcnt(9)
	v_cndmask_b32_e64 v17, v17, -v17, s[0:1]
	s_waitcnt lgkmcnt(7)
	v_lshlrev_b32_e32 v61, 16, v52
	s_waitcnt lgkmcnt(6)
	v_lshlrev_b32_e32 v52, 16, v54
	v_mul_f32_e32 v52, v17, v52
	v_fmac_f32_e32 v52, v0, v61
	v_cndmask_b32_e64 v0, v53, -v53, s[0:1]
	s_waitcnt lgkmcnt(4)
	v_lshlrev_b32_e32 v53, 16, v56
	ds_bpermute_b32 v17, v25, v2
	v_lshlrev_b32_e32 v54, 16, v55
	v_mul_f32_e32 v53, v0, v53
	v_fmac_f32_e32 v53, v1, v54
	ds_bpermute_b32 v1, v25, v3
	s_waitcnt lgkmcnt(1)
	v_cndmask_b32_e64 v0, v17, -v17, s[0:1]
	v_lshlrev_b32_e32 v54, 16, v58
	v_mul_f32_e32 v54, v0, v54
	v_lshlrev_b32_e32 v17, 16, v57
	s_waitcnt lgkmcnt(0)
	v_cndmask_b32_e64 v0, v1, -v1, s[0:1]
	ds_bpermute_b32 v1, v25, v4
	v_fmac_f32_e32 v54, v2, v17
	v_lshlrev_b32_e32 v17, 16, v60
	v_mul_f32_e32 v55, v0, v17
	v_lshlrev_b32_e32 v2, 16, v59
	s_waitcnt lgkmcnt(0)
	v_cndmask_b32_e64 v0, v1, -v1, s[0:1]
	ds_bpermute_b32 v1, v25, v5
	v_fmac_f32_e32 v55, v3, v2
	ds_read_u16 v2, v42
	ds_read_u16 v3, v43
	;; [unrolled: 1-line block ×8, first 2 shown]
	s_waitcnt lgkmcnt(6)
	v_lshlrev_b32_e32 v3, 16, v3
	v_mul_f32_e32 v56, v0, v3
	v_cndmask_b32_e64 v0, v1, -v1, s[0:1]
	ds_bpermute_b32 v1, v25, v6
	s_waitcnt lgkmcnt(5)
	v_lshlrev_b32_e32 v3, 16, v57
	v_mul_f32_e32 v57, v0, v3
	v_lshlrev_b32_e32 v2, 16, v2
	v_fmac_f32_e32 v56, v4, v2
	s_waitcnt lgkmcnt(0)
	v_cndmask_b32_e64 v0, v1, -v1, s[0:1]
	ds_bpermute_b32 v1, v25, v7
	v_lshlrev_b32_e32 v2, 16, v17
	v_lshlrev_b32_e32 v3, 16, v59
	v_fmac_f32_e32 v57, v5, v2
	v_lshlrev_b32_e32 v2, 16, v58
	v_mul_f32_e32 v58, v0, v3
	v_fmac_f32_e32 v58, v6, v2
	s_waitcnt lgkmcnt(0)
	v_cndmask_b32_e64 v0, v1, -v1, s[0:1]
	v_lshlrev_b32_e32 v2, 16, v61
	v_lshlrev_b32_e32 v1, 16, v60
	v_mul_f32_e32 v59, v0, v2
	v_fmac_f32_e32 v59, v7, v1
	v_pk_mov_b32 v[0:1], v[52:53], v[52:53] op_sel:[0,1]
	v_pk_mov_b32 v[2:3], v[54:55], v[54:55] op_sel:[0,1]
	;; [unrolled: 1-line block ×4, first 2 shown]
	; wave barrier
.LBB143_12:                             ;   in Loop: Header=BB143_10 Depth=1
	s_or_b64 exec, exec, s[2:3]
	v_and_b32_e32 v17, 0x7f800000, v0
	v_cmp_ne_u32_e64 s[2:3], s10, v17
                                        ; implicit-def: $vgpr52
	s_and_saveexec_b64 s[4:5], s[2:3]
	s_xor_b64 s[2:3], exec, s[4:5]
; %bb.13:                               ;   in Loop: Header=BB143_10 Depth=1
	v_bfe_u32 v17, v0, 16, 1
	v_add3_u32 v52, v0, v17, s11
; %bb.14:                               ;   in Loop: Header=BB143_10 Depth=1
	s_andn2_saveexec_b64 s[4:5], s[2:3]
; %bb.15:                               ;   in Loop: Header=BB143_10 Depth=1
	v_or_b32_e32 v17, 0x10000, v0
	v_cmp_eq_u32_sdwa s[2:3], v0, v51 src0_sel:WORD_0 src1_sel:DWORD
	v_cndmask_b32_e64 v52, v17, v0, s[2:3]
; %bb.16:                               ;   in Loop: Header=BB143_10 Depth=1
	s_or_b64 exec, exec, s[4:5]
	v_and_b32_e32 v0, 0x7f800000, v1
	v_cmp_ne_u32_e64 s[2:3], s10, v0
                                        ; implicit-def: $vgpr53
	s_and_saveexec_b64 s[4:5], s[2:3]
	s_xor_b64 s[2:3], exec, s[4:5]
; %bb.17:                               ;   in Loop: Header=BB143_10 Depth=1
	v_bfe_u32 v0, v1, 16, 1
	v_add3_u32 v53, v1, v0, s11
; %bb.18:                               ;   in Loop: Header=BB143_10 Depth=1
	s_andn2_saveexec_b64 s[4:5], s[2:3]
; %bb.19:                               ;   in Loop: Header=BB143_10 Depth=1
	v_or_b32_e32 v0, 0x10000, v1
	v_cmp_eq_u32_sdwa s[2:3], v1, v51 src0_sel:WORD_0 src1_sel:DWORD
	v_cndmask_b32_e64 v53, v0, v1, s[2:3]
; %bb.20:                               ;   in Loop: Header=BB143_10 Depth=1
	s_or_b64 exec, exec, s[4:5]
	v_and_b32_e32 v0, 0x7f800000, v2
	v_cmp_ne_u32_e64 s[2:3], s10, v0
                                        ; implicit-def: $vgpr54
	s_and_saveexec_b64 s[4:5], s[2:3]
	s_xor_b64 s[2:3], exec, s[4:5]
; %bb.21:                               ;   in Loop: Header=BB143_10 Depth=1
	v_bfe_u32 v0, v2, 16, 1
	v_add3_u32 v54, v2, v0, s11
; %bb.22:                               ;   in Loop: Header=BB143_10 Depth=1
	s_andn2_saveexec_b64 s[4:5], s[2:3]
; %bb.23:                               ;   in Loop: Header=BB143_10 Depth=1
	v_or_b32_e32 v0, 0x10000, v2
	v_cmp_eq_u32_sdwa s[2:3], v2, v51 src0_sel:WORD_0 src1_sel:DWORD
	v_cndmask_b32_e64 v54, v0, v2, s[2:3]
; %bb.24:                               ;   in Loop: Header=BB143_10 Depth=1
	s_or_b64 exec, exec, s[4:5]
	v_and_b32_e32 v0, 0x7f800000, v3
	v_cmp_ne_u32_e64 s[2:3], s10, v0
                                        ; implicit-def: $vgpr55
	s_and_saveexec_b64 s[4:5], s[2:3]
	s_xor_b64 s[2:3], exec, s[4:5]
; %bb.25:                               ;   in Loop: Header=BB143_10 Depth=1
	v_bfe_u32 v0, v3, 16, 1
	v_add3_u32 v55, v3, v0, s11
; %bb.26:                               ;   in Loop: Header=BB143_10 Depth=1
	s_andn2_saveexec_b64 s[4:5], s[2:3]
; %bb.27:                               ;   in Loop: Header=BB143_10 Depth=1
	v_or_b32_e32 v0, 0x10000, v3
	v_cmp_eq_u32_sdwa s[2:3], v3, v51 src0_sel:WORD_0 src1_sel:DWORD
	v_cndmask_b32_e64 v55, v0, v3, s[2:3]
; %bb.28:                               ;   in Loop: Header=BB143_10 Depth=1
	s_or_b64 exec, exec, s[4:5]
	v_and_b32_e32 v0, 0x7f800000, v4
	v_cmp_ne_u32_e64 s[2:3], s10, v0
                                        ; implicit-def: $vgpr56
	s_and_saveexec_b64 s[4:5], s[2:3]
	s_xor_b64 s[2:3], exec, s[4:5]
; %bb.29:                               ;   in Loop: Header=BB143_10 Depth=1
	v_bfe_u32 v0, v4, 16, 1
	v_add3_u32 v56, v4, v0, s11
; %bb.30:                               ;   in Loop: Header=BB143_10 Depth=1
	s_andn2_saveexec_b64 s[4:5], s[2:3]
; %bb.31:                               ;   in Loop: Header=BB143_10 Depth=1
	v_or_b32_e32 v0, 0x10000, v4
	v_cmp_eq_u32_sdwa s[2:3], v4, v51 src0_sel:WORD_0 src1_sel:DWORD
	v_cndmask_b32_e64 v56, v0, v4, s[2:3]
; %bb.32:                               ;   in Loop: Header=BB143_10 Depth=1
	s_or_b64 exec, exec, s[4:5]
	v_and_b32_e32 v0, 0x7f800000, v5
	v_cmp_ne_u32_e64 s[2:3], s10, v0
                                        ; implicit-def: $vgpr57
	s_and_saveexec_b64 s[4:5], s[2:3]
	s_xor_b64 s[2:3], exec, s[4:5]
; %bb.33:                               ;   in Loop: Header=BB143_10 Depth=1
	v_bfe_u32 v0, v5, 16, 1
	v_add3_u32 v57, v5, v0, s11
; %bb.34:                               ;   in Loop: Header=BB143_10 Depth=1
	s_andn2_saveexec_b64 s[4:5], s[2:3]
; %bb.35:                               ;   in Loop: Header=BB143_10 Depth=1
	v_or_b32_e32 v0, 0x10000, v5
	v_cmp_eq_u32_sdwa s[2:3], v5, v51 src0_sel:WORD_0 src1_sel:DWORD
	v_cndmask_b32_e64 v57, v0, v5, s[2:3]
; %bb.36:                               ;   in Loop: Header=BB143_10 Depth=1
	s_or_b64 exec, exec, s[4:5]
	v_and_b32_e32 v0, 0x7f800000, v6
	v_cmp_ne_u32_e64 s[2:3], s10, v0
                                        ; implicit-def: $vgpr58
	s_and_saveexec_b64 s[4:5], s[2:3]
	s_xor_b64 s[2:3], exec, s[4:5]
; %bb.37:                               ;   in Loop: Header=BB143_10 Depth=1
	v_bfe_u32 v0, v6, 16, 1
	v_add3_u32 v58, v6, v0, s11
; %bb.38:                               ;   in Loop: Header=BB143_10 Depth=1
	s_andn2_saveexec_b64 s[4:5], s[2:3]
; %bb.39:                               ;   in Loop: Header=BB143_10 Depth=1
	v_or_b32_e32 v0, 0x10000, v6
	v_cmp_eq_u32_sdwa s[2:3], v6, v51 src0_sel:WORD_0 src1_sel:DWORD
	v_cndmask_b32_e64 v58, v0, v6, s[2:3]
; %bb.40:                               ;   in Loop: Header=BB143_10 Depth=1
	s_or_b64 exec, exec, s[4:5]
	v_and_b32_e32 v0, 0x7f800000, v7
	v_cmp_ne_u32_e64 s[2:3], s10, v0
                                        ; implicit-def: $vgpr59
	s_and_saveexec_b64 s[4:5], s[2:3]
	s_xor_b64 s[2:3], exec, s[4:5]
; %bb.41:                               ;   in Loop: Header=BB143_10 Depth=1
	v_bfe_u32 v0, v7, 16, 1
	v_add3_u32 v59, v7, v0, s11
                                        ; implicit-def: $vgpr0_vgpr1_vgpr2_vgpr3_vgpr4_vgpr5_vgpr6_vgpr7
; %bb.42:                               ;   in Loop: Header=BB143_10 Depth=1
	s_andn2_saveexec_b64 s[4:5], s[2:3]
	s_cbranch_execz .LBB143_9
; %bb.43:                               ;   in Loop: Header=BB143_10 Depth=1
	v_or_b32_e32 v0, 0x10000, v7
	v_cmp_eq_u32_sdwa s[2:3], v7, v51 src0_sel:WORD_0 src1_sel:DWORD
	v_cndmask_b32_e64 v59, v0, v7, s[2:3]
	s_branch .LBB143_9
.LBB143_44:
	s_endpgm
	.section	.rodata,"a",@progbits
	.p2align	6, 0x0
	.amdhsa_kernel _ZN12tensorrt_llm7kernels32fusedQKNormRopeKernelNTokenHeadsIN3c108BFloat16ES3_Li256ELb0ELi8EEEvPviiifPKvS6_S6_PKlii
		.amdhsa_group_segment_fixed_size 0
		.amdhsa_private_segment_fixed_size 0
		.amdhsa_kernarg_size 320
		.amdhsa_user_sgpr_count 6
		.amdhsa_user_sgpr_private_segment_buffer 1
		.amdhsa_user_sgpr_dispatch_ptr 0
		.amdhsa_user_sgpr_queue_ptr 0
		.amdhsa_user_sgpr_kernarg_segment_ptr 1
		.amdhsa_user_sgpr_dispatch_id 0
		.amdhsa_user_sgpr_flat_scratch_init 0
		.amdhsa_user_sgpr_kernarg_preload_length 0
		.amdhsa_user_sgpr_kernarg_preload_offset 0
		.amdhsa_user_sgpr_private_segment_size 0
		.amdhsa_uses_dynamic_stack 0
		.amdhsa_system_sgpr_private_segment_wavefront_offset 0
		.amdhsa_system_sgpr_workgroup_id_x 1
		.amdhsa_system_sgpr_workgroup_id_y 0
		.amdhsa_system_sgpr_workgroup_id_z 0
		.amdhsa_system_sgpr_workgroup_info 0
		.amdhsa_system_vgpr_workitem_id 0
		.amdhsa_next_free_vgpr 62
		.amdhsa_next_free_sgpr 24
		.amdhsa_accum_offset 64
		.amdhsa_reserve_vcc 1
		.amdhsa_reserve_flat_scratch 0
		.amdhsa_float_round_mode_32 0
		.amdhsa_float_round_mode_16_64 0
		.amdhsa_float_denorm_mode_32 3
		.amdhsa_float_denorm_mode_16_64 3
		.amdhsa_dx10_clamp 1
		.amdhsa_ieee_mode 1
		.amdhsa_fp16_overflow 0
		.amdhsa_tg_split 0
		.amdhsa_exception_fp_ieee_invalid_op 0
		.amdhsa_exception_fp_denorm_src 0
		.amdhsa_exception_fp_ieee_div_zero 0
		.amdhsa_exception_fp_ieee_overflow 0
		.amdhsa_exception_fp_ieee_underflow 0
		.amdhsa_exception_fp_ieee_inexact 0
		.amdhsa_exception_int_div_zero 0
	.end_amdhsa_kernel
	.section	.text._ZN12tensorrt_llm7kernels32fusedQKNormRopeKernelNTokenHeadsIN3c108BFloat16ES3_Li256ELb0ELi8EEEvPviiifPKvS6_S6_PKlii,"axG",@progbits,_ZN12tensorrt_llm7kernels32fusedQKNormRopeKernelNTokenHeadsIN3c108BFloat16ES3_Li256ELb0ELi8EEEvPviiifPKvS6_S6_PKlii,comdat
.Lfunc_end143:
	.size	_ZN12tensorrt_llm7kernels32fusedQKNormRopeKernelNTokenHeadsIN3c108BFloat16ES3_Li256ELb0ELi8EEEvPviiifPKvS6_S6_PKlii, .Lfunc_end143-_ZN12tensorrt_llm7kernels32fusedQKNormRopeKernelNTokenHeadsIN3c108BFloat16ES3_Li256ELb0ELi8EEEvPviiifPKvS6_S6_PKlii
                                        ; -- End function
	.section	.AMDGPU.csdata,"",@progbits
; Kernel info:
; codeLenInByte = 3296
; NumSgprs: 28
; NumVgprs: 62
; NumAgprs: 0
; TotalNumVgprs: 62
; ScratchSize: 0
; MemoryBound: 0
; FloatMode: 240
; IeeeMode: 1
; LDSByteSize: 0 bytes/workgroup (compile time only)
; SGPRBlocks: 3
; VGPRBlocks: 7
; NumSGPRsForWavesPerEU: 28
; NumVGPRsForWavesPerEU: 62
; AccumOffset: 64
; Occupancy: 8
; WaveLimiterHint : 0
; COMPUTE_PGM_RSRC2:SCRATCH_EN: 0
; COMPUTE_PGM_RSRC2:USER_SGPR: 6
; COMPUTE_PGM_RSRC2:TRAP_HANDLER: 0
; COMPUTE_PGM_RSRC2:TGID_X_EN: 1
; COMPUTE_PGM_RSRC2:TGID_Y_EN: 0
; COMPUTE_PGM_RSRC2:TGID_Z_EN: 0
; COMPUTE_PGM_RSRC2:TIDIG_COMP_CNT: 0
; COMPUTE_PGM_RSRC3_GFX90A:ACCUM_OFFSET: 15
; COMPUTE_PGM_RSRC3_GFX90A:TG_SPLIT: 0
	.text
	.p2alignl 6, 3212836864
	.fill 256, 4, 3212836864
	.type	__hip_cuid_38240f8136ca3c2c,@object ; @__hip_cuid_38240f8136ca3c2c
	.section	.bss,"aw",@nobits
	.globl	__hip_cuid_38240f8136ca3c2c
__hip_cuid_38240f8136ca3c2c:
	.byte	0                               ; 0x0
	.size	__hip_cuid_38240f8136ca3c2c, 1

	.ident	"AMD clang version 19.0.0git (https://github.com/RadeonOpenCompute/llvm-project roc-6.4.0 25133 c7fe45cf4b819c5991fe208aaa96edf142730f1d)"
	.section	".note.GNU-stack","",@progbits
	.addrsig
	.addrsig_sym __hip_cuid_38240f8136ca3c2c
	.amdgpu_metadata
---
amdhsa.kernels:
  - .agpr_count:     0
    .args:
      - .address_space:  global
        .offset:         0
        .size:           8
        .value_kind:     global_buffer
      - .offset:         8
        .size:           4
        .value_kind:     by_value
      - .offset:         12
        .size:           4
        .value_kind:     by_value
      - .offset:         16
        .size:           4
        .value_kind:     by_value
      - .offset:         20
        .size:           4
        .value_kind:     by_value
      - .address_space:  global
        .offset:         24
        .size:           8
        .value_kind:     global_buffer
      - .address_space:  global
        .offset:         32
        .size:           8
        .value_kind:     global_buffer
      - .address_space:  global
        .offset:         40
        .size:           8
        .value_kind:     global_buffer
      - .address_space:  global
        .offset:         48
        .size:           8
        .value_kind:     global_buffer
      - .offset:         56
        .size:           4
        .value_kind:     by_value
      - .offset:         60
        .size:           4
        .value_kind:     by_value
      - .offset:         64
        .size:           4
        .value_kind:     hidden_block_count_x
      - .offset:         68
        .size:           4
        .value_kind:     hidden_block_count_y
      - .offset:         72
        .size:           4
        .value_kind:     hidden_block_count_z
      - .offset:         76
        .size:           2
        .value_kind:     hidden_group_size_x
      - .offset:         78
        .size:           2
        .value_kind:     hidden_group_size_y
      - .offset:         80
        .size:           2
        .value_kind:     hidden_group_size_z
      - .offset:         82
        .size:           2
        .value_kind:     hidden_remainder_x
      - .offset:         84
        .size:           2
        .value_kind:     hidden_remainder_y
      - .offset:         86
        .size:           2
        .value_kind:     hidden_remainder_z
      - .offset:         104
        .size:           8
        .value_kind:     hidden_global_offset_x
      - .offset:         112
        .size:           8
        .value_kind:     hidden_global_offset_y
      - .offset:         120
        .size:           8
        .value_kind:     hidden_global_offset_z
      - .offset:         128
        .size:           2
        .value_kind:     hidden_grid_dims
    .group_segment_fixed_size: 0
    .kernarg_segment_align: 8
    .kernarg_segment_size: 320
    .language:       OpenCL C
    .language_version:
      - 2
      - 0
    .max_flat_workgroup_size: 1024
    .name:           _ZN12tensorrt_llm7kernels21fusedQKNormRopeKernelIN3c104HalfEfLi64ELb1EEEvPviiifPKvS6_S6_PKlii
    .private_segment_fixed_size: 0
    .sgpr_count:     18
    .sgpr_spill_count: 0
    .symbol:         _ZN12tensorrt_llm7kernels21fusedQKNormRopeKernelIN3c104HalfEfLi64ELb1EEEvPviiifPKvS6_S6_PKlii.kd
    .uniform_work_group_size: 1
    .uses_dynamic_stack: false
    .vgpr_count:     13
    .vgpr_spill_count: 0
    .wavefront_size: 64
  - .agpr_count:     0
    .args:
      - .address_space:  global
        .offset:         0
        .size:           8
        .value_kind:     global_buffer
      - .offset:         8
        .size:           4
        .value_kind:     by_value
      - .offset:         12
        .size:           4
        .value_kind:     by_value
      - .offset:         16
        .size:           4
        .value_kind:     by_value
      - .offset:         20
        .size:           4
        .value_kind:     by_value
      - .address_space:  global
        .offset:         24
        .size:           8
        .value_kind:     global_buffer
      - .address_space:  global
        .offset:         32
        .size:           8
        .value_kind:     global_buffer
      - .address_space:  global
        .offset:         40
        .size:           8
        .value_kind:     global_buffer
      - .address_space:  global
        .offset:         48
        .size:           8
        .value_kind:     global_buffer
      - .offset:         56
        .size:           4
        .value_kind:     by_value
      - .offset:         60
        .size:           4
        .value_kind:     by_value
      - .offset:         64
        .size:           4
        .value_kind:     hidden_block_count_x
      - .offset:         68
        .size:           4
        .value_kind:     hidden_block_count_y
      - .offset:         72
        .size:           4
        .value_kind:     hidden_block_count_z
      - .offset:         76
        .size:           2
        .value_kind:     hidden_group_size_x
      - .offset:         78
        .size:           2
        .value_kind:     hidden_group_size_y
      - .offset:         80
        .size:           2
        .value_kind:     hidden_group_size_z
      - .offset:         82
        .size:           2
        .value_kind:     hidden_remainder_x
      - .offset:         84
        .size:           2
        .value_kind:     hidden_remainder_y
      - .offset:         86
        .size:           2
        .value_kind:     hidden_remainder_z
      - .offset:         104
        .size:           8
        .value_kind:     hidden_global_offset_x
      - .offset:         112
        .size:           8
        .value_kind:     hidden_global_offset_y
      - .offset:         120
        .size:           8
        .value_kind:     hidden_global_offset_z
      - .offset:         128
        .size:           2
        .value_kind:     hidden_grid_dims
    .group_segment_fixed_size: 0
    .kernarg_segment_align: 8
    .kernarg_segment_size: 320
    .language:       OpenCL C
    .language_version:
      - 2
      - 0
    .max_flat_workgroup_size: 1024
    .name:           _ZN12tensorrt_llm7kernels21fusedQKNormRopeKernelIN3c104HalfEfLi64ELb0EEEvPviiifPKvS6_S6_PKlii
    .private_segment_fixed_size: 0
    .sgpr_count:     18
    .sgpr_spill_count: 0
    .symbol:         _ZN12tensorrt_llm7kernels21fusedQKNormRopeKernelIN3c104HalfEfLi64ELb0EEEvPviiifPKvS6_S6_PKlii.kd
    .uniform_work_group_size: 1
    .uses_dynamic_stack: false
    .vgpr_count:     19
    .vgpr_spill_count: 0
    .wavefront_size: 64
  - .agpr_count:     0
    .args:
      - .address_space:  global
        .offset:         0
        .size:           8
        .value_kind:     global_buffer
      - .offset:         8
        .size:           4
        .value_kind:     by_value
      - .offset:         12
        .size:           4
        .value_kind:     by_value
      - .offset:         16
        .size:           4
        .value_kind:     by_value
      - .offset:         20
        .size:           4
        .value_kind:     by_value
      - .address_space:  global
        .offset:         24
        .size:           8
        .value_kind:     global_buffer
      - .address_space:  global
        .offset:         32
        .size:           8
        .value_kind:     global_buffer
      - .address_space:  global
        .offset:         40
        .size:           8
        .value_kind:     global_buffer
      - .address_space:  global
        .offset:         48
        .size:           8
        .value_kind:     global_buffer
      - .offset:         56
        .size:           4
        .value_kind:     by_value
      - .offset:         60
        .size:           4
        .value_kind:     by_value
      - .offset:         64
        .size:           4
        .value_kind:     hidden_block_count_x
      - .offset:         68
        .size:           4
        .value_kind:     hidden_block_count_y
      - .offset:         72
        .size:           4
        .value_kind:     hidden_block_count_z
      - .offset:         76
        .size:           2
        .value_kind:     hidden_group_size_x
      - .offset:         78
        .size:           2
        .value_kind:     hidden_group_size_y
      - .offset:         80
        .size:           2
        .value_kind:     hidden_group_size_z
      - .offset:         82
        .size:           2
        .value_kind:     hidden_remainder_x
      - .offset:         84
        .size:           2
        .value_kind:     hidden_remainder_y
      - .offset:         86
        .size:           2
        .value_kind:     hidden_remainder_z
      - .offset:         104
        .size:           8
        .value_kind:     hidden_global_offset_x
      - .offset:         112
        .size:           8
        .value_kind:     hidden_global_offset_y
      - .offset:         120
        .size:           8
        .value_kind:     hidden_global_offset_z
      - .offset:         128
        .size:           2
        .value_kind:     hidden_grid_dims
    .group_segment_fixed_size: 0
    .kernarg_segment_align: 8
    .kernarg_segment_size: 320
    .language:       OpenCL C
    .language_version:
      - 2
      - 0
    .max_flat_workgroup_size: 1024
    .name:           _ZN12tensorrt_llm7kernels21fusedQKNormRopeKernelIN3c104HalfEfLi128ELb1EEEvPviiifPKvS6_S6_PKlii
    .private_segment_fixed_size: 0
    .sgpr_count:     18
    .sgpr_spill_count: 0
    .symbol:         _ZN12tensorrt_llm7kernels21fusedQKNormRopeKernelIN3c104HalfEfLi128ELb1EEEvPviiifPKvS6_S6_PKlii.kd
    .uniform_work_group_size: 1
    .uses_dynamic_stack: false
    .vgpr_count:     19
    .vgpr_spill_count: 0
    .wavefront_size: 64
  - .agpr_count:     0
    .args:
      - .address_space:  global
        .offset:         0
        .size:           8
        .value_kind:     global_buffer
      - .offset:         8
        .size:           4
        .value_kind:     by_value
      - .offset:         12
        .size:           4
        .value_kind:     by_value
      - .offset:         16
        .size:           4
        .value_kind:     by_value
      - .offset:         20
        .size:           4
        .value_kind:     by_value
      - .address_space:  global
        .offset:         24
        .size:           8
        .value_kind:     global_buffer
      - .address_space:  global
        .offset:         32
        .size:           8
        .value_kind:     global_buffer
      - .address_space:  global
        .offset:         40
        .size:           8
        .value_kind:     global_buffer
      - .address_space:  global
        .offset:         48
        .size:           8
        .value_kind:     global_buffer
      - .offset:         56
        .size:           4
        .value_kind:     by_value
      - .offset:         60
        .size:           4
        .value_kind:     by_value
      - .offset:         64
        .size:           4
        .value_kind:     hidden_block_count_x
      - .offset:         68
        .size:           4
        .value_kind:     hidden_block_count_y
      - .offset:         72
        .size:           4
        .value_kind:     hidden_block_count_z
      - .offset:         76
        .size:           2
        .value_kind:     hidden_group_size_x
      - .offset:         78
        .size:           2
        .value_kind:     hidden_group_size_y
      - .offset:         80
        .size:           2
        .value_kind:     hidden_group_size_z
      - .offset:         82
        .size:           2
        .value_kind:     hidden_remainder_x
      - .offset:         84
        .size:           2
        .value_kind:     hidden_remainder_y
      - .offset:         86
        .size:           2
        .value_kind:     hidden_remainder_z
      - .offset:         104
        .size:           8
        .value_kind:     hidden_global_offset_x
      - .offset:         112
        .size:           8
        .value_kind:     hidden_global_offset_y
      - .offset:         120
        .size:           8
        .value_kind:     hidden_global_offset_z
      - .offset:         128
        .size:           2
        .value_kind:     hidden_grid_dims
    .group_segment_fixed_size: 0
    .kernarg_segment_align: 8
    .kernarg_segment_size: 320
    .language:       OpenCL C
    .language_version:
      - 2
      - 0
    .max_flat_workgroup_size: 1024
    .name:           _ZN12tensorrt_llm7kernels21fusedQKNormRopeKernelIN3c104HalfEfLi128ELb0EEEvPviiifPKvS6_S6_PKlii
    .private_segment_fixed_size: 0
    .sgpr_count:     18
    .sgpr_spill_count: 0
    .symbol:         _ZN12tensorrt_llm7kernels21fusedQKNormRopeKernelIN3c104HalfEfLi128ELb0EEEvPviiifPKvS6_S6_PKlii.kd
    .uniform_work_group_size: 1
    .uses_dynamic_stack: false
    .vgpr_count:     34
    .vgpr_spill_count: 0
    .wavefront_size: 64
  - .agpr_count:     0
    .args:
      - .address_space:  global
        .offset:         0
        .size:           8
        .value_kind:     global_buffer
      - .offset:         8
        .size:           4
        .value_kind:     by_value
      - .offset:         12
        .size:           4
        .value_kind:     by_value
      - .offset:         16
        .size:           4
        .value_kind:     by_value
      - .offset:         20
        .size:           4
        .value_kind:     by_value
      - .address_space:  global
        .offset:         24
        .size:           8
        .value_kind:     global_buffer
      - .address_space:  global
        .offset:         32
        .size:           8
        .value_kind:     global_buffer
      - .address_space:  global
        .offset:         40
        .size:           8
        .value_kind:     global_buffer
      - .address_space:  global
        .offset:         48
        .size:           8
        .value_kind:     global_buffer
      - .offset:         56
        .size:           4
        .value_kind:     by_value
      - .offset:         60
        .size:           4
        .value_kind:     by_value
      - .offset:         64
        .size:           4
        .value_kind:     hidden_block_count_x
      - .offset:         68
        .size:           4
        .value_kind:     hidden_block_count_y
      - .offset:         72
        .size:           4
        .value_kind:     hidden_block_count_z
      - .offset:         76
        .size:           2
        .value_kind:     hidden_group_size_x
      - .offset:         78
        .size:           2
        .value_kind:     hidden_group_size_y
      - .offset:         80
        .size:           2
        .value_kind:     hidden_group_size_z
      - .offset:         82
        .size:           2
        .value_kind:     hidden_remainder_x
      - .offset:         84
        .size:           2
        .value_kind:     hidden_remainder_y
      - .offset:         86
        .size:           2
        .value_kind:     hidden_remainder_z
      - .offset:         104
        .size:           8
        .value_kind:     hidden_global_offset_x
      - .offset:         112
        .size:           8
        .value_kind:     hidden_global_offset_y
      - .offset:         120
        .size:           8
        .value_kind:     hidden_global_offset_z
      - .offset:         128
        .size:           2
        .value_kind:     hidden_grid_dims
    .group_segment_fixed_size: 0
    .kernarg_segment_align: 8
    .kernarg_segment_size: 320
    .language:       OpenCL C
    .language_version:
      - 2
      - 0
    .max_flat_workgroup_size: 1024
    .name:           _ZN12tensorrt_llm7kernels21fusedQKNormRopeKernelIN3c104HalfEfLi256ELb1EEEvPviiifPKvS6_S6_PKlii
    .private_segment_fixed_size: 0
    .sgpr_count:     18
    .sgpr_spill_count: 0
    .symbol:         _ZN12tensorrt_llm7kernels21fusedQKNormRopeKernelIN3c104HalfEfLi256ELb1EEEvPviiifPKvS6_S6_PKlii.kd
    .uniform_work_group_size: 1
    .uses_dynamic_stack: false
    .vgpr_count:     32
    .vgpr_spill_count: 0
    .wavefront_size: 64
  - .agpr_count:     0
    .args:
      - .address_space:  global
        .offset:         0
        .size:           8
        .value_kind:     global_buffer
      - .offset:         8
        .size:           4
        .value_kind:     by_value
      - .offset:         12
        .size:           4
        .value_kind:     by_value
      - .offset:         16
        .size:           4
        .value_kind:     by_value
      - .offset:         20
        .size:           4
        .value_kind:     by_value
      - .address_space:  global
        .offset:         24
        .size:           8
        .value_kind:     global_buffer
      - .address_space:  global
        .offset:         32
        .size:           8
        .value_kind:     global_buffer
      - .address_space:  global
        .offset:         40
        .size:           8
        .value_kind:     global_buffer
      - .address_space:  global
        .offset:         48
        .size:           8
        .value_kind:     global_buffer
      - .offset:         56
        .size:           4
        .value_kind:     by_value
      - .offset:         60
        .size:           4
        .value_kind:     by_value
      - .offset:         64
        .size:           4
        .value_kind:     hidden_block_count_x
      - .offset:         68
        .size:           4
        .value_kind:     hidden_block_count_y
      - .offset:         72
        .size:           4
        .value_kind:     hidden_block_count_z
      - .offset:         76
        .size:           2
        .value_kind:     hidden_group_size_x
      - .offset:         78
        .size:           2
        .value_kind:     hidden_group_size_y
      - .offset:         80
        .size:           2
        .value_kind:     hidden_group_size_z
      - .offset:         82
        .size:           2
        .value_kind:     hidden_remainder_x
      - .offset:         84
        .size:           2
        .value_kind:     hidden_remainder_y
      - .offset:         86
        .size:           2
        .value_kind:     hidden_remainder_z
      - .offset:         104
        .size:           8
        .value_kind:     hidden_global_offset_x
      - .offset:         112
        .size:           8
        .value_kind:     hidden_global_offset_y
      - .offset:         120
        .size:           8
        .value_kind:     hidden_global_offset_z
      - .offset:         128
        .size:           2
        .value_kind:     hidden_grid_dims
    .group_segment_fixed_size: 0
    .kernarg_segment_align: 8
    .kernarg_segment_size: 320
    .language:       OpenCL C
    .language_version:
      - 2
      - 0
    .max_flat_workgroup_size: 1024
    .name:           _ZN12tensorrt_llm7kernels21fusedQKNormRopeKernelIN3c104HalfEfLi256ELb0EEEvPviiifPKvS6_S6_PKlii
    .private_segment_fixed_size: 0
    .sgpr_count:     18
    .sgpr_spill_count: 0
    .symbol:         _ZN12tensorrt_llm7kernels21fusedQKNormRopeKernelIN3c104HalfEfLi256ELb0EEEvPviiifPKvS6_S6_PKlii.kd
    .uniform_work_group_size: 1
    .uses_dynamic_stack: false
    .vgpr_count:     46
    .vgpr_spill_count: 0
    .wavefront_size: 64
  - .agpr_count:     0
    .args:
      - .address_space:  global
        .offset:         0
        .size:           8
        .value_kind:     global_buffer
      - .offset:         8
        .size:           4
        .value_kind:     by_value
      - .offset:         12
        .size:           4
        .value_kind:     by_value
      - .offset:         16
        .size:           4
        .value_kind:     by_value
      - .offset:         20
        .size:           4
        .value_kind:     by_value
      - .address_space:  global
        .offset:         24
        .size:           8
        .value_kind:     global_buffer
      - .address_space:  global
        .offset:         32
        .size:           8
        .value_kind:     global_buffer
      - .address_space:  global
        .offset:         40
        .size:           8
        .value_kind:     global_buffer
      - .address_space:  global
        .offset:         48
        .size:           8
        .value_kind:     global_buffer
      - .offset:         56
        .size:           4
        .value_kind:     by_value
      - .offset:         60
        .size:           4
        .value_kind:     by_value
      - .offset:         64
        .size:           4
        .value_kind:     hidden_block_count_x
      - .offset:         68
        .size:           4
        .value_kind:     hidden_block_count_y
      - .offset:         72
        .size:           4
        .value_kind:     hidden_block_count_z
      - .offset:         76
        .size:           2
        .value_kind:     hidden_group_size_x
      - .offset:         78
        .size:           2
        .value_kind:     hidden_group_size_y
      - .offset:         80
        .size:           2
        .value_kind:     hidden_group_size_z
      - .offset:         82
        .size:           2
        .value_kind:     hidden_remainder_x
      - .offset:         84
        .size:           2
        .value_kind:     hidden_remainder_y
      - .offset:         86
        .size:           2
        .value_kind:     hidden_remainder_z
      - .offset:         104
        .size:           8
        .value_kind:     hidden_global_offset_x
      - .offset:         112
        .size:           8
        .value_kind:     hidden_global_offset_y
      - .offset:         120
        .size:           8
        .value_kind:     hidden_global_offset_z
      - .offset:         128
        .size:           2
        .value_kind:     hidden_grid_dims
      - .offset:         184
        .size:           4
        .value_kind:     hidden_dynamic_lds_size
    .group_segment_fixed_size: 0
    .kernarg_segment_align: 8
    .kernarg_segment_size: 320
    .language:       OpenCL C
    .language_version:
      - 2
      - 0
    .max_flat_workgroup_size: 1024
    .name:           _ZN12tensorrt_llm7kernels32fusedQKNormRopeKernelNTokenHeadsIN3c104HalfEfLi64ELb1ELi2EEEvPviiifPKvS6_S6_PKlii
    .private_segment_fixed_size: 0
    .sgpr_count:     28
    .sgpr_spill_count: 0
    .symbol:         _ZN12tensorrt_llm7kernels32fusedQKNormRopeKernelNTokenHeadsIN3c104HalfEfLi64ELb1ELi2EEEvPviiifPKvS6_S6_PKlii.kd
    .uniform_work_group_size: 1
    .uses_dynamic_stack: false
    .vgpr_count:     26
    .vgpr_spill_count: 0
    .wavefront_size: 64
  - .agpr_count:     0
    .args:
      - .address_space:  global
        .offset:         0
        .size:           8
        .value_kind:     global_buffer
      - .offset:         8
        .size:           4
        .value_kind:     by_value
      - .offset:         12
        .size:           4
        .value_kind:     by_value
      - .offset:         16
        .size:           4
        .value_kind:     by_value
      - .offset:         20
        .size:           4
        .value_kind:     by_value
      - .address_space:  global
        .offset:         24
        .size:           8
        .value_kind:     global_buffer
      - .address_space:  global
        .offset:         32
        .size:           8
        .value_kind:     global_buffer
      - .address_space:  global
        .offset:         40
        .size:           8
        .value_kind:     global_buffer
      - .address_space:  global
        .offset:         48
        .size:           8
        .value_kind:     global_buffer
      - .offset:         56
        .size:           4
        .value_kind:     by_value
      - .offset:         60
        .size:           4
        .value_kind:     by_value
      - .offset:         64
        .size:           4
        .value_kind:     hidden_block_count_x
      - .offset:         68
        .size:           4
        .value_kind:     hidden_block_count_y
      - .offset:         72
        .size:           4
        .value_kind:     hidden_block_count_z
      - .offset:         76
        .size:           2
        .value_kind:     hidden_group_size_x
      - .offset:         78
        .size:           2
        .value_kind:     hidden_group_size_y
      - .offset:         80
        .size:           2
        .value_kind:     hidden_group_size_z
      - .offset:         82
        .size:           2
        .value_kind:     hidden_remainder_x
      - .offset:         84
        .size:           2
        .value_kind:     hidden_remainder_y
      - .offset:         86
        .size:           2
        .value_kind:     hidden_remainder_z
      - .offset:         104
        .size:           8
        .value_kind:     hidden_global_offset_x
      - .offset:         112
        .size:           8
        .value_kind:     hidden_global_offset_y
      - .offset:         120
        .size:           8
        .value_kind:     hidden_global_offset_z
      - .offset:         128
        .size:           2
        .value_kind:     hidden_grid_dims
      - .offset:         184
        .size:           4
        .value_kind:     hidden_dynamic_lds_size
    .group_segment_fixed_size: 0
    .kernarg_segment_align: 8
    .kernarg_segment_size: 320
    .language:       OpenCL C
    .language_version:
      - 2
      - 0
    .max_flat_workgroup_size: 1024
    .name:           _ZN12tensorrt_llm7kernels32fusedQKNormRopeKernelNTokenHeadsIN3c104HalfEfLi64ELb0ELi2EEEvPviiifPKvS6_S6_PKlii
    .private_segment_fixed_size: 0
    .sgpr_count:     28
    .sgpr_spill_count: 0
    .symbol:         _ZN12tensorrt_llm7kernels32fusedQKNormRopeKernelNTokenHeadsIN3c104HalfEfLi64ELb0ELi2EEEvPviiifPKvS6_S6_PKlii.kd
    .uniform_work_group_size: 1
    .uses_dynamic_stack: false
    .vgpr_count:     28
    .vgpr_spill_count: 0
    .wavefront_size: 64
  - .agpr_count:     0
    .args:
      - .address_space:  global
        .offset:         0
        .size:           8
        .value_kind:     global_buffer
      - .offset:         8
        .size:           4
        .value_kind:     by_value
      - .offset:         12
        .size:           4
        .value_kind:     by_value
      - .offset:         16
        .size:           4
        .value_kind:     by_value
      - .offset:         20
        .size:           4
        .value_kind:     by_value
      - .address_space:  global
        .offset:         24
        .size:           8
        .value_kind:     global_buffer
      - .address_space:  global
        .offset:         32
        .size:           8
        .value_kind:     global_buffer
      - .address_space:  global
        .offset:         40
        .size:           8
        .value_kind:     global_buffer
      - .address_space:  global
        .offset:         48
        .size:           8
        .value_kind:     global_buffer
      - .offset:         56
        .size:           4
        .value_kind:     by_value
      - .offset:         60
        .size:           4
        .value_kind:     by_value
      - .offset:         64
        .size:           4
        .value_kind:     hidden_block_count_x
      - .offset:         68
        .size:           4
        .value_kind:     hidden_block_count_y
      - .offset:         72
        .size:           4
        .value_kind:     hidden_block_count_z
      - .offset:         76
        .size:           2
        .value_kind:     hidden_group_size_x
      - .offset:         78
        .size:           2
        .value_kind:     hidden_group_size_y
      - .offset:         80
        .size:           2
        .value_kind:     hidden_group_size_z
      - .offset:         82
        .size:           2
        .value_kind:     hidden_remainder_x
      - .offset:         84
        .size:           2
        .value_kind:     hidden_remainder_y
      - .offset:         86
        .size:           2
        .value_kind:     hidden_remainder_z
      - .offset:         104
        .size:           8
        .value_kind:     hidden_global_offset_x
      - .offset:         112
        .size:           8
        .value_kind:     hidden_global_offset_y
      - .offset:         120
        .size:           8
        .value_kind:     hidden_global_offset_z
      - .offset:         128
        .size:           2
        .value_kind:     hidden_grid_dims
      - .offset:         184
        .size:           4
        .value_kind:     hidden_dynamic_lds_size
    .group_segment_fixed_size: 0
    .kernarg_segment_align: 8
    .kernarg_segment_size: 320
    .language:       OpenCL C
    .language_version:
      - 2
      - 0
    .max_flat_workgroup_size: 1024
    .name:           _ZN12tensorrt_llm7kernels32fusedQKNormRopeKernelNTokenHeadsIN3c104HalfEfLi128ELb1ELi2EEEvPviiifPKvS6_S6_PKlii
    .private_segment_fixed_size: 0
    .sgpr_count:     28
    .sgpr_spill_count: 0
    .symbol:         _ZN12tensorrt_llm7kernels32fusedQKNormRopeKernelNTokenHeadsIN3c104HalfEfLi128ELb1ELi2EEEvPviiifPKvS6_S6_PKlii.kd
    .uniform_work_group_size: 1
    .uses_dynamic_stack: false
    .vgpr_count:     34
    .vgpr_spill_count: 0
    .wavefront_size: 64
  - .agpr_count:     0
    .args:
      - .address_space:  global
        .offset:         0
        .size:           8
        .value_kind:     global_buffer
      - .offset:         8
        .size:           4
        .value_kind:     by_value
      - .offset:         12
        .size:           4
        .value_kind:     by_value
      - .offset:         16
        .size:           4
        .value_kind:     by_value
      - .offset:         20
        .size:           4
        .value_kind:     by_value
      - .address_space:  global
        .offset:         24
        .size:           8
        .value_kind:     global_buffer
      - .address_space:  global
        .offset:         32
        .size:           8
        .value_kind:     global_buffer
      - .address_space:  global
        .offset:         40
        .size:           8
        .value_kind:     global_buffer
      - .address_space:  global
        .offset:         48
        .size:           8
        .value_kind:     global_buffer
      - .offset:         56
        .size:           4
        .value_kind:     by_value
      - .offset:         60
        .size:           4
        .value_kind:     by_value
      - .offset:         64
        .size:           4
        .value_kind:     hidden_block_count_x
      - .offset:         68
        .size:           4
        .value_kind:     hidden_block_count_y
      - .offset:         72
        .size:           4
        .value_kind:     hidden_block_count_z
      - .offset:         76
        .size:           2
        .value_kind:     hidden_group_size_x
      - .offset:         78
        .size:           2
        .value_kind:     hidden_group_size_y
      - .offset:         80
        .size:           2
        .value_kind:     hidden_group_size_z
      - .offset:         82
        .size:           2
        .value_kind:     hidden_remainder_x
      - .offset:         84
        .size:           2
        .value_kind:     hidden_remainder_y
      - .offset:         86
        .size:           2
        .value_kind:     hidden_remainder_z
      - .offset:         104
        .size:           8
        .value_kind:     hidden_global_offset_x
      - .offset:         112
        .size:           8
        .value_kind:     hidden_global_offset_y
      - .offset:         120
        .size:           8
        .value_kind:     hidden_global_offset_z
      - .offset:         128
        .size:           2
        .value_kind:     hidden_grid_dims
      - .offset:         184
        .size:           4
        .value_kind:     hidden_dynamic_lds_size
    .group_segment_fixed_size: 0
    .kernarg_segment_align: 8
    .kernarg_segment_size: 320
    .language:       OpenCL C
    .language_version:
      - 2
      - 0
    .max_flat_workgroup_size: 1024
    .name:           _ZN12tensorrt_llm7kernels32fusedQKNormRopeKernelNTokenHeadsIN3c104HalfEfLi128ELb0ELi2EEEvPviiifPKvS6_S6_PKlii
    .private_segment_fixed_size: 0
    .sgpr_count:     28
    .sgpr_spill_count: 0
    .symbol:         _ZN12tensorrt_llm7kernels32fusedQKNormRopeKernelNTokenHeadsIN3c104HalfEfLi128ELb0ELi2EEEvPviiifPKvS6_S6_PKlii.kd
    .uniform_work_group_size: 1
    .uses_dynamic_stack: false
    .vgpr_count:     41
    .vgpr_spill_count: 0
    .wavefront_size: 64
  - .agpr_count:     0
    .args:
      - .address_space:  global
        .offset:         0
        .size:           8
        .value_kind:     global_buffer
      - .offset:         8
        .size:           4
        .value_kind:     by_value
      - .offset:         12
        .size:           4
        .value_kind:     by_value
      - .offset:         16
        .size:           4
        .value_kind:     by_value
      - .offset:         20
        .size:           4
        .value_kind:     by_value
      - .address_space:  global
        .offset:         24
        .size:           8
        .value_kind:     global_buffer
      - .address_space:  global
        .offset:         32
        .size:           8
        .value_kind:     global_buffer
      - .address_space:  global
        .offset:         40
        .size:           8
        .value_kind:     global_buffer
      - .address_space:  global
        .offset:         48
        .size:           8
        .value_kind:     global_buffer
      - .offset:         56
        .size:           4
        .value_kind:     by_value
      - .offset:         60
        .size:           4
        .value_kind:     by_value
      - .offset:         64
        .size:           4
        .value_kind:     hidden_block_count_x
      - .offset:         68
        .size:           4
        .value_kind:     hidden_block_count_y
      - .offset:         72
        .size:           4
        .value_kind:     hidden_block_count_z
      - .offset:         76
        .size:           2
        .value_kind:     hidden_group_size_x
      - .offset:         78
        .size:           2
        .value_kind:     hidden_group_size_y
      - .offset:         80
        .size:           2
        .value_kind:     hidden_group_size_z
      - .offset:         82
        .size:           2
        .value_kind:     hidden_remainder_x
      - .offset:         84
        .size:           2
        .value_kind:     hidden_remainder_y
      - .offset:         86
        .size:           2
        .value_kind:     hidden_remainder_z
      - .offset:         104
        .size:           8
        .value_kind:     hidden_global_offset_x
      - .offset:         112
        .size:           8
        .value_kind:     hidden_global_offset_y
      - .offset:         120
        .size:           8
        .value_kind:     hidden_global_offset_z
      - .offset:         128
        .size:           2
        .value_kind:     hidden_grid_dims
      - .offset:         184
        .size:           4
        .value_kind:     hidden_dynamic_lds_size
    .group_segment_fixed_size: 0
    .kernarg_segment_align: 8
    .kernarg_segment_size: 320
    .language:       OpenCL C
    .language_version:
      - 2
      - 0
    .max_flat_workgroup_size: 1024
    .name:           _ZN12tensorrt_llm7kernels32fusedQKNormRopeKernelNTokenHeadsIN3c104HalfEfLi256ELb1ELi2EEEvPviiifPKvS6_S6_PKlii
    .private_segment_fixed_size: 0
    .sgpr_count:     28
    .sgpr_spill_count: 0
    .symbol:         _ZN12tensorrt_llm7kernels32fusedQKNormRopeKernelNTokenHeadsIN3c104HalfEfLi256ELb1ELi2EEEvPviiifPKvS6_S6_PKlii.kd
    .uniform_work_group_size: 1
    .uses_dynamic_stack: false
    .vgpr_count:     52
    .vgpr_spill_count: 0
    .wavefront_size: 64
  - .agpr_count:     0
    .args:
      - .address_space:  global
        .offset:         0
        .size:           8
        .value_kind:     global_buffer
      - .offset:         8
        .size:           4
        .value_kind:     by_value
      - .offset:         12
        .size:           4
        .value_kind:     by_value
      - .offset:         16
        .size:           4
        .value_kind:     by_value
      - .offset:         20
        .size:           4
        .value_kind:     by_value
      - .address_space:  global
        .offset:         24
        .size:           8
        .value_kind:     global_buffer
      - .address_space:  global
        .offset:         32
        .size:           8
        .value_kind:     global_buffer
      - .address_space:  global
        .offset:         40
        .size:           8
        .value_kind:     global_buffer
      - .address_space:  global
        .offset:         48
        .size:           8
        .value_kind:     global_buffer
      - .offset:         56
        .size:           4
        .value_kind:     by_value
      - .offset:         60
        .size:           4
        .value_kind:     by_value
      - .offset:         64
        .size:           4
        .value_kind:     hidden_block_count_x
      - .offset:         68
        .size:           4
        .value_kind:     hidden_block_count_y
      - .offset:         72
        .size:           4
        .value_kind:     hidden_block_count_z
      - .offset:         76
        .size:           2
        .value_kind:     hidden_group_size_x
      - .offset:         78
        .size:           2
        .value_kind:     hidden_group_size_y
      - .offset:         80
        .size:           2
        .value_kind:     hidden_group_size_z
      - .offset:         82
        .size:           2
        .value_kind:     hidden_remainder_x
      - .offset:         84
        .size:           2
        .value_kind:     hidden_remainder_y
      - .offset:         86
        .size:           2
        .value_kind:     hidden_remainder_z
      - .offset:         104
        .size:           8
        .value_kind:     hidden_global_offset_x
      - .offset:         112
        .size:           8
        .value_kind:     hidden_global_offset_y
      - .offset:         120
        .size:           8
        .value_kind:     hidden_global_offset_z
      - .offset:         128
        .size:           2
        .value_kind:     hidden_grid_dims
      - .offset:         184
        .size:           4
        .value_kind:     hidden_dynamic_lds_size
    .group_segment_fixed_size: 0
    .kernarg_segment_align: 8
    .kernarg_segment_size: 320
    .language:       OpenCL C
    .language_version:
      - 2
      - 0
    .max_flat_workgroup_size: 1024
    .name:           _ZN12tensorrt_llm7kernels32fusedQKNormRopeKernelNTokenHeadsIN3c104HalfEfLi256ELb0ELi2EEEvPviiifPKvS6_S6_PKlii
    .private_segment_fixed_size: 0
    .sgpr_count:     28
    .sgpr_spill_count: 0
    .symbol:         _ZN12tensorrt_llm7kernels32fusedQKNormRopeKernelNTokenHeadsIN3c104HalfEfLi256ELb0ELi2EEEvPviiifPKvS6_S6_PKlii.kd
    .uniform_work_group_size: 1
    .uses_dynamic_stack: false
    .vgpr_count:     61
    .vgpr_spill_count: 0
    .wavefront_size: 64
  - .agpr_count:     0
    .args:
      - .address_space:  global
        .offset:         0
        .size:           8
        .value_kind:     global_buffer
      - .offset:         8
        .size:           4
        .value_kind:     by_value
      - .offset:         12
        .size:           4
        .value_kind:     by_value
      - .offset:         16
        .size:           4
        .value_kind:     by_value
      - .offset:         20
        .size:           4
        .value_kind:     by_value
      - .address_space:  global
        .offset:         24
        .size:           8
        .value_kind:     global_buffer
      - .address_space:  global
        .offset:         32
        .size:           8
        .value_kind:     global_buffer
      - .address_space:  global
        .offset:         40
        .size:           8
        .value_kind:     global_buffer
      - .address_space:  global
        .offset:         48
        .size:           8
        .value_kind:     global_buffer
      - .offset:         56
        .size:           4
        .value_kind:     by_value
      - .offset:         60
        .size:           4
        .value_kind:     by_value
      - .offset:         64
        .size:           4
        .value_kind:     hidden_block_count_x
      - .offset:         68
        .size:           4
        .value_kind:     hidden_block_count_y
      - .offset:         72
        .size:           4
        .value_kind:     hidden_block_count_z
      - .offset:         76
        .size:           2
        .value_kind:     hidden_group_size_x
      - .offset:         78
        .size:           2
        .value_kind:     hidden_group_size_y
      - .offset:         80
        .size:           2
        .value_kind:     hidden_group_size_z
      - .offset:         82
        .size:           2
        .value_kind:     hidden_remainder_x
      - .offset:         84
        .size:           2
        .value_kind:     hidden_remainder_y
      - .offset:         86
        .size:           2
        .value_kind:     hidden_remainder_z
      - .offset:         104
        .size:           8
        .value_kind:     hidden_global_offset_x
      - .offset:         112
        .size:           8
        .value_kind:     hidden_global_offset_y
      - .offset:         120
        .size:           8
        .value_kind:     hidden_global_offset_z
      - .offset:         128
        .size:           2
        .value_kind:     hidden_grid_dims
      - .offset:         184
        .size:           4
        .value_kind:     hidden_dynamic_lds_size
    .group_segment_fixed_size: 0
    .kernarg_segment_align: 8
    .kernarg_segment_size: 320
    .language:       OpenCL C
    .language_version:
      - 2
      - 0
    .max_flat_workgroup_size: 1024
    .name:           _ZN12tensorrt_llm7kernels32fusedQKNormRopeKernelNTokenHeadsIN3c104HalfEfLi64ELb1ELi4EEEvPviiifPKvS6_S6_PKlii
    .private_segment_fixed_size: 0
    .sgpr_count:     28
    .sgpr_spill_count: 0
    .symbol:         _ZN12tensorrt_llm7kernels32fusedQKNormRopeKernelNTokenHeadsIN3c104HalfEfLi64ELb1ELi4EEEvPviiifPKvS6_S6_PKlii.kd
    .uniform_work_group_size: 1
    .uses_dynamic_stack: false
    .vgpr_count:     26
    .vgpr_spill_count: 0
    .wavefront_size: 64
  - .agpr_count:     0
    .args:
      - .address_space:  global
        .offset:         0
        .size:           8
        .value_kind:     global_buffer
      - .offset:         8
        .size:           4
        .value_kind:     by_value
      - .offset:         12
        .size:           4
        .value_kind:     by_value
      - .offset:         16
        .size:           4
        .value_kind:     by_value
      - .offset:         20
        .size:           4
        .value_kind:     by_value
      - .address_space:  global
        .offset:         24
        .size:           8
        .value_kind:     global_buffer
      - .address_space:  global
        .offset:         32
        .size:           8
        .value_kind:     global_buffer
      - .address_space:  global
        .offset:         40
        .size:           8
        .value_kind:     global_buffer
      - .address_space:  global
        .offset:         48
        .size:           8
        .value_kind:     global_buffer
      - .offset:         56
        .size:           4
        .value_kind:     by_value
      - .offset:         60
        .size:           4
        .value_kind:     by_value
      - .offset:         64
        .size:           4
        .value_kind:     hidden_block_count_x
      - .offset:         68
        .size:           4
        .value_kind:     hidden_block_count_y
      - .offset:         72
        .size:           4
        .value_kind:     hidden_block_count_z
      - .offset:         76
        .size:           2
        .value_kind:     hidden_group_size_x
      - .offset:         78
        .size:           2
        .value_kind:     hidden_group_size_y
      - .offset:         80
        .size:           2
        .value_kind:     hidden_group_size_z
      - .offset:         82
        .size:           2
        .value_kind:     hidden_remainder_x
      - .offset:         84
        .size:           2
        .value_kind:     hidden_remainder_y
      - .offset:         86
        .size:           2
        .value_kind:     hidden_remainder_z
      - .offset:         104
        .size:           8
        .value_kind:     hidden_global_offset_x
      - .offset:         112
        .size:           8
        .value_kind:     hidden_global_offset_y
      - .offset:         120
        .size:           8
        .value_kind:     hidden_global_offset_z
      - .offset:         128
        .size:           2
        .value_kind:     hidden_grid_dims
      - .offset:         184
        .size:           4
        .value_kind:     hidden_dynamic_lds_size
    .group_segment_fixed_size: 0
    .kernarg_segment_align: 8
    .kernarg_segment_size: 320
    .language:       OpenCL C
    .language_version:
      - 2
      - 0
    .max_flat_workgroup_size: 1024
    .name:           _ZN12tensorrt_llm7kernels32fusedQKNormRopeKernelNTokenHeadsIN3c104HalfEfLi64ELb0ELi4EEEvPviiifPKvS6_S6_PKlii
    .private_segment_fixed_size: 0
    .sgpr_count:     28
    .sgpr_spill_count: 0
    .symbol:         _ZN12tensorrt_llm7kernels32fusedQKNormRopeKernelNTokenHeadsIN3c104HalfEfLi64ELb0ELi4EEEvPviiifPKvS6_S6_PKlii.kd
    .uniform_work_group_size: 1
    .uses_dynamic_stack: false
    .vgpr_count:     28
    .vgpr_spill_count: 0
    .wavefront_size: 64
  - .agpr_count:     0
    .args:
      - .address_space:  global
        .offset:         0
        .size:           8
        .value_kind:     global_buffer
      - .offset:         8
        .size:           4
        .value_kind:     by_value
      - .offset:         12
        .size:           4
        .value_kind:     by_value
      - .offset:         16
        .size:           4
        .value_kind:     by_value
      - .offset:         20
        .size:           4
        .value_kind:     by_value
      - .address_space:  global
        .offset:         24
        .size:           8
        .value_kind:     global_buffer
      - .address_space:  global
        .offset:         32
        .size:           8
        .value_kind:     global_buffer
      - .address_space:  global
        .offset:         40
        .size:           8
        .value_kind:     global_buffer
      - .address_space:  global
        .offset:         48
        .size:           8
        .value_kind:     global_buffer
      - .offset:         56
        .size:           4
        .value_kind:     by_value
      - .offset:         60
        .size:           4
        .value_kind:     by_value
      - .offset:         64
        .size:           4
        .value_kind:     hidden_block_count_x
      - .offset:         68
        .size:           4
        .value_kind:     hidden_block_count_y
      - .offset:         72
        .size:           4
        .value_kind:     hidden_block_count_z
      - .offset:         76
        .size:           2
        .value_kind:     hidden_group_size_x
      - .offset:         78
        .size:           2
        .value_kind:     hidden_group_size_y
      - .offset:         80
        .size:           2
        .value_kind:     hidden_group_size_z
      - .offset:         82
        .size:           2
        .value_kind:     hidden_remainder_x
      - .offset:         84
        .size:           2
        .value_kind:     hidden_remainder_y
      - .offset:         86
        .size:           2
        .value_kind:     hidden_remainder_z
      - .offset:         104
        .size:           8
        .value_kind:     hidden_global_offset_x
      - .offset:         112
        .size:           8
        .value_kind:     hidden_global_offset_y
      - .offset:         120
        .size:           8
        .value_kind:     hidden_global_offset_z
      - .offset:         128
        .size:           2
        .value_kind:     hidden_grid_dims
      - .offset:         184
        .size:           4
        .value_kind:     hidden_dynamic_lds_size
    .group_segment_fixed_size: 0
    .kernarg_segment_align: 8
    .kernarg_segment_size: 320
    .language:       OpenCL C
    .language_version:
      - 2
      - 0
    .max_flat_workgroup_size: 1024
    .name:           _ZN12tensorrt_llm7kernels32fusedQKNormRopeKernelNTokenHeadsIN3c104HalfEfLi128ELb1ELi4EEEvPviiifPKvS6_S6_PKlii
    .private_segment_fixed_size: 0
    .sgpr_count:     28
    .sgpr_spill_count: 0
    .symbol:         _ZN12tensorrt_llm7kernels32fusedQKNormRopeKernelNTokenHeadsIN3c104HalfEfLi128ELb1ELi4EEEvPviiifPKvS6_S6_PKlii.kd
    .uniform_work_group_size: 1
    .uses_dynamic_stack: false
    .vgpr_count:     34
    .vgpr_spill_count: 0
    .wavefront_size: 64
  - .agpr_count:     0
    .args:
      - .address_space:  global
        .offset:         0
        .size:           8
        .value_kind:     global_buffer
      - .offset:         8
        .size:           4
        .value_kind:     by_value
      - .offset:         12
        .size:           4
        .value_kind:     by_value
      - .offset:         16
        .size:           4
        .value_kind:     by_value
      - .offset:         20
        .size:           4
        .value_kind:     by_value
      - .address_space:  global
        .offset:         24
        .size:           8
        .value_kind:     global_buffer
      - .address_space:  global
        .offset:         32
        .size:           8
        .value_kind:     global_buffer
      - .address_space:  global
        .offset:         40
        .size:           8
        .value_kind:     global_buffer
      - .address_space:  global
        .offset:         48
        .size:           8
        .value_kind:     global_buffer
      - .offset:         56
        .size:           4
        .value_kind:     by_value
      - .offset:         60
        .size:           4
        .value_kind:     by_value
      - .offset:         64
        .size:           4
        .value_kind:     hidden_block_count_x
      - .offset:         68
        .size:           4
        .value_kind:     hidden_block_count_y
      - .offset:         72
        .size:           4
        .value_kind:     hidden_block_count_z
      - .offset:         76
        .size:           2
        .value_kind:     hidden_group_size_x
      - .offset:         78
        .size:           2
        .value_kind:     hidden_group_size_y
      - .offset:         80
        .size:           2
        .value_kind:     hidden_group_size_z
      - .offset:         82
        .size:           2
        .value_kind:     hidden_remainder_x
      - .offset:         84
        .size:           2
        .value_kind:     hidden_remainder_y
      - .offset:         86
        .size:           2
        .value_kind:     hidden_remainder_z
      - .offset:         104
        .size:           8
        .value_kind:     hidden_global_offset_x
      - .offset:         112
        .size:           8
        .value_kind:     hidden_global_offset_y
      - .offset:         120
        .size:           8
        .value_kind:     hidden_global_offset_z
      - .offset:         128
        .size:           2
        .value_kind:     hidden_grid_dims
      - .offset:         184
        .size:           4
        .value_kind:     hidden_dynamic_lds_size
    .group_segment_fixed_size: 0
    .kernarg_segment_align: 8
    .kernarg_segment_size: 320
    .language:       OpenCL C
    .language_version:
      - 2
      - 0
    .max_flat_workgroup_size: 1024
    .name:           _ZN12tensorrt_llm7kernels32fusedQKNormRopeKernelNTokenHeadsIN3c104HalfEfLi128ELb0ELi4EEEvPviiifPKvS6_S6_PKlii
    .private_segment_fixed_size: 0
    .sgpr_count:     28
    .sgpr_spill_count: 0
    .symbol:         _ZN12tensorrt_llm7kernels32fusedQKNormRopeKernelNTokenHeadsIN3c104HalfEfLi128ELb0ELi4EEEvPviiifPKvS6_S6_PKlii.kd
    .uniform_work_group_size: 1
    .uses_dynamic_stack: false
    .vgpr_count:     41
    .vgpr_spill_count: 0
    .wavefront_size: 64
  - .agpr_count:     0
    .args:
      - .address_space:  global
        .offset:         0
        .size:           8
        .value_kind:     global_buffer
      - .offset:         8
        .size:           4
        .value_kind:     by_value
      - .offset:         12
        .size:           4
        .value_kind:     by_value
      - .offset:         16
        .size:           4
        .value_kind:     by_value
      - .offset:         20
        .size:           4
        .value_kind:     by_value
      - .address_space:  global
        .offset:         24
        .size:           8
        .value_kind:     global_buffer
      - .address_space:  global
        .offset:         32
        .size:           8
        .value_kind:     global_buffer
      - .address_space:  global
        .offset:         40
        .size:           8
        .value_kind:     global_buffer
      - .address_space:  global
        .offset:         48
        .size:           8
        .value_kind:     global_buffer
      - .offset:         56
        .size:           4
        .value_kind:     by_value
      - .offset:         60
        .size:           4
        .value_kind:     by_value
      - .offset:         64
        .size:           4
        .value_kind:     hidden_block_count_x
      - .offset:         68
        .size:           4
        .value_kind:     hidden_block_count_y
      - .offset:         72
        .size:           4
        .value_kind:     hidden_block_count_z
      - .offset:         76
        .size:           2
        .value_kind:     hidden_group_size_x
      - .offset:         78
        .size:           2
        .value_kind:     hidden_group_size_y
      - .offset:         80
        .size:           2
        .value_kind:     hidden_group_size_z
      - .offset:         82
        .size:           2
        .value_kind:     hidden_remainder_x
      - .offset:         84
        .size:           2
        .value_kind:     hidden_remainder_y
      - .offset:         86
        .size:           2
        .value_kind:     hidden_remainder_z
      - .offset:         104
        .size:           8
        .value_kind:     hidden_global_offset_x
      - .offset:         112
        .size:           8
        .value_kind:     hidden_global_offset_y
      - .offset:         120
        .size:           8
        .value_kind:     hidden_global_offset_z
      - .offset:         128
        .size:           2
        .value_kind:     hidden_grid_dims
      - .offset:         184
        .size:           4
        .value_kind:     hidden_dynamic_lds_size
    .group_segment_fixed_size: 0
    .kernarg_segment_align: 8
    .kernarg_segment_size: 320
    .language:       OpenCL C
    .language_version:
      - 2
      - 0
    .max_flat_workgroup_size: 1024
    .name:           _ZN12tensorrt_llm7kernels32fusedQKNormRopeKernelNTokenHeadsIN3c104HalfEfLi256ELb1ELi4EEEvPviiifPKvS6_S6_PKlii
    .private_segment_fixed_size: 0
    .sgpr_count:     28
    .sgpr_spill_count: 0
    .symbol:         _ZN12tensorrt_llm7kernels32fusedQKNormRopeKernelNTokenHeadsIN3c104HalfEfLi256ELb1ELi4EEEvPviiifPKvS6_S6_PKlii.kd
    .uniform_work_group_size: 1
    .uses_dynamic_stack: false
    .vgpr_count:     52
    .vgpr_spill_count: 0
    .wavefront_size: 64
  - .agpr_count:     0
    .args:
      - .address_space:  global
        .offset:         0
        .size:           8
        .value_kind:     global_buffer
      - .offset:         8
        .size:           4
        .value_kind:     by_value
      - .offset:         12
        .size:           4
        .value_kind:     by_value
      - .offset:         16
        .size:           4
        .value_kind:     by_value
      - .offset:         20
        .size:           4
        .value_kind:     by_value
      - .address_space:  global
        .offset:         24
        .size:           8
        .value_kind:     global_buffer
      - .address_space:  global
        .offset:         32
        .size:           8
        .value_kind:     global_buffer
      - .address_space:  global
        .offset:         40
        .size:           8
        .value_kind:     global_buffer
      - .address_space:  global
        .offset:         48
        .size:           8
        .value_kind:     global_buffer
      - .offset:         56
        .size:           4
        .value_kind:     by_value
      - .offset:         60
        .size:           4
        .value_kind:     by_value
      - .offset:         64
        .size:           4
        .value_kind:     hidden_block_count_x
      - .offset:         68
        .size:           4
        .value_kind:     hidden_block_count_y
      - .offset:         72
        .size:           4
        .value_kind:     hidden_block_count_z
      - .offset:         76
        .size:           2
        .value_kind:     hidden_group_size_x
      - .offset:         78
        .size:           2
        .value_kind:     hidden_group_size_y
      - .offset:         80
        .size:           2
        .value_kind:     hidden_group_size_z
      - .offset:         82
        .size:           2
        .value_kind:     hidden_remainder_x
      - .offset:         84
        .size:           2
        .value_kind:     hidden_remainder_y
      - .offset:         86
        .size:           2
        .value_kind:     hidden_remainder_z
      - .offset:         104
        .size:           8
        .value_kind:     hidden_global_offset_x
      - .offset:         112
        .size:           8
        .value_kind:     hidden_global_offset_y
      - .offset:         120
        .size:           8
        .value_kind:     hidden_global_offset_z
      - .offset:         128
        .size:           2
        .value_kind:     hidden_grid_dims
      - .offset:         184
        .size:           4
        .value_kind:     hidden_dynamic_lds_size
    .group_segment_fixed_size: 0
    .kernarg_segment_align: 8
    .kernarg_segment_size: 320
    .language:       OpenCL C
    .language_version:
      - 2
      - 0
    .max_flat_workgroup_size: 1024
    .name:           _ZN12tensorrt_llm7kernels32fusedQKNormRopeKernelNTokenHeadsIN3c104HalfEfLi256ELb0ELi4EEEvPviiifPKvS6_S6_PKlii
    .private_segment_fixed_size: 0
    .sgpr_count:     28
    .sgpr_spill_count: 0
    .symbol:         _ZN12tensorrt_llm7kernels32fusedQKNormRopeKernelNTokenHeadsIN3c104HalfEfLi256ELb0ELi4EEEvPviiifPKvS6_S6_PKlii.kd
    .uniform_work_group_size: 1
    .uses_dynamic_stack: false
    .vgpr_count:     61
    .vgpr_spill_count: 0
    .wavefront_size: 64
  - .agpr_count:     0
    .args:
      - .address_space:  global
        .offset:         0
        .size:           8
        .value_kind:     global_buffer
      - .offset:         8
        .size:           4
        .value_kind:     by_value
      - .offset:         12
        .size:           4
        .value_kind:     by_value
      - .offset:         16
        .size:           4
        .value_kind:     by_value
      - .offset:         20
        .size:           4
        .value_kind:     by_value
      - .address_space:  global
        .offset:         24
        .size:           8
        .value_kind:     global_buffer
      - .address_space:  global
        .offset:         32
        .size:           8
        .value_kind:     global_buffer
      - .address_space:  global
        .offset:         40
        .size:           8
        .value_kind:     global_buffer
      - .address_space:  global
        .offset:         48
        .size:           8
        .value_kind:     global_buffer
      - .offset:         56
        .size:           4
        .value_kind:     by_value
      - .offset:         60
        .size:           4
        .value_kind:     by_value
      - .offset:         64
        .size:           4
        .value_kind:     hidden_block_count_x
      - .offset:         68
        .size:           4
        .value_kind:     hidden_block_count_y
      - .offset:         72
        .size:           4
        .value_kind:     hidden_block_count_z
      - .offset:         76
        .size:           2
        .value_kind:     hidden_group_size_x
      - .offset:         78
        .size:           2
        .value_kind:     hidden_group_size_y
      - .offset:         80
        .size:           2
        .value_kind:     hidden_group_size_z
      - .offset:         82
        .size:           2
        .value_kind:     hidden_remainder_x
      - .offset:         84
        .size:           2
        .value_kind:     hidden_remainder_y
      - .offset:         86
        .size:           2
        .value_kind:     hidden_remainder_z
      - .offset:         104
        .size:           8
        .value_kind:     hidden_global_offset_x
      - .offset:         112
        .size:           8
        .value_kind:     hidden_global_offset_y
      - .offset:         120
        .size:           8
        .value_kind:     hidden_global_offset_z
      - .offset:         128
        .size:           2
        .value_kind:     hidden_grid_dims
      - .offset:         184
        .size:           4
        .value_kind:     hidden_dynamic_lds_size
    .group_segment_fixed_size: 0
    .kernarg_segment_align: 8
    .kernarg_segment_size: 320
    .language:       OpenCL C
    .language_version:
      - 2
      - 0
    .max_flat_workgroup_size: 1024
    .name:           _ZN12tensorrt_llm7kernels32fusedQKNormRopeKernelNTokenHeadsIN3c104HalfEfLi64ELb1ELi8EEEvPviiifPKvS6_S6_PKlii
    .private_segment_fixed_size: 0
    .sgpr_count:     28
    .sgpr_spill_count: 0
    .symbol:         _ZN12tensorrt_llm7kernels32fusedQKNormRopeKernelNTokenHeadsIN3c104HalfEfLi64ELb1ELi8EEEvPviiifPKvS6_S6_PKlii.kd
    .uniform_work_group_size: 1
    .uses_dynamic_stack: false
    .vgpr_count:     26
    .vgpr_spill_count: 0
    .wavefront_size: 64
  - .agpr_count:     0
    .args:
      - .address_space:  global
        .offset:         0
        .size:           8
        .value_kind:     global_buffer
      - .offset:         8
        .size:           4
        .value_kind:     by_value
      - .offset:         12
        .size:           4
        .value_kind:     by_value
      - .offset:         16
        .size:           4
        .value_kind:     by_value
      - .offset:         20
        .size:           4
        .value_kind:     by_value
      - .address_space:  global
        .offset:         24
        .size:           8
        .value_kind:     global_buffer
      - .address_space:  global
        .offset:         32
        .size:           8
        .value_kind:     global_buffer
      - .address_space:  global
        .offset:         40
        .size:           8
        .value_kind:     global_buffer
      - .address_space:  global
        .offset:         48
        .size:           8
        .value_kind:     global_buffer
      - .offset:         56
        .size:           4
        .value_kind:     by_value
      - .offset:         60
        .size:           4
        .value_kind:     by_value
      - .offset:         64
        .size:           4
        .value_kind:     hidden_block_count_x
      - .offset:         68
        .size:           4
        .value_kind:     hidden_block_count_y
      - .offset:         72
        .size:           4
        .value_kind:     hidden_block_count_z
      - .offset:         76
        .size:           2
        .value_kind:     hidden_group_size_x
      - .offset:         78
        .size:           2
        .value_kind:     hidden_group_size_y
      - .offset:         80
        .size:           2
        .value_kind:     hidden_group_size_z
      - .offset:         82
        .size:           2
        .value_kind:     hidden_remainder_x
      - .offset:         84
        .size:           2
        .value_kind:     hidden_remainder_y
      - .offset:         86
        .size:           2
        .value_kind:     hidden_remainder_z
      - .offset:         104
        .size:           8
        .value_kind:     hidden_global_offset_x
      - .offset:         112
        .size:           8
        .value_kind:     hidden_global_offset_y
      - .offset:         120
        .size:           8
        .value_kind:     hidden_global_offset_z
      - .offset:         128
        .size:           2
        .value_kind:     hidden_grid_dims
      - .offset:         184
        .size:           4
        .value_kind:     hidden_dynamic_lds_size
    .group_segment_fixed_size: 0
    .kernarg_segment_align: 8
    .kernarg_segment_size: 320
    .language:       OpenCL C
    .language_version:
      - 2
      - 0
    .max_flat_workgroup_size: 1024
    .name:           _ZN12tensorrt_llm7kernels32fusedQKNormRopeKernelNTokenHeadsIN3c104HalfEfLi64ELb0ELi8EEEvPviiifPKvS6_S6_PKlii
    .private_segment_fixed_size: 0
    .sgpr_count:     28
    .sgpr_spill_count: 0
    .symbol:         _ZN12tensorrt_llm7kernels32fusedQKNormRopeKernelNTokenHeadsIN3c104HalfEfLi64ELb0ELi8EEEvPviiifPKvS6_S6_PKlii.kd
    .uniform_work_group_size: 1
    .uses_dynamic_stack: false
    .vgpr_count:     28
    .vgpr_spill_count: 0
    .wavefront_size: 64
  - .agpr_count:     0
    .args:
      - .address_space:  global
        .offset:         0
        .size:           8
        .value_kind:     global_buffer
      - .offset:         8
        .size:           4
        .value_kind:     by_value
      - .offset:         12
        .size:           4
        .value_kind:     by_value
      - .offset:         16
        .size:           4
        .value_kind:     by_value
      - .offset:         20
        .size:           4
        .value_kind:     by_value
      - .address_space:  global
        .offset:         24
        .size:           8
        .value_kind:     global_buffer
      - .address_space:  global
        .offset:         32
        .size:           8
        .value_kind:     global_buffer
      - .address_space:  global
        .offset:         40
        .size:           8
        .value_kind:     global_buffer
      - .address_space:  global
        .offset:         48
        .size:           8
        .value_kind:     global_buffer
      - .offset:         56
        .size:           4
        .value_kind:     by_value
      - .offset:         60
        .size:           4
        .value_kind:     by_value
      - .offset:         64
        .size:           4
        .value_kind:     hidden_block_count_x
      - .offset:         68
        .size:           4
        .value_kind:     hidden_block_count_y
      - .offset:         72
        .size:           4
        .value_kind:     hidden_block_count_z
      - .offset:         76
        .size:           2
        .value_kind:     hidden_group_size_x
      - .offset:         78
        .size:           2
        .value_kind:     hidden_group_size_y
      - .offset:         80
        .size:           2
        .value_kind:     hidden_group_size_z
      - .offset:         82
        .size:           2
        .value_kind:     hidden_remainder_x
      - .offset:         84
        .size:           2
        .value_kind:     hidden_remainder_y
      - .offset:         86
        .size:           2
        .value_kind:     hidden_remainder_z
      - .offset:         104
        .size:           8
        .value_kind:     hidden_global_offset_x
      - .offset:         112
        .size:           8
        .value_kind:     hidden_global_offset_y
      - .offset:         120
        .size:           8
        .value_kind:     hidden_global_offset_z
      - .offset:         128
        .size:           2
        .value_kind:     hidden_grid_dims
      - .offset:         184
        .size:           4
        .value_kind:     hidden_dynamic_lds_size
    .group_segment_fixed_size: 0
    .kernarg_segment_align: 8
    .kernarg_segment_size: 320
    .language:       OpenCL C
    .language_version:
      - 2
      - 0
    .max_flat_workgroup_size: 1024
    .name:           _ZN12tensorrt_llm7kernels32fusedQKNormRopeKernelNTokenHeadsIN3c104HalfEfLi128ELb1ELi8EEEvPviiifPKvS6_S6_PKlii
    .private_segment_fixed_size: 0
    .sgpr_count:     28
    .sgpr_spill_count: 0
    .symbol:         _ZN12tensorrt_llm7kernels32fusedQKNormRopeKernelNTokenHeadsIN3c104HalfEfLi128ELb1ELi8EEEvPviiifPKvS6_S6_PKlii.kd
    .uniform_work_group_size: 1
    .uses_dynamic_stack: false
    .vgpr_count:     34
    .vgpr_spill_count: 0
    .wavefront_size: 64
  - .agpr_count:     0
    .args:
      - .address_space:  global
        .offset:         0
        .size:           8
        .value_kind:     global_buffer
      - .offset:         8
        .size:           4
        .value_kind:     by_value
      - .offset:         12
        .size:           4
        .value_kind:     by_value
      - .offset:         16
        .size:           4
        .value_kind:     by_value
      - .offset:         20
        .size:           4
        .value_kind:     by_value
      - .address_space:  global
        .offset:         24
        .size:           8
        .value_kind:     global_buffer
      - .address_space:  global
        .offset:         32
        .size:           8
        .value_kind:     global_buffer
      - .address_space:  global
        .offset:         40
        .size:           8
        .value_kind:     global_buffer
      - .address_space:  global
        .offset:         48
        .size:           8
        .value_kind:     global_buffer
      - .offset:         56
        .size:           4
        .value_kind:     by_value
      - .offset:         60
        .size:           4
        .value_kind:     by_value
      - .offset:         64
        .size:           4
        .value_kind:     hidden_block_count_x
      - .offset:         68
        .size:           4
        .value_kind:     hidden_block_count_y
      - .offset:         72
        .size:           4
        .value_kind:     hidden_block_count_z
      - .offset:         76
        .size:           2
        .value_kind:     hidden_group_size_x
      - .offset:         78
        .size:           2
        .value_kind:     hidden_group_size_y
      - .offset:         80
        .size:           2
        .value_kind:     hidden_group_size_z
      - .offset:         82
        .size:           2
        .value_kind:     hidden_remainder_x
      - .offset:         84
        .size:           2
        .value_kind:     hidden_remainder_y
      - .offset:         86
        .size:           2
        .value_kind:     hidden_remainder_z
      - .offset:         104
        .size:           8
        .value_kind:     hidden_global_offset_x
      - .offset:         112
        .size:           8
        .value_kind:     hidden_global_offset_y
      - .offset:         120
        .size:           8
        .value_kind:     hidden_global_offset_z
      - .offset:         128
        .size:           2
        .value_kind:     hidden_grid_dims
      - .offset:         184
        .size:           4
        .value_kind:     hidden_dynamic_lds_size
    .group_segment_fixed_size: 0
    .kernarg_segment_align: 8
    .kernarg_segment_size: 320
    .language:       OpenCL C
    .language_version:
      - 2
      - 0
    .max_flat_workgroup_size: 1024
    .name:           _ZN12tensorrt_llm7kernels32fusedQKNormRopeKernelNTokenHeadsIN3c104HalfEfLi128ELb0ELi8EEEvPviiifPKvS6_S6_PKlii
    .private_segment_fixed_size: 0
    .sgpr_count:     28
    .sgpr_spill_count: 0
    .symbol:         _ZN12tensorrt_llm7kernels32fusedQKNormRopeKernelNTokenHeadsIN3c104HalfEfLi128ELb0ELi8EEEvPviiifPKvS6_S6_PKlii.kd
    .uniform_work_group_size: 1
    .uses_dynamic_stack: false
    .vgpr_count:     41
    .vgpr_spill_count: 0
    .wavefront_size: 64
  - .agpr_count:     0
    .args:
      - .address_space:  global
        .offset:         0
        .size:           8
        .value_kind:     global_buffer
      - .offset:         8
        .size:           4
        .value_kind:     by_value
      - .offset:         12
        .size:           4
        .value_kind:     by_value
      - .offset:         16
        .size:           4
        .value_kind:     by_value
      - .offset:         20
        .size:           4
        .value_kind:     by_value
      - .address_space:  global
        .offset:         24
        .size:           8
        .value_kind:     global_buffer
      - .address_space:  global
        .offset:         32
        .size:           8
        .value_kind:     global_buffer
      - .address_space:  global
        .offset:         40
        .size:           8
        .value_kind:     global_buffer
      - .address_space:  global
        .offset:         48
        .size:           8
        .value_kind:     global_buffer
      - .offset:         56
        .size:           4
        .value_kind:     by_value
      - .offset:         60
        .size:           4
        .value_kind:     by_value
      - .offset:         64
        .size:           4
        .value_kind:     hidden_block_count_x
      - .offset:         68
        .size:           4
        .value_kind:     hidden_block_count_y
      - .offset:         72
        .size:           4
        .value_kind:     hidden_block_count_z
      - .offset:         76
        .size:           2
        .value_kind:     hidden_group_size_x
      - .offset:         78
        .size:           2
        .value_kind:     hidden_group_size_y
      - .offset:         80
        .size:           2
        .value_kind:     hidden_group_size_z
      - .offset:         82
        .size:           2
        .value_kind:     hidden_remainder_x
      - .offset:         84
        .size:           2
        .value_kind:     hidden_remainder_y
      - .offset:         86
        .size:           2
        .value_kind:     hidden_remainder_z
      - .offset:         104
        .size:           8
        .value_kind:     hidden_global_offset_x
      - .offset:         112
        .size:           8
        .value_kind:     hidden_global_offset_y
      - .offset:         120
        .size:           8
        .value_kind:     hidden_global_offset_z
      - .offset:         128
        .size:           2
        .value_kind:     hidden_grid_dims
      - .offset:         184
        .size:           4
        .value_kind:     hidden_dynamic_lds_size
    .group_segment_fixed_size: 0
    .kernarg_segment_align: 8
    .kernarg_segment_size: 320
    .language:       OpenCL C
    .language_version:
      - 2
      - 0
    .max_flat_workgroup_size: 1024
    .name:           _ZN12tensorrt_llm7kernels32fusedQKNormRopeKernelNTokenHeadsIN3c104HalfEfLi256ELb1ELi8EEEvPviiifPKvS6_S6_PKlii
    .private_segment_fixed_size: 0
    .sgpr_count:     28
    .sgpr_spill_count: 0
    .symbol:         _ZN12tensorrt_llm7kernels32fusedQKNormRopeKernelNTokenHeadsIN3c104HalfEfLi256ELb1ELi8EEEvPviiifPKvS6_S6_PKlii.kd
    .uniform_work_group_size: 1
    .uses_dynamic_stack: false
    .vgpr_count:     52
    .vgpr_spill_count: 0
    .wavefront_size: 64
  - .agpr_count:     0
    .args:
      - .address_space:  global
        .offset:         0
        .size:           8
        .value_kind:     global_buffer
      - .offset:         8
        .size:           4
        .value_kind:     by_value
      - .offset:         12
        .size:           4
        .value_kind:     by_value
      - .offset:         16
        .size:           4
        .value_kind:     by_value
      - .offset:         20
        .size:           4
        .value_kind:     by_value
      - .address_space:  global
        .offset:         24
        .size:           8
        .value_kind:     global_buffer
      - .address_space:  global
        .offset:         32
        .size:           8
        .value_kind:     global_buffer
      - .address_space:  global
        .offset:         40
        .size:           8
        .value_kind:     global_buffer
      - .address_space:  global
        .offset:         48
        .size:           8
        .value_kind:     global_buffer
      - .offset:         56
        .size:           4
        .value_kind:     by_value
      - .offset:         60
        .size:           4
        .value_kind:     by_value
      - .offset:         64
        .size:           4
        .value_kind:     hidden_block_count_x
      - .offset:         68
        .size:           4
        .value_kind:     hidden_block_count_y
      - .offset:         72
        .size:           4
        .value_kind:     hidden_block_count_z
      - .offset:         76
        .size:           2
        .value_kind:     hidden_group_size_x
      - .offset:         78
        .size:           2
        .value_kind:     hidden_group_size_y
      - .offset:         80
        .size:           2
        .value_kind:     hidden_group_size_z
      - .offset:         82
        .size:           2
        .value_kind:     hidden_remainder_x
      - .offset:         84
        .size:           2
        .value_kind:     hidden_remainder_y
      - .offset:         86
        .size:           2
        .value_kind:     hidden_remainder_z
      - .offset:         104
        .size:           8
        .value_kind:     hidden_global_offset_x
      - .offset:         112
        .size:           8
        .value_kind:     hidden_global_offset_y
      - .offset:         120
        .size:           8
        .value_kind:     hidden_global_offset_z
      - .offset:         128
        .size:           2
        .value_kind:     hidden_grid_dims
      - .offset:         184
        .size:           4
        .value_kind:     hidden_dynamic_lds_size
    .group_segment_fixed_size: 0
    .kernarg_segment_align: 8
    .kernarg_segment_size: 320
    .language:       OpenCL C
    .language_version:
      - 2
      - 0
    .max_flat_workgroup_size: 1024
    .name:           _ZN12tensorrt_llm7kernels32fusedQKNormRopeKernelNTokenHeadsIN3c104HalfEfLi256ELb0ELi8EEEvPviiifPKvS6_S6_PKlii
    .private_segment_fixed_size: 0
    .sgpr_count:     28
    .sgpr_spill_count: 0
    .symbol:         _ZN12tensorrt_llm7kernels32fusedQKNormRopeKernelNTokenHeadsIN3c104HalfEfLi256ELb0ELi8EEEvPviiifPKvS6_S6_PKlii.kd
    .uniform_work_group_size: 1
    .uses_dynamic_stack: false
    .vgpr_count:     61
    .vgpr_spill_count: 0
    .wavefront_size: 64
  - .agpr_count:     0
    .args:
      - .address_space:  global
        .offset:         0
        .size:           8
        .value_kind:     global_buffer
      - .offset:         8
        .size:           4
        .value_kind:     by_value
      - .offset:         12
        .size:           4
        .value_kind:     by_value
      - .offset:         16
        .size:           4
        .value_kind:     by_value
      - .offset:         20
        .size:           4
        .value_kind:     by_value
      - .address_space:  global
        .offset:         24
        .size:           8
        .value_kind:     global_buffer
      - .address_space:  global
        .offset:         32
        .size:           8
        .value_kind:     global_buffer
      - .address_space:  global
        .offset:         40
        .size:           8
        .value_kind:     global_buffer
      - .address_space:  global
        .offset:         48
        .size:           8
        .value_kind:     global_buffer
      - .offset:         56
        .size:           4
        .value_kind:     by_value
      - .offset:         60
        .size:           4
        .value_kind:     by_value
      - .offset:         64
        .size:           4
        .value_kind:     hidden_block_count_x
      - .offset:         68
        .size:           4
        .value_kind:     hidden_block_count_y
      - .offset:         72
        .size:           4
        .value_kind:     hidden_block_count_z
      - .offset:         76
        .size:           2
        .value_kind:     hidden_group_size_x
      - .offset:         78
        .size:           2
        .value_kind:     hidden_group_size_y
      - .offset:         80
        .size:           2
        .value_kind:     hidden_group_size_z
      - .offset:         82
        .size:           2
        .value_kind:     hidden_remainder_x
      - .offset:         84
        .size:           2
        .value_kind:     hidden_remainder_y
      - .offset:         86
        .size:           2
        .value_kind:     hidden_remainder_z
      - .offset:         104
        .size:           8
        .value_kind:     hidden_global_offset_x
      - .offset:         112
        .size:           8
        .value_kind:     hidden_global_offset_y
      - .offset:         120
        .size:           8
        .value_kind:     hidden_global_offset_z
      - .offset:         128
        .size:           2
        .value_kind:     hidden_grid_dims
    .group_segment_fixed_size: 0
    .kernarg_segment_align: 8
    .kernarg_segment_size: 320
    .language:       OpenCL C
    .language_version:
      - 2
      - 0
    .max_flat_workgroup_size: 1024
    .name:           _ZN12tensorrt_llm7kernels21fusedQKNormRopeKernelIN3c104HalfES3_Li64ELb1EEEvPviiifPKvS6_S6_PKlii
    .private_segment_fixed_size: 0
    .sgpr_count:     18
    .sgpr_spill_count: 0
    .symbol:         _ZN12tensorrt_llm7kernels21fusedQKNormRopeKernelIN3c104HalfES3_Li64ELb1EEEvPviiifPKvS6_S6_PKlii.kd
    .uniform_work_group_size: 1
    .uses_dynamic_stack: false
    .vgpr_count:     13
    .vgpr_spill_count: 0
    .wavefront_size: 64
  - .agpr_count:     0
    .args:
      - .address_space:  global
        .offset:         0
        .size:           8
        .value_kind:     global_buffer
      - .offset:         8
        .size:           4
        .value_kind:     by_value
      - .offset:         12
        .size:           4
        .value_kind:     by_value
      - .offset:         16
        .size:           4
        .value_kind:     by_value
      - .offset:         20
        .size:           4
        .value_kind:     by_value
      - .address_space:  global
        .offset:         24
        .size:           8
        .value_kind:     global_buffer
      - .address_space:  global
        .offset:         32
        .size:           8
        .value_kind:     global_buffer
      - .address_space:  global
        .offset:         40
        .size:           8
        .value_kind:     global_buffer
      - .address_space:  global
        .offset:         48
        .size:           8
        .value_kind:     global_buffer
      - .offset:         56
        .size:           4
        .value_kind:     by_value
      - .offset:         60
        .size:           4
        .value_kind:     by_value
      - .offset:         64
        .size:           4
        .value_kind:     hidden_block_count_x
      - .offset:         68
        .size:           4
        .value_kind:     hidden_block_count_y
      - .offset:         72
        .size:           4
        .value_kind:     hidden_block_count_z
      - .offset:         76
        .size:           2
        .value_kind:     hidden_group_size_x
      - .offset:         78
        .size:           2
        .value_kind:     hidden_group_size_y
      - .offset:         80
        .size:           2
        .value_kind:     hidden_group_size_z
      - .offset:         82
        .size:           2
        .value_kind:     hidden_remainder_x
      - .offset:         84
        .size:           2
        .value_kind:     hidden_remainder_y
      - .offset:         86
        .size:           2
        .value_kind:     hidden_remainder_z
      - .offset:         104
        .size:           8
        .value_kind:     hidden_global_offset_x
      - .offset:         112
        .size:           8
        .value_kind:     hidden_global_offset_y
      - .offset:         120
        .size:           8
        .value_kind:     hidden_global_offset_z
      - .offset:         128
        .size:           2
        .value_kind:     hidden_grid_dims
    .group_segment_fixed_size: 0
    .kernarg_segment_align: 8
    .kernarg_segment_size: 320
    .language:       OpenCL C
    .language_version:
      - 2
      - 0
    .max_flat_workgroup_size: 1024
    .name:           _ZN12tensorrt_llm7kernels21fusedQKNormRopeKernelIN3c104HalfES3_Li64ELb0EEEvPviiifPKvS6_S6_PKlii
    .private_segment_fixed_size: 0
    .sgpr_count:     18
    .sgpr_spill_count: 0
    .symbol:         _ZN12tensorrt_llm7kernels21fusedQKNormRopeKernelIN3c104HalfES3_Li64ELb0EEEvPviiifPKvS6_S6_PKlii.kd
    .uniform_work_group_size: 1
    .uses_dynamic_stack: false
    .vgpr_count:     18
    .vgpr_spill_count: 0
    .wavefront_size: 64
  - .agpr_count:     0
    .args:
      - .address_space:  global
        .offset:         0
        .size:           8
        .value_kind:     global_buffer
      - .offset:         8
        .size:           4
        .value_kind:     by_value
      - .offset:         12
        .size:           4
        .value_kind:     by_value
      - .offset:         16
        .size:           4
        .value_kind:     by_value
      - .offset:         20
        .size:           4
        .value_kind:     by_value
      - .address_space:  global
        .offset:         24
        .size:           8
        .value_kind:     global_buffer
      - .address_space:  global
        .offset:         32
        .size:           8
        .value_kind:     global_buffer
      - .address_space:  global
        .offset:         40
        .size:           8
        .value_kind:     global_buffer
      - .address_space:  global
        .offset:         48
        .size:           8
        .value_kind:     global_buffer
      - .offset:         56
        .size:           4
        .value_kind:     by_value
      - .offset:         60
        .size:           4
        .value_kind:     by_value
      - .offset:         64
        .size:           4
        .value_kind:     hidden_block_count_x
      - .offset:         68
        .size:           4
        .value_kind:     hidden_block_count_y
      - .offset:         72
        .size:           4
        .value_kind:     hidden_block_count_z
      - .offset:         76
        .size:           2
        .value_kind:     hidden_group_size_x
      - .offset:         78
        .size:           2
        .value_kind:     hidden_group_size_y
      - .offset:         80
        .size:           2
        .value_kind:     hidden_group_size_z
      - .offset:         82
        .size:           2
        .value_kind:     hidden_remainder_x
      - .offset:         84
        .size:           2
        .value_kind:     hidden_remainder_y
      - .offset:         86
        .size:           2
        .value_kind:     hidden_remainder_z
      - .offset:         104
        .size:           8
        .value_kind:     hidden_global_offset_x
      - .offset:         112
        .size:           8
        .value_kind:     hidden_global_offset_y
      - .offset:         120
        .size:           8
        .value_kind:     hidden_global_offset_z
      - .offset:         128
        .size:           2
        .value_kind:     hidden_grid_dims
    .group_segment_fixed_size: 0
    .kernarg_segment_align: 8
    .kernarg_segment_size: 320
    .language:       OpenCL C
    .language_version:
      - 2
      - 0
    .max_flat_workgroup_size: 1024
    .name:           _ZN12tensorrt_llm7kernels21fusedQKNormRopeKernelIN3c104HalfES3_Li128ELb1EEEvPviiifPKvS6_S6_PKlii
    .private_segment_fixed_size: 0
    .sgpr_count:     18
    .sgpr_spill_count: 0
    .symbol:         _ZN12tensorrt_llm7kernels21fusedQKNormRopeKernelIN3c104HalfES3_Li128ELb1EEEvPviiifPKvS6_S6_PKlii.kd
    .uniform_work_group_size: 1
    .uses_dynamic_stack: false
    .vgpr_count:     20
    .vgpr_spill_count: 0
    .wavefront_size: 64
  - .agpr_count:     0
    .args:
      - .address_space:  global
        .offset:         0
        .size:           8
        .value_kind:     global_buffer
      - .offset:         8
        .size:           4
        .value_kind:     by_value
      - .offset:         12
        .size:           4
        .value_kind:     by_value
      - .offset:         16
        .size:           4
        .value_kind:     by_value
      - .offset:         20
        .size:           4
        .value_kind:     by_value
      - .address_space:  global
        .offset:         24
        .size:           8
        .value_kind:     global_buffer
      - .address_space:  global
        .offset:         32
        .size:           8
        .value_kind:     global_buffer
      - .address_space:  global
        .offset:         40
        .size:           8
        .value_kind:     global_buffer
      - .address_space:  global
        .offset:         48
        .size:           8
        .value_kind:     global_buffer
      - .offset:         56
        .size:           4
        .value_kind:     by_value
      - .offset:         60
        .size:           4
        .value_kind:     by_value
      - .offset:         64
        .size:           4
        .value_kind:     hidden_block_count_x
      - .offset:         68
        .size:           4
        .value_kind:     hidden_block_count_y
      - .offset:         72
        .size:           4
        .value_kind:     hidden_block_count_z
      - .offset:         76
        .size:           2
        .value_kind:     hidden_group_size_x
      - .offset:         78
        .size:           2
        .value_kind:     hidden_group_size_y
      - .offset:         80
        .size:           2
        .value_kind:     hidden_group_size_z
      - .offset:         82
        .size:           2
        .value_kind:     hidden_remainder_x
      - .offset:         84
        .size:           2
        .value_kind:     hidden_remainder_y
      - .offset:         86
        .size:           2
        .value_kind:     hidden_remainder_z
      - .offset:         104
        .size:           8
        .value_kind:     hidden_global_offset_x
      - .offset:         112
        .size:           8
        .value_kind:     hidden_global_offset_y
      - .offset:         120
        .size:           8
        .value_kind:     hidden_global_offset_z
      - .offset:         128
        .size:           2
        .value_kind:     hidden_grid_dims
    .group_segment_fixed_size: 0
    .kernarg_segment_align: 8
    .kernarg_segment_size: 320
    .language:       OpenCL C
    .language_version:
      - 2
      - 0
    .max_flat_workgroup_size: 1024
    .name:           _ZN12tensorrt_llm7kernels21fusedQKNormRopeKernelIN3c104HalfES3_Li128ELb0EEEvPviiifPKvS6_S6_PKlii
    .private_segment_fixed_size: 0
    .sgpr_count:     18
    .sgpr_spill_count: 0
    .symbol:         _ZN12tensorrt_llm7kernels21fusedQKNormRopeKernelIN3c104HalfES3_Li128ELb0EEEvPviiifPKvS6_S6_PKlii.kd
    .uniform_work_group_size: 1
    .uses_dynamic_stack: false
    .vgpr_count:     28
    .vgpr_spill_count: 0
    .wavefront_size: 64
  - .agpr_count:     0
    .args:
      - .address_space:  global
        .offset:         0
        .size:           8
        .value_kind:     global_buffer
      - .offset:         8
        .size:           4
        .value_kind:     by_value
      - .offset:         12
        .size:           4
        .value_kind:     by_value
      - .offset:         16
        .size:           4
        .value_kind:     by_value
      - .offset:         20
        .size:           4
        .value_kind:     by_value
      - .address_space:  global
        .offset:         24
        .size:           8
        .value_kind:     global_buffer
      - .address_space:  global
        .offset:         32
        .size:           8
        .value_kind:     global_buffer
      - .address_space:  global
        .offset:         40
        .size:           8
        .value_kind:     global_buffer
      - .address_space:  global
        .offset:         48
        .size:           8
        .value_kind:     global_buffer
      - .offset:         56
        .size:           4
        .value_kind:     by_value
      - .offset:         60
        .size:           4
        .value_kind:     by_value
      - .offset:         64
        .size:           4
        .value_kind:     hidden_block_count_x
      - .offset:         68
        .size:           4
        .value_kind:     hidden_block_count_y
      - .offset:         72
        .size:           4
        .value_kind:     hidden_block_count_z
      - .offset:         76
        .size:           2
        .value_kind:     hidden_group_size_x
      - .offset:         78
        .size:           2
        .value_kind:     hidden_group_size_y
      - .offset:         80
        .size:           2
        .value_kind:     hidden_group_size_z
      - .offset:         82
        .size:           2
        .value_kind:     hidden_remainder_x
      - .offset:         84
        .size:           2
        .value_kind:     hidden_remainder_y
      - .offset:         86
        .size:           2
        .value_kind:     hidden_remainder_z
      - .offset:         104
        .size:           8
        .value_kind:     hidden_global_offset_x
      - .offset:         112
        .size:           8
        .value_kind:     hidden_global_offset_y
      - .offset:         120
        .size:           8
        .value_kind:     hidden_global_offset_z
      - .offset:         128
        .size:           2
        .value_kind:     hidden_grid_dims
    .group_segment_fixed_size: 0
    .kernarg_segment_align: 8
    .kernarg_segment_size: 320
    .language:       OpenCL C
    .language_version:
      - 2
      - 0
    .max_flat_workgroup_size: 1024
    .name:           _ZN12tensorrt_llm7kernels21fusedQKNormRopeKernelIN3c104HalfES3_Li256ELb1EEEvPviiifPKvS6_S6_PKlii
    .private_segment_fixed_size: 0
    .sgpr_count:     18
    .sgpr_spill_count: 0
    .symbol:         _ZN12tensorrt_llm7kernels21fusedQKNormRopeKernelIN3c104HalfES3_Li256ELb1EEEvPviiifPKvS6_S6_PKlii.kd
    .uniform_work_group_size: 1
    .uses_dynamic_stack: false
    .vgpr_count:     32
    .vgpr_spill_count: 0
    .wavefront_size: 64
  - .agpr_count:     0
    .args:
      - .address_space:  global
        .offset:         0
        .size:           8
        .value_kind:     global_buffer
      - .offset:         8
        .size:           4
        .value_kind:     by_value
      - .offset:         12
        .size:           4
        .value_kind:     by_value
      - .offset:         16
        .size:           4
        .value_kind:     by_value
      - .offset:         20
        .size:           4
        .value_kind:     by_value
      - .address_space:  global
        .offset:         24
        .size:           8
        .value_kind:     global_buffer
      - .address_space:  global
        .offset:         32
        .size:           8
        .value_kind:     global_buffer
      - .address_space:  global
        .offset:         40
        .size:           8
        .value_kind:     global_buffer
      - .address_space:  global
        .offset:         48
        .size:           8
        .value_kind:     global_buffer
      - .offset:         56
        .size:           4
        .value_kind:     by_value
      - .offset:         60
        .size:           4
        .value_kind:     by_value
      - .offset:         64
        .size:           4
        .value_kind:     hidden_block_count_x
      - .offset:         68
        .size:           4
        .value_kind:     hidden_block_count_y
      - .offset:         72
        .size:           4
        .value_kind:     hidden_block_count_z
      - .offset:         76
        .size:           2
        .value_kind:     hidden_group_size_x
      - .offset:         78
        .size:           2
        .value_kind:     hidden_group_size_y
      - .offset:         80
        .size:           2
        .value_kind:     hidden_group_size_z
      - .offset:         82
        .size:           2
        .value_kind:     hidden_remainder_x
      - .offset:         84
        .size:           2
        .value_kind:     hidden_remainder_y
      - .offset:         86
        .size:           2
        .value_kind:     hidden_remainder_z
      - .offset:         104
        .size:           8
        .value_kind:     hidden_global_offset_x
      - .offset:         112
        .size:           8
        .value_kind:     hidden_global_offset_y
      - .offset:         120
        .size:           8
        .value_kind:     hidden_global_offset_z
      - .offset:         128
        .size:           2
        .value_kind:     hidden_grid_dims
    .group_segment_fixed_size: 0
    .kernarg_segment_align: 8
    .kernarg_segment_size: 320
    .language:       OpenCL C
    .language_version:
      - 2
      - 0
    .max_flat_workgroup_size: 1024
    .name:           _ZN12tensorrt_llm7kernels21fusedQKNormRopeKernelIN3c104HalfES3_Li256ELb0EEEvPviiifPKvS6_S6_PKlii
    .private_segment_fixed_size: 0
    .sgpr_count:     18
    .sgpr_spill_count: 0
    .symbol:         _ZN12tensorrt_llm7kernels21fusedQKNormRopeKernelIN3c104HalfES3_Li256ELb0EEEvPviiifPKvS6_S6_PKlii.kd
    .uniform_work_group_size: 1
    .uses_dynamic_stack: false
    .vgpr_count:     44
    .vgpr_spill_count: 0
    .wavefront_size: 64
  - .agpr_count:     0
    .args:
      - .address_space:  global
        .offset:         0
        .size:           8
        .value_kind:     global_buffer
      - .offset:         8
        .size:           4
        .value_kind:     by_value
      - .offset:         12
        .size:           4
        .value_kind:     by_value
      - .offset:         16
        .size:           4
        .value_kind:     by_value
      - .offset:         20
        .size:           4
        .value_kind:     by_value
      - .address_space:  global
        .offset:         24
        .size:           8
        .value_kind:     global_buffer
      - .address_space:  global
        .offset:         32
        .size:           8
        .value_kind:     global_buffer
      - .address_space:  global
        .offset:         40
        .size:           8
        .value_kind:     global_buffer
      - .address_space:  global
        .offset:         48
        .size:           8
        .value_kind:     global_buffer
      - .offset:         56
        .size:           4
        .value_kind:     by_value
      - .offset:         60
        .size:           4
        .value_kind:     by_value
      - .offset:         64
        .size:           4
        .value_kind:     hidden_block_count_x
      - .offset:         68
        .size:           4
        .value_kind:     hidden_block_count_y
      - .offset:         72
        .size:           4
        .value_kind:     hidden_block_count_z
      - .offset:         76
        .size:           2
        .value_kind:     hidden_group_size_x
      - .offset:         78
        .size:           2
        .value_kind:     hidden_group_size_y
      - .offset:         80
        .size:           2
        .value_kind:     hidden_group_size_z
      - .offset:         82
        .size:           2
        .value_kind:     hidden_remainder_x
      - .offset:         84
        .size:           2
        .value_kind:     hidden_remainder_y
      - .offset:         86
        .size:           2
        .value_kind:     hidden_remainder_z
      - .offset:         104
        .size:           8
        .value_kind:     hidden_global_offset_x
      - .offset:         112
        .size:           8
        .value_kind:     hidden_global_offset_y
      - .offset:         120
        .size:           8
        .value_kind:     hidden_global_offset_z
      - .offset:         128
        .size:           2
        .value_kind:     hidden_grid_dims
      - .offset:         184
        .size:           4
        .value_kind:     hidden_dynamic_lds_size
    .group_segment_fixed_size: 0
    .kernarg_segment_align: 8
    .kernarg_segment_size: 320
    .language:       OpenCL C
    .language_version:
      - 2
      - 0
    .max_flat_workgroup_size: 1024
    .name:           _ZN12tensorrt_llm7kernels32fusedQKNormRopeKernelNTokenHeadsIN3c104HalfES3_Li64ELb1ELi2EEEvPviiifPKvS6_S6_PKlii
    .private_segment_fixed_size: 0
    .sgpr_count:     28
    .sgpr_spill_count: 0
    .symbol:         _ZN12tensorrt_llm7kernels32fusedQKNormRopeKernelNTokenHeadsIN3c104HalfES3_Li64ELb1ELi2EEEvPviiifPKvS6_S6_PKlii.kd
    .uniform_work_group_size: 1
    .uses_dynamic_stack: false
    .vgpr_count:     25
    .vgpr_spill_count: 0
    .wavefront_size: 64
  - .agpr_count:     0
    .args:
      - .address_space:  global
        .offset:         0
        .size:           8
        .value_kind:     global_buffer
      - .offset:         8
        .size:           4
        .value_kind:     by_value
      - .offset:         12
        .size:           4
        .value_kind:     by_value
      - .offset:         16
        .size:           4
        .value_kind:     by_value
      - .offset:         20
        .size:           4
        .value_kind:     by_value
      - .address_space:  global
        .offset:         24
        .size:           8
        .value_kind:     global_buffer
      - .address_space:  global
        .offset:         32
        .size:           8
        .value_kind:     global_buffer
      - .address_space:  global
        .offset:         40
        .size:           8
        .value_kind:     global_buffer
      - .address_space:  global
        .offset:         48
        .size:           8
        .value_kind:     global_buffer
      - .offset:         56
        .size:           4
        .value_kind:     by_value
      - .offset:         60
        .size:           4
        .value_kind:     by_value
      - .offset:         64
        .size:           4
        .value_kind:     hidden_block_count_x
      - .offset:         68
        .size:           4
        .value_kind:     hidden_block_count_y
      - .offset:         72
        .size:           4
        .value_kind:     hidden_block_count_z
      - .offset:         76
        .size:           2
        .value_kind:     hidden_group_size_x
      - .offset:         78
        .size:           2
        .value_kind:     hidden_group_size_y
      - .offset:         80
        .size:           2
        .value_kind:     hidden_group_size_z
      - .offset:         82
        .size:           2
        .value_kind:     hidden_remainder_x
      - .offset:         84
        .size:           2
        .value_kind:     hidden_remainder_y
      - .offset:         86
        .size:           2
        .value_kind:     hidden_remainder_z
      - .offset:         104
        .size:           8
        .value_kind:     hidden_global_offset_x
      - .offset:         112
        .size:           8
        .value_kind:     hidden_global_offset_y
      - .offset:         120
        .size:           8
        .value_kind:     hidden_global_offset_z
      - .offset:         128
        .size:           2
        .value_kind:     hidden_grid_dims
      - .offset:         184
        .size:           4
        .value_kind:     hidden_dynamic_lds_size
    .group_segment_fixed_size: 0
    .kernarg_segment_align: 8
    .kernarg_segment_size: 320
    .language:       OpenCL C
    .language_version:
      - 2
      - 0
    .max_flat_workgroup_size: 1024
    .name:           _ZN12tensorrt_llm7kernels32fusedQKNormRopeKernelNTokenHeadsIN3c104HalfES3_Li64ELb0ELi2EEEvPviiifPKvS6_S6_PKlii
    .private_segment_fixed_size: 0
    .sgpr_count:     28
    .sgpr_spill_count: 0
    .symbol:         _ZN12tensorrt_llm7kernels32fusedQKNormRopeKernelNTokenHeadsIN3c104HalfES3_Li64ELb0ELi2EEEvPviiifPKvS6_S6_PKlii.kd
    .uniform_work_group_size: 1
    .uses_dynamic_stack: false
    .vgpr_count:     28
    .vgpr_spill_count: 0
    .wavefront_size: 64
  - .agpr_count:     0
    .args:
      - .address_space:  global
        .offset:         0
        .size:           8
        .value_kind:     global_buffer
      - .offset:         8
        .size:           4
        .value_kind:     by_value
      - .offset:         12
        .size:           4
        .value_kind:     by_value
      - .offset:         16
        .size:           4
        .value_kind:     by_value
      - .offset:         20
        .size:           4
        .value_kind:     by_value
      - .address_space:  global
        .offset:         24
        .size:           8
        .value_kind:     global_buffer
      - .address_space:  global
        .offset:         32
        .size:           8
        .value_kind:     global_buffer
      - .address_space:  global
        .offset:         40
        .size:           8
        .value_kind:     global_buffer
      - .address_space:  global
        .offset:         48
        .size:           8
        .value_kind:     global_buffer
      - .offset:         56
        .size:           4
        .value_kind:     by_value
      - .offset:         60
        .size:           4
        .value_kind:     by_value
      - .offset:         64
        .size:           4
        .value_kind:     hidden_block_count_x
      - .offset:         68
        .size:           4
        .value_kind:     hidden_block_count_y
      - .offset:         72
        .size:           4
        .value_kind:     hidden_block_count_z
      - .offset:         76
        .size:           2
        .value_kind:     hidden_group_size_x
      - .offset:         78
        .size:           2
        .value_kind:     hidden_group_size_y
      - .offset:         80
        .size:           2
        .value_kind:     hidden_group_size_z
      - .offset:         82
        .size:           2
        .value_kind:     hidden_remainder_x
      - .offset:         84
        .size:           2
        .value_kind:     hidden_remainder_y
      - .offset:         86
        .size:           2
        .value_kind:     hidden_remainder_z
      - .offset:         104
        .size:           8
        .value_kind:     hidden_global_offset_x
      - .offset:         112
        .size:           8
        .value_kind:     hidden_global_offset_y
      - .offset:         120
        .size:           8
        .value_kind:     hidden_global_offset_z
      - .offset:         128
        .size:           2
        .value_kind:     hidden_grid_dims
      - .offset:         184
        .size:           4
        .value_kind:     hidden_dynamic_lds_size
    .group_segment_fixed_size: 0
    .kernarg_segment_align: 8
    .kernarg_segment_size: 320
    .language:       OpenCL C
    .language_version:
      - 2
      - 0
    .max_flat_workgroup_size: 1024
    .name:           _ZN12tensorrt_llm7kernels32fusedQKNormRopeKernelNTokenHeadsIN3c104HalfES3_Li128ELb1ELi2EEEvPviiifPKvS6_S6_PKlii
    .private_segment_fixed_size: 0
    .sgpr_count:     28
    .sgpr_spill_count: 0
    .symbol:         _ZN12tensorrt_llm7kernels32fusedQKNormRopeKernelNTokenHeadsIN3c104HalfES3_Li128ELb1ELi2EEEvPviiifPKvS6_S6_PKlii.kd
    .uniform_work_group_size: 1
    .uses_dynamic_stack: false
    .vgpr_count:     36
    .vgpr_spill_count: 0
    .wavefront_size: 64
  - .agpr_count:     0
    .args:
      - .address_space:  global
        .offset:         0
        .size:           8
        .value_kind:     global_buffer
      - .offset:         8
        .size:           4
        .value_kind:     by_value
      - .offset:         12
        .size:           4
        .value_kind:     by_value
      - .offset:         16
        .size:           4
        .value_kind:     by_value
      - .offset:         20
        .size:           4
        .value_kind:     by_value
      - .address_space:  global
        .offset:         24
        .size:           8
        .value_kind:     global_buffer
      - .address_space:  global
        .offset:         32
        .size:           8
        .value_kind:     global_buffer
      - .address_space:  global
        .offset:         40
        .size:           8
        .value_kind:     global_buffer
      - .address_space:  global
        .offset:         48
        .size:           8
        .value_kind:     global_buffer
      - .offset:         56
        .size:           4
        .value_kind:     by_value
      - .offset:         60
        .size:           4
        .value_kind:     by_value
      - .offset:         64
        .size:           4
        .value_kind:     hidden_block_count_x
      - .offset:         68
        .size:           4
        .value_kind:     hidden_block_count_y
      - .offset:         72
        .size:           4
        .value_kind:     hidden_block_count_z
      - .offset:         76
        .size:           2
        .value_kind:     hidden_group_size_x
      - .offset:         78
        .size:           2
        .value_kind:     hidden_group_size_y
      - .offset:         80
        .size:           2
        .value_kind:     hidden_group_size_z
      - .offset:         82
        .size:           2
        .value_kind:     hidden_remainder_x
      - .offset:         84
        .size:           2
        .value_kind:     hidden_remainder_y
      - .offset:         86
        .size:           2
        .value_kind:     hidden_remainder_z
      - .offset:         104
        .size:           8
        .value_kind:     hidden_global_offset_x
      - .offset:         112
        .size:           8
        .value_kind:     hidden_global_offset_y
      - .offset:         120
        .size:           8
        .value_kind:     hidden_global_offset_z
      - .offset:         128
        .size:           2
        .value_kind:     hidden_grid_dims
      - .offset:         184
        .size:           4
        .value_kind:     hidden_dynamic_lds_size
    .group_segment_fixed_size: 0
    .kernarg_segment_align: 8
    .kernarg_segment_size: 320
    .language:       OpenCL C
    .language_version:
      - 2
      - 0
    .max_flat_workgroup_size: 1024
    .name:           _ZN12tensorrt_llm7kernels32fusedQKNormRopeKernelNTokenHeadsIN3c104HalfES3_Li128ELb0ELi2EEEvPviiifPKvS6_S6_PKlii
    .private_segment_fixed_size: 0
    .sgpr_count:     28
    .sgpr_spill_count: 0
    .symbol:         _ZN12tensorrt_llm7kernels32fusedQKNormRopeKernelNTokenHeadsIN3c104HalfES3_Li128ELb0ELi2EEEvPviiifPKvS6_S6_PKlii.kd
    .uniform_work_group_size: 1
    .uses_dynamic_stack: false
    .vgpr_count:     41
    .vgpr_spill_count: 0
    .wavefront_size: 64
  - .agpr_count:     0
    .args:
      - .address_space:  global
        .offset:         0
        .size:           8
        .value_kind:     global_buffer
      - .offset:         8
        .size:           4
        .value_kind:     by_value
      - .offset:         12
        .size:           4
        .value_kind:     by_value
      - .offset:         16
        .size:           4
        .value_kind:     by_value
      - .offset:         20
        .size:           4
        .value_kind:     by_value
      - .address_space:  global
        .offset:         24
        .size:           8
        .value_kind:     global_buffer
      - .address_space:  global
        .offset:         32
        .size:           8
        .value_kind:     global_buffer
      - .address_space:  global
        .offset:         40
        .size:           8
        .value_kind:     global_buffer
      - .address_space:  global
        .offset:         48
        .size:           8
        .value_kind:     global_buffer
      - .offset:         56
        .size:           4
        .value_kind:     by_value
      - .offset:         60
        .size:           4
        .value_kind:     by_value
      - .offset:         64
        .size:           4
        .value_kind:     hidden_block_count_x
      - .offset:         68
        .size:           4
        .value_kind:     hidden_block_count_y
      - .offset:         72
        .size:           4
        .value_kind:     hidden_block_count_z
      - .offset:         76
        .size:           2
        .value_kind:     hidden_group_size_x
      - .offset:         78
        .size:           2
        .value_kind:     hidden_group_size_y
      - .offset:         80
        .size:           2
        .value_kind:     hidden_group_size_z
      - .offset:         82
        .size:           2
        .value_kind:     hidden_remainder_x
      - .offset:         84
        .size:           2
        .value_kind:     hidden_remainder_y
      - .offset:         86
        .size:           2
        .value_kind:     hidden_remainder_z
      - .offset:         104
        .size:           8
        .value_kind:     hidden_global_offset_x
      - .offset:         112
        .size:           8
        .value_kind:     hidden_global_offset_y
      - .offset:         120
        .size:           8
        .value_kind:     hidden_global_offset_z
      - .offset:         128
        .size:           2
        .value_kind:     hidden_grid_dims
      - .offset:         184
        .size:           4
        .value_kind:     hidden_dynamic_lds_size
    .group_segment_fixed_size: 0
    .kernarg_segment_align: 8
    .kernarg_segment_size: 320
    .language:       OpenCL C
    .language_version:
      - 2
      - 0
    .max_flat_workgroup_size: 1024
    .name:           _ZN12tensorrt_llm7kernels32fusedQKNormRopeKernelNTokenHeadsIN3c104HalfES3_Li256ELb1ELi2EEEvPviiifPKvS6_S6_PKlii
    .private_segment_fixed_size: 0
    .sgpr_count:     28
    .sgpr_spill_count: 0
    .symbol:         _ZN12tensorrt_llm7kernels32fusedQKNormRopeKernelNTokenHeadsIN3c104HalfES3_Li256ELb1ELi2EEEvPviiifPKvS6_S6_PKlii.kd
    .uniform_work_group_size: 1
    .uses_dynamic_stack: false
    .vgpr_count:     52
    .vgpr_spill_count: 0
    .wavefront_size: 64
  - .agpr_count:     0
    .args:
      - .address_space:  global
        .offset:         0
        .size:           8
        .value_kind:     global_buffer
      - .offset:         8
        .size:           4
        .value_kind:     by_value
      - .offset:         12
        .size:           4
        .value_kind:     by_value
      - .offset:         16
        .size:           4
        .value_kind:     by_value
      - .offset:         20
        .size:           4
        .value_kind:     by_value
      - .address_space:  global
        .offset:         24
        .size:           8
        .value_kind:     global_buffer
      - .address_space:  global
        .offset:         32
        .size:           8
        .value_kind:     global_buffer
      - .address_space:  global
        .offset:         40
        .size:           8
        .value_kind:     global_buffer
      - .address_space:  global
        .offset:         48
        .size:           8
        .value_kind:     global_buffer
      - .offset:         56
        .size:           4
        .value_kind:     by_value
      - .offset:         60
        .size:           4
        .value_kind:     by_value
      - .offset:         64
        .size:           4
        .value_kind:     hidden_block_count_x
      - .offset:         68
        .size:           4
        .value_kind:     hidden_block_count_y
      - .offset:         72
        .size:           4
        .value_kind:     hidden_block_count_z
      - .offset:         76
        .size:           2
        .value_kind:     hidden_group_size_x
      - .offset:         78
        .size:           2
        .value_kind:     hidden_group_size_y
      - .offset:         80
        .size:           2
        .value_kind:     hidden_group_size_z
      - .offset:         82
        .size:           2
        .value_kind:     hidden_remainder_x
      - .offset:         84
        .size:           2
        .value_kind:     hidden_remainder_y
      - .offset:         86
        .size:           2
        .value_kind:     hidden_remainder_z
      - .offset:         104
        .size:           8
        .value_kind:     hidden_global_offset_x
      - .offset:         112
        .size:           8
        .value_kind:     hidden_global_offset_y
      - .offset:         120
        .size:           8
        .value_kind:     hidden_global_offset_z
      - .offset:         128
        .size:           2
        .value_kind:     hidden_grid_dims
      - .offset:         184
        .size:           4
        .value_kind:     hidden_dynamic_lds_size
    .group_segment_fixed_size: 0
    .kernarg_segment_align: 8
    .kernarg_segment_size: 320
    .language:       OpenCL C
    .language_version:
      - 2
      - 0
    .max_flat_workgroup_size: 1024
    .name:           _ZN12tensorrt_llm7kernels32fusedQKNormRopeKernelNTokenHeadsIN3c104HalfES3_Li256ELb0ELi2EEEvPviiifPKvS6_S6_PKlii
    .private_segment_fixed_size: 0
    .sgpr_count:     28
    .sgpr_spill_count: 0
    .symbol:         _ZN12tensorrt_llm7kernels32fusedQKNormRopeKernelNTokenHeadsIN3c104HalfES3_Li256ELb0ELi2EEEvPviiifPKvS6_S6_PKlii.kd
    .uniform_work_group_size: 1
    .uses_dynamic_stack: false
    .vgpr_count:     61
    .vgpr_spill_count: 0
    .wavefront_size: 64
  - .agpr_count:     0
    .args:
      - .address_space:  global
        .offset:         0
        .size:           8
        .value_kind:     global_buffer
      - .offset:         8
        .size:           4
        .value_kind:     by_value
      - .offset:         12
        .size:           4
        .value_kind:     by_value
      - .offset:         16
        .size:           4
        .value_kind:     by_value
      - .offset:         20
        .size:           4
        .value_kind:     by_value
      - .address_space:  global
        .offset:         24
        .size:           8
        .value_kind:     global_buffer
      - .address_space:  global
        .offset:         32
        .size:           8
        .value_kind:     global_buffer
      - .address_space:  global
        .offset:         40
        .size:           8
        .value_kind:     global_buffer
      - .address_space:  global
        .offset:         48
        .size:           8
        .value_kind:     global_buffer
      - .offset:         56
        .size:           4
        .value_kind:     by_value
      - .offset:         60
        .size:           4
        .value_kind:     by_value
      - .offset:         64
        .size:           4
        .value_kind:     hidden_block_count_x
      - .offset:         68
        .size:           4
        .value_kind:     hidden_block_count_y
      - .offset:         72
        .size:           4
        .value_kind:     hidden_block_count_z
      - .offset:         76
        .size:           2
        .value_kind:     hidden_group_size_x
      - .offset:         78
        .size:           2
        .value_kind:     hidden_group_size_y
      - .offset:         80
        .size:           2
        .value_kind:     hidden_group_size_z
      - .offset:         82
        .size:           2
        .value_kind:     hidden_remainder_x
      - .offset:         84
        .size:           2
        .value_kind:     hidden_remainder_y
      - .offset:         86
        .size:           2
        .value_kind:     hidden_remainder_z
      - .offset:         104
        .size:           8
        .value_kind:     hidden_global_offset_x
      - .offset:         112
        .size:           8
        .value_kind:     hidden_global_offset_y
      - .offset:         120
        .size:           8
        .value_kind:     hidden_global_offset_z
      - .offset:         128
        .size:           2
        .value_kind:     hidden_grid_dims
      - .offset:         184
        .size:           4
        .value_kind:     hidden_dynamic_lds_size
    .group_segment_fixed_size: 0
    .kernarg_segment_align: 8
    .kernarg_segment_size: 320
    .language:       OpenCL C
    .language_version:
      - 2
      - 0
    .max_flat_workgroup_size: 1024
    .name:           _ZN12tensorrt_llm7kernels32fusedQKNormRopeKernelNTokenHeadsIN3c104HalfES3_Li64ELb1ELi4EEEvPviiifPKvS6_S6_PKlii
    .private_segment_fixed_size: 0
    .sgpr_count:     28
    .sgpr_spill_count: 0
    .symbol:         _ZN12tensorrt_llm7kernels32fusedQKNormRopeKernelNTokenHeadsIN3c104HalfES3_Li64ELb1ELi4EEEvPviiifPKvS6_S6_PKlii.kd
    .uniform_work_group_size: 1
    .uses_dynamic_stack: false
    .vgpr_count:     25
    .vgpr_spill_count: 0
    .wavefront_size: 64
  - .agpr_count:     0
    .args:
      - .address_space:  global
        .offset:         0
        .size:           8
        .value_kind:     global_buffer
      - .offset:         8
        .size:           4
        .value_kind:     by_value
      - .offset:         12
        .size:           4
        .value_kind:     by_value
      - .offset:         16
        .size:           4
        .value_kind:     by_value
      - .offset:         20
        .size:           4
        .value_kind:     by_value
      - .address_space:  global
        .offset:         24
        .size:           8
        .value_kind:     global_buffer
      - .address_space:  global
        .offset:         32
        .size:           8
        .value_kind:     global_buffer
      - .address_space:  global
        .offset:         40
        .size:           8
        .value_kind:     global_buffer
      - .address_space:  global
        .offset:         48
        .size:           8
        .value_kind:     global_buffer
      - .offset:         56
        .size:           4
        .value_kind:     by_value
      - .offset:         60
        .size:           4
        .value_kind:     by_value
      - .offset:         64
        .size:           4
        .value_kind:     hidden_block_count_x
      - .offset:         68
        .size:           4
        .value_kind:     hidden_block_count_y
      - .offset:         72
        .size:           4
        .value_kind:     hidden_block_count_z
      - .offset:         76
        .size:           2
        .value_kind:     hidden_group_size_x
      - .offset:         78
        .size:           2
        .value_kind:     hidden_group_size_y
      - .offset:         80
        .size:           2
        .value_kind:     hidden_group_size_z
      - .offset:         82
        .size:           2
        .value_kind:     hidden_remainder_x
      - .offset:         84
        .size:           2
        .value_kind:     hidden_remainder_y
      - .offset:         86
        .size:           2
        .value_kind:     hidden_remainder_z
      - .offset:         104
        .size:           8
        .value_kind:     hidden_global_offset_x
      - .offset:         112
        .size:           8
        .value_kind:     hidden_global_offset_y
      - .offset:         120
        .size:           8
        .value_kind:     hidden_global_offset_z
      - .offset:         128
        .size:           2
        .value_kind:     hidden_grid_dims
      - .offset:         184
        .size:           4
        .value_kind:     hidden_dynamic_lds_size
    .group_segment_fixed_size: 0
    .kernarg_segment_align: 8
    .kernarg_segment_size: 320
    .language:       OpenCL C
    .language_version:
      - 2
      - 0
    .max_flat_workgroup_size: 1024
    .name:           _ZN12tensorrt_llm7kernels32fusedQKNormRopeKernelNTokenHeadsIN3c104HalfES3_Li64ELb0ELi4EEEvPviiifPKvS6_S6_PKlii
    .private_segment_fixed_size: 0
    .sgpr_count:     28
    .sgpr_spill_count: 0
    .symbol:         _ZN12tensorrt_llm7kernels32fusedQKNormRopeKernelNTokenHeadsIN3c104HalfES3_Li64ELb0ELi4EEEvPviiifPKvS6_S6_PKlii.kd
    .uniform_work_group_size: 1
    .uses_dynamic_stack: false
    .vgpr_count:     28
    .vgpr_spill_count: 0
    .wavefront_size: 64
  - .agpr_count:     0
    .args:
      - .address_space:  global
        .offset:         0
        .size:           8
        .value_kind:     global_buffer
      - .offset:         8
        .size:           4
        .value_kind:     by_value
      - .offset:         12
        .size:           4
        .value_kind:     by_value
      - .offset:         16
        .size:           4
        .value_kind:     by_value
      - .offset:         20
        .size:           4
        .value_kind:     by_value
      - .address_space:  global
        .offset:         24
        .size:           8
        .value_kind:     global_buffer
      - .address_space:  global
        .offset:         32
        .size:           8
        .value_kind:     global_buffer
      - .address_space:  global
        .offset:         40
        .size:           8
        .value_kind:     global_buffer
      - .address_space:  global
        .offset:         48
        .size:           8
        .value_kind:     global_buffer
      - .offset:         56
        .size:           4
        .value_kind:     by_value
      - .offset:         60
        .size:           4
        .value_kind:     by_value
      - .offset:         64
        .size:           4
        .value_kind:     hidden_block_count_x
      - .offset:         68
        .size:           4
        .value_kind:     hidden_block_count_y
      - .offset:         72
        .size:           4
        .value_kind:     hidden_block_count_z
      - .offset:         76
        .size:           2
        .value_kind:     hidden_group_size_x
      - .offset:         78
        .size:           2
        .value_kind:     hidden_group_size_y
      - .offset:         80
        .size:           2
        .value_kind:     hidden_group_size_z
      - .offset:         82
        .size:           2
        .value_kind:     hidden_remainder_x
      - .offset:         84
        .size:           2
        .value_kind:     hidden_remainder_y
      - .offset:         86
        .size:           2
        .value_kind:     hidden_remainder_z
      - .offset:         104
        .size:           8
        .value_kind:     hidden_global_offset_x
      - .offset:         112
        .size:           8
        .value_kind:     hidden_global_offset_y
      - .offset:         120
        .size:           8
        .value_kind:     hidden_global_offset_z
      - .offset:         128
        .size:           2
        .value_kind:     hidden_grid_dims
      - .offset:         184
        .size:           4
        .value_kind:     hidden_dynamic_lds_size
    .group_segment_fixed_size: 0
    .kernarg_segment_align: 8
    .kernarg_segment_size: 320
    .language:       OpenCL C
    .language_version:
      - 2
      - 0
    .max_flat_workgroup_size: 1024
    .name:           _ZN12tensorrt_llm7kernels32fusedQKNormRopeKernelNTokenHeadsIN3c104HalfES3_Li128ELb1ELi4EEEvPviiifPKvS6_S6_PKlii
    .private_segment_fixed_size: 0
    .sgpr_count:     28
    .sgpr_spill_count: 0
    .symbol:         _ZN12tensorrt_llm7kernels32fusedQKNormRopeKernelNTokenHeadsIN3c104HalfES3_Li128ELb1ELi4EEEvPviiifPKvS6_S6_PKlii.kd
    .uniform_work_group_size: 1
    .uses_dynamic_stack: false
    .vgpr_count:     36
    .vgpr_spill_count: 0
    .wavefront_size: 64
  - .agpr_count:     0
    .args:
      - .address_space:  global
        .offset:         0
        .size:           8
        .value_kind:     global_buffer
      - .offset:         8
        .size:           4
        .value_kind:     by_value
      - .offset:         12
        .size:           4
        .value_kind:     by_value
      - .offset:         16
        .size:           4
        .value_kind:     by_value
      - .offset:         20
        .size:           4
        .value_kind:     by_value
      - .address_space:  global
        .offset:         24
        .size:           8
        .value_kind:     global_buffer
      - .address_space:  global
        .offset:         32
        .size:           8
        .value_kind:     global_buffer
      - .address_space:  global
        .offset:         40
        .size:           8
        .value_kind:     global_buffer
      - .address_space:  global
        .offset:         48
        .size:           8
        .value_kind:     global_buffer
      - .offset:         56
        .size:           4
        .value_kind:     by_value
      - .offset:         60
        .size:           4
        .value_kind:     by_value
      - .offset:         64
        .size:           4
        .value_kind:     hidden_block_count_x
      - .offset:         68
        .size:           4
        .value_kind:     hidden_block_count_y
      - .offset:         72
        .size:           4
        .value_kind:     hidden_block_count_z
      - .offset:         76
        .size:           2
        .value_kind:     hidden_group_size_x
      - .offset:         78
        .size:           2
        .value_kind:     hidden_group_size_y
      - .offset:         80
        .size:           2
        .value_kind:     hidden_group_size_z
      - .offset:         82
        .size:           2
        .value_kind:     hidden_remainder_x
      - .offset:         84
        .size:           2
        .value_kind:     hidden_remainder_y
      - .offset:         86
        .size:           2
        .value_kind:     hidden_remainder_z
      - .offset:         104
        .size:           8
        .value_kind:     hidden_global_offset_x
      - .offset:         112
        .size:           8
        .value_kind:     hidden_global_offset_y
      - .offset:         120
        .size:           8
        .value_kind:     hidden_global_offset_z
      - .offset:         128
        .size:           2
        .value_kind:     hidden_grid_dims
      - .offset:         184
        .size:           4
        .value_kind:     hidden_dynamic_lds_size
    .group_segment_fixed_size: 0
    .kernarg_segment_align: 8
    .kernarg_segment_size: 320
    .language:       OpenCL C
    .language_version:
      - 2
      - 0
    .max_flat_workgroup_size: 1024
    .name:           _ZN12tensorrt_llm7kernels32fusedQKNormRopeKernelNTokenHeadsIN3c104HalfES3_Li128ELb0ELi4EEEvPviiifPKvS6_S6_PKlii
    .private_segment_fixed_size: 0
    .sgpr_count:     28
    .sgpr_spill_count: 0
    .symbol:         _ZN12tensorrt_llm7kernels32fusedQKNormRopeKernelNTokenHeadsIN3c104HalfES3_Li128ELb0ELi4EEEvPviiifPKvS6_S6_PKlii.kd
    .uniform_work_group_size: 1
    .uses_dynamic_stack: false
    .vgpr_count:     41
    .vgpr_spill_count: 0
    .wavefront_size: 64
  - .agpr_count:     0
    .args:
      - .address_space:  global
        .offset:         0
        .size:           8
        .value_kind:     global_buffer
      - .offset:         8
        .size:           4
        .value_kind:     by_value
      - .offset:         12
        .size:           4
        .value_kind:     by_value
      - .offset:         16
        .size:           4
        .value_kind:     by_value
      - .offset:         20
        .size:           4
        .value_kind:     by_value
      - .address_space:  global
        .offset:         24
        .size:           8
        .value_kind:     global_buffer
      - .address_space:  global
        .offset:         32
        .size:           8
        .value_kind:     global_buffer
      - .address_space:  global
        .offset:         40
        .size:           8
        .value_kind:     global_buffer
      - .address_space:  global
        .offset:         48
        .size:           8
        .value_kind:     global_buffer
      - .offset:         56
        .size:           4
        .value_kind:     by_value
      - .offset:         60
        .size:           4
        .value_kind:     by_value
      - .offset:         64
        .size:           4
        .value_kind:     hidden_block_count_x
      - .offset:         68
        .size:           4
        .value_kind:     hidden_block_count_y
      - .offset:         72
        .size:           4
        .value_kind:     hidden_block_count_z
      - .offset:         76
        .size:           2
        .value_kind:     hidden_group_size_x
      - .offset:         78
        .size:           2
        .value_kind:     hidden_group_size_y
      - .offset:         80
        .size:           2
        .value_kind:     hidden_group_size_z
      - .offset:         82
        .size:           2
        .value_kind:     hidden_remainder_x
      - .offset:         84
        .size:           2
        .value_kind:     hidden_remainder_y
      - .offset:         86
        .size:           2
        .value_kind:     hidden_remainder_z
      - .offset:         104
        .size:           8
        .value_kind:     hidden_global_offset_x
      - .offset:         112
        .size:           8
        .value_kind:     hidden_global_offset_y
      - .offset:         120
        .size:           8
        .value_kind:     hidden_global_offset_z
      - .offset:         128
        .size:           2
        .value_kind:     hidden_grid_dims
      - .offset:         184
        .size:           4
        .value_kind:     hidden_dynamic_lds_size
    .group_segment_fixed_size: 0
    .kernarg_segment_align: 8
    .kernarg_segment_size: 320
    .language:       OpenCL C
    .language_version:
      - 2
      - 0
    .max_flat_workgroup_size: 1024
    .name:           _ZN12tensorrt_llm7kernels32fusedQKNormRopeKernelNTokenHeadsIN3c104HalfES3_Li256ELb1ELi4EEEvPviiifPKvS6_S6_PKlii
    .private_segment_fixed_size: 0
    .sgpr_count:     28
    .sgpr_spill_count: 0
    .symbol:         _ZN12tensorrt_llm7kernels32fusedQKNormRopeKernelNTokenHeadsIN3c104HalfES3_Li256ELb1ELi4EEEvPviiifPKvS6_S6_PKlii.kd
    .uniform_work_group_size: 1
    .uses_dynamic_stack: false
    .vgpr_count:     52
    .vgpr_spill_count: 0
    .wavefront_size: 64
  - .agpr_count:     0
    .args:
      - .address_space:  global
        .offset:         0
        .size:           8
        .value_kind:     global_buffer
      - .offset:         8
        .size:           4
        .value_kind:     by_value
      - .offset:         12
        .size:           4
        .value_kind:     by_value
      - .offset:         16
        .size:           4
        .value_kind:     by_value
      - .offset:         20
        .size:           4
        .value_kind:     by_value
      - .address_space:  global
        .offset:         24
        .size:           8
        .value_kind:     global_buffer
      - .address_space:  global
        .offset:         32
        .size:           8
        .value_kind:     global_buffer
      - .address_space:  global
        .offset:         40
        .size:           8
        .value_kind:     global_buffer
      - .address_space:  global
        .offset:         48
        .size:           8
        .value_kind:     global_buffer
      - .offset:         56
        .size:           4
        .value_kind:     by_value
      - .offset:         60
        .size:           4
        .value_kind:     by_value
      - .offset:         64
        .size:           4
        .value_kind:     hidden_block_count_x
      - .offset:         68
        .size:           4
        .value_kind:     hidden_block_count_y
      - .offset:         72
        .size:           4
        .value_kind:     hidden_block_count_z
      - .offset:         76
        .size:           2
        .value_kind:     hidden_group_size_x
      - .offset:         78
        .size:           2
        .value_kind:     hidden_group_size_y
      - .offset:         80
        .size:           2
        .value_kind:     hidden_group_size_z
      - .offset:         82
        .size:           2
        .value_kind:     hidden_remainder_x
      - .offset:         84
        .size:           2
        .value_kind:     hidden_remainder_y
      - .offset:         86
        .size:           2
        .value_kind:     hidden_remainder_z
      - .offset:         104
        .size:           8
        .value_kind:     hidden_global_offset_x
      - .offset:         112
        .size:           8
        .value_kind:     hidden_global_offset_y
      - .offset:         120
        .size:           8
        .value_kind:     hidden_global_offset_z
      - .offset:         128
        .size:           2
        .value_kind:     hidden_grid_dims
      - .offset:         184
        .size:           4
        .value_kind:     hidden_dynamic_lds_size
    .group_segment_fixed_size: 0
    .kernarg_segment_align: 8
    .kernarg_segment_size: 320
    .language:       OpenCL C
    .language_version:
      - 2
      - 0
    .max_flat_workgroup_size: 1024
    .name:           _ZN12tensorrt_llm7kernels32fusedQKNormRopeKernelNTokenHeadsIN3c104HalfES3_Li256ELb0ELi4EEEvPviiifPKvS6_S6_PKlii
    .private_segment_fixed_size: 0
    .sgpr_count:     28
    .sgpr_spill_count: 0
    .symbol:         _ZN12tensorrt_llm7kernels32fusedQKNormRopeKernelNTokenHeadsIN3c104HalfES3_Li256ELb0ELi4EEEvPviiifPKvS6_S6_PKlii.kd
    .uniform_work_group_size: 1
    .uses_dynamic_stack: false
    .vgpr_count:     61
    .vgpr_spill_count: 0
    .wavefront_size: 64
  - .agpr_count:     0
    .args:
      - .address_space:  global
        .offset:         0
        .size:           8
        .value_kind:     global_buffer
      - .offset:         8
        .size:           4
        .value_kind:     by_value
      - .offset:         12
        .size:           4
        .value_kind:     by_value
      - .offset:         16
        .size:           4
        .value_kind:     by_value
      - .offset:         20
        .size:           4
        .value_kind:     by_value
      - .address_space:  global
        .offset:         24
        .size:           8
        .value_kind:     global_buffer
      - .address_space:  global
        .offset:         32
        .size:           8
        .value_kind:     global_buffer
      - .address_space:  global
        .offset:         40
        .size:           8
        .value_kind:     global_buffer
      - .address_space:  global
        .offset:         48
        .size:           8
        .value_kind:     global_buffer
      - .offset:         56
        .size:           4
        .value_kind:     by_value
      - .offset:         60
        .size:           4
        .value_kind:     by_value
      - .offset:         64
        .size:           4
        .value_kind:     hidden_block_count_x
      - .offset:         68
        .size:           4
        .value_kind:     hidden_block_count_y
      - .offset:         72
        .size:           4
        .value_kind:     hidden_block_count_z
      - .offset:         76
        .size:           2
        .value_kind:     hidden_group_size_x
      - .offset:         78
        .size:           2
        .value_kind:     hidden_group_size_y
      - .offset:         80
        .size:           2
        .value_kind:     hidden_group_size_z
      - .offset:         82
        .size:           2
        .value_kind:     hidden_remainder_x
      - .offset:         84
        .size:           2
        .value_kind:     hidden_remainder_y
      - .offset:         86
        .size:           2
        .value_kind:     hidden_remainder_z
      - .offset:         104
        .size:           8
        .value_kind:     hidden_global_offset_x
      - .offset:         112
        .size:           8
        .value_kind:     hidden_global_offset_y
      - .offset:         120
        .size:           8
        .value_kind:     hidden_global_offset_z
      - .offset:         128
        .size:           2
        .value_kind:     hidden_grid_dims
      - .offset:         184
        .size:           4
        .value_kind:     hidden_dynamic_lds_size
    .group_segment_fixed_size: 0
    .kernarg_segment_align: 8
    .kernarg_segment_size: 320
    .language:       OpenCL C
    .language_version:
      - 2
      - 0
    .max_flat_workgroup_size: 1024
    .name:           _ZN12tensorrt_llm7kernels32fusedQKNormRopeKernelNTokenHeadsIN3c104HalfES3_Li64ELb1ELi8EEEvPviiifPKvS6_S6_PKlii
    .private_segment_fixed_size: 0
    .sgpr_count:     28
    .sgpr_spill_count: 0
    .symbol:         _ZN12tensorrt_llm7kernels32fusedQKNormRopeKernelNTokenHeadsIN3c104HalfES3_Li64ELb1ELi8EEEvPviiifPKvS6_S6_PKlii.kd
    .uniform_work_group_size: 1
    .uses_dynamic_stack: false
    .vgpr_count:     25
    .vgpr_spill_count: 0
    .wavefront_size: 64
  - .agpr_count:     0
    .args:
      - .address_space:  global
        .offset:         0
        .size:           8
        .value_kind:     global_buffer
      - .offset:         8
        .size:           4
        .value_kind:     by_value
      - .offset:         12
        .size:           4
        .value_kind:     by_value
      - .offset:         16
        .size:           4
        .value_kind:     by_value
      - .offset:         20
        .size:           4
        .value_kind:     by_value
      - .address_space:  global
        .offset:         24
        .size:           8
        .value_kind:     global_buffer
      - .address_space:  global
        .offset:         32
        .size:           8
        .value_kind:     global_buffer
      - .address_space:  global
        .offset:         40
        .size:           8
        .value_kind:     global_buffer
      - .address_space:  global
        .offset:         48
        .size:           8
        .value_kind:     global_buffer
      - .offset:         56
        .size:           4
        .value_kind:     by_value
      - .offset:         60
        .size:           4
        .value_kind:     by_value
      - .offset:         64
        .size:           4
        .value_kind:     hidden_block_count_x
      - .offset:         68
        .size:           4
        .value_kind:     hidden_block_count_y
      - .offset:         72
        .size:           4
        .value_kind:     hidden_block_count_z
      - .offset:         76
        .size:           2
        .value_kind:     hidden_group_size_x
      - .offset:         78
        .size:           2
        .value_kind:     hidden_group_size_y
      - .offset:         80
        .size:           2
        .value_kind:     hidden_group_size_z
      - .offset:         82
        .size:           2
        .value_kind:     hidden_remainder_x
      - .offset:         84
        .size:           2
        .value_kind:     hidden_remainder_y
      - .offset:         86
        .size:           2
        .value_kind:     hidden_remainder_z
      - .offset:         104
        .size:           8
        .value_kind:     hidden_global_offset_x
      - .offset:         112
        .size:           8
        .value_kind:     hidden_global_offset_y
      - .offset:         120
        .size:           8
        .value_kind:     hidden_global_offset_z
      - .offset:         128
        .size:           2
        .value_kind:     hidden_grid_dims
      - .offset:         184
        .size:           4
        .value_kind:     hidden_dynamic_lds_size
    .group_segment_fixed_size: 0
    .kernarg_segment_align: 8
    .kernarg_segment_size: 320
    .language:       OpenCL C
    .language_version:
      - 2
      - 0
    .max_flat_workgroup_size: 1024
    .name:           _ZN12tensorrt_llm7kernels32fusedQKNormRopeKernelNTokenHeadsIN3c104HalfES3_Li64ELb0ELi8EEEvPviiifPKvS6_S6_PKlii
    .private_segment_fixed_size: 0
    .sgpr_count:     28
    .sgpr_spill_count: 0
    .symbol:         _ZN12tensorrt_llm7kernels32fusedQKNormRopeKernelNTokenHeadsIN3c104HalfES3_Li64ELb0ELi8EEEvPviiifPKvS6_S6_PKlii.kd
    .uniform_work_group_size: 1
    .uses_dynamic_stack: false
    .vgpr_count:     28
    .vgpr_spill_count: 0
    .wavefront_size: 64
  - .agpr_count:     0
    .args:
      - .address_space:  global
        .offset:         0
        .size:           8
        .value_kind:     global_buffer
      - .offset:         8
        .size:           4
        .value_kind:     by_value
      - .offset:         12
        .size:           4
        .value_kind:     by_value
      - .offset:         16
        .size:           4
        .value_kind:     by_value
      - .offset:         20
        .size:           4
        .value_kind:     by_value
      - .address_space:  global
        .offset:         24
        .size:           8
        .value_kind:     global_buffer
      - .address_space:  global
        .offset:         32
        .size:           8
        .value_kind:     global_buffer
      - .address_space:  global
        .offset:         40
        .size:           8
        .value_kind:     global_buffer
      - .address_space:  global
        .offset:         48
        .size:           8
        .value_kind:     global_buffer
      - .offset:         56
        .size:           4
        .value_kind:     by_value
      - .offset:         60
        .size:           4
        .value_kind:     by_value
      - .offset:         64
        .size:           4
        .value_kind:     hidden_block_count_x
      - .offset:         68
        .size:           4
        .value_kind:     hidden_block_count_y
      - .offset:         72
        .size:           4
        .value_kind:     hidden_block_count_z
      - .offset:         76
        .size:           2
        .value_kind:     hidden_group_size_x
      - .offset:         78
        .size:           2
        .value_kind:     hidden_group_size_y
      - .offset:         80
        .size:           2
        .value_kind:     hidden_group_size_z
      - .offset:         82
        .size:           2
        .value_kind:     hidden_remainder_x
      - .offset:         84
        .size:           2
        .value_kind:     hidden_remainder_y
      - .offset:         86
        .size:           2
        .value_kind:     hidden_remainder_z
      - .offset:         104
        .size:           8
        .value_kind:     hidden_global_offset_x
      - .offset:         112
        .size:           8
        .value_kind:     hidden_global_offset_y
      - .offset:         120
        .size:           8
        .value_kind:     hidden_global_offset_z
      - .offset:         128
        .size:           2
        .value_kind:     hidden_grid_dims
      - .offset:         184
        .size:           4
        .value_kind:     hidden_dynamic_lds_size
    .group_segment_fixed_size: 0
    .kernarg_segment_align: 8
    .kernarg_segment_size: 320
    .language:       OpenCL C
    .language_version:
      - 2
      - 0
    .max_flat_workgroup_size: 1024
    .name:           _ZN12tensorrt_llm7kernels32fusedQKNormRopeKernelNTokenHeadsIN3c104HalfES3_Li128ELb1ELi8EEEvPviiifPKvS6_S6_PKlii
    .private_segment_fixed_size: 0
    .sgpr_count:     28
    .sgpr_spill_count: 0
    .symbol:         _ZN12tensorrt_llm7kernels32fusedQKNormRopeKernelNTokenHeadsIN3c104HalfES3_Li128ELb1ELi8EEEvPviiifPKvS6_S6_PKlii.kd
    .uniform_work_group_size: 1
    .uses_dynamic_stack: false
    .vgpr_count:     36
    .vgpr_spill_count: 0
    .wavefront_size: 64
  - .agpr_count:     0
    .args:
      - .address_space:  global
        .offset:         0
        .size:           8
        .value_kind:     global_buffer
      - .offset:         8
        .size:           4
        .value_kind:     by_value
      - .offset:         12
        .size:           4
        .value_kind:     by_value
      - .offset:         16
        .size:           4
        .value_kind:     by_value
      - .offset:         20
        .size:           4
        .value_kind:     by_value
      - .address_space:  global
        .offset:         24
        .size:           8
        .value_kind:     global_buffer
      - .address_space:  global
        .offset:         32
        .size:           8
        .value_kind:     global_buffer
      - .address_space:  global
        .offset:         40
        .size:           8
        .value_kind:     global_buffer
      - .address_space:  global
        .offset:         48
        .size:           8
        .value_kind:     global_buffer
      - .offset:         56
        .size:           4
        .value_kind:     by_value
      - .offset:         60
        .size:           4
        .value_kind:     by_value
      - .offset:         64
        .size:           4
        .value_kind:     hidden_block_count_x
      - .offset:         68
        .size:           4
        .value_kind:     hidden_block_count_y
      - .offset:         72
        .size:           4
        .value_kind:     hidden_block_count_z
      - .offset:         76
        .size:           2
        .value_kind:     hidden_group_size_x
      - .offset:         78
        .size:           2
        .value_kind:     hidden_group_size_y
      - .offset:         80
        .size:           2
        .value_kind:     hidden_group_size_z
      - .offset:         82
        .size:           2
        .value_kind:     hidden_remainder_x
      - .offset:         84
        .size:           2
        .value_kind:     hidden_remainder_y
      - .offset:         86
        .size:           2
        .value_kind:     hidden_remainder_z
      - .offset:         104
        .size:           8
        .value_kind:     hidden_global_offset_x
      - .offset:         112
        .size:           8
        .value_kind:     hidden_global_offset_y
      - .offset:         120
        .size:           8
        .value_kind:     hidden_global_offset_z
      - .offset:         128
        .size:           2
        .value_kind:     hidden_grid_dims
      - .offset:         184
        .size:           4
        .value_kind:     hidden_dynamic_lds_size
    .group_segment_fixed_size: 0
    .kernarg_segment_align: 8
    .kernarg_segment_size: 320
    .language:       OpenCL C
    .language_version:
      - 2
      - 0
    .max_flat_workgroup_size: 1024
    .name:           _ZN12tensorrt_llm7kernels32fusedQKNormRopeKernelNTokenHeadsIN3c104HalfES3_Li128ELb0ELi8EEEvPviiifPKvS6_S6_PKlii
    .private_segment_fixed_size: 0
    .sgpr_count:     28
    .sgpr_spill_count: 0
    .symbol:         _ZN12tensorrt_llm7kernels32fusedQKNormRopeKernelNTokenHeadsIN3c104HalfES3_Li128ELb0ELi8EEEvPviiifPKvS6_S6_PKlii.kd
    .uniform_work_group_size: 1
    .uses_dynamic_stack: false
    .vgpr_count:     41
    .vgpr_spill_count: 0
    .wavefront_size: 64
  - .agpr_count:     0
    .args:
      - .address_space:  global
        .offset:         0
        .size:           8
        .value_kind:     global_buffer
      - .offset:         8
        .size:           4
        .value_kind:     by_value
      - .offset:         12
        .size:           4
        .value_kind:     by_value
      - .offset:         16
        .size:           4
        .value_kind:     by_value
      - .offset:         20
        .size:           4
        .value_kind:     by_value
      - .address_space:  global
        .offset:         24
        .size:           8
        .value_kind:     global_buffer
      - .address_space:  global
        .offset:         32
        .size:           8
        .value_kind:     global_buffer
      - .address_space:  global
        .offset:         40
        .size:           8
        .value_kind:     global_buffer
      - .address_space:  global
        .offset:         48
        .size:           8
        .value_kind:     global_buffer
      - .offset:         56
        .size:           4
        .value_kind:     by_value
      - .offset:         60
        .size:           4
        .value_kind:     by_value
      - .offset:         64
        .size:           4
        .value_kind:     hidden_block_count_x
      - .offset:         68
        .size:           4
        .value_kind:     hidden_block_count_y
      - .offset:         72
        .size:           4
        .value_kind:     hidden_block_count_z
      - .offset:         76
        .size:           2
        .value_kind:     hidden_group_size_x
      - .offset:         78
        .size:           2
        .value_kind:     hidden_group_size_y
      - .offset:         80
        .size:           2
        .value_kind:     hidden_group_size_z
      - .offset:         82
        .size:           2
        .value_kind:     hidden_remainder_x
      - .offset:         84
        .size:           2
        .value_kind:     hidden_remainder_y
      - .offset:         86
        .size:           2
        .value_kind:     hidden_remainder_z
      - .offset:         104
        .size:           8
        .value_kind:     hidden_global_offset_x
      - .offset:         112
        .size:           8
        .value_kind:     hidden_global_offset_y
      - .offset:         120
        .size:           8
        .value_kind:     hidden_global_offset_z
      - .offset:         128
        .size:           2
        .value_kind:     hidden_grid_dims
      - .offset:         184
        .size:           4
        .value_kind:     hidden_dynamic_lds_size
    .group_segment_fixed_size: 0
    .kernarg_segment_align: 8
    .kernarg_segment_size: 320
    .language:       OpenCL C
    .language_version:
      - 2
      - 0
    .max_flat_workgroup_size: 1024
    .name:           _ZN12tensorrt_llm7kernels32fusedQKNormRopeKernelNTokenHeadsIN3c104HalfES3_Li256ELb1ELi8EEEvPviiifPKvS6_S6_PKlii
    .private_segment_fixed_size: 0
    .sgpr_count:     28
    .sgpr_spill_count: 0
    .symbol:         _ZN12tensorrt_llm7kernels32fusedQKNormRopeKernelNTokenHeadsIN3c104HalfES3_Li256ELb1ELi8EEEvPviiifPKvS6_S6_PKlii.kd
    .uniform_work_group_size: 1
    .uses_dynamic_stack: false
    .vgpr_count:     52
    .vgpr_spill_count: 0
    .wavefront_size: 64
  - .agpr_count:     0
    .args:
      - .address_space:  global
        .offset:         0
        .size:           8
        .value_kind:     global_buffer
      - .offset:         8
        .size:           4
        .value_kind:     by_value
      - .offset:         12
        .size:           4
        .value_kind:     by_value
      - .offset:         16
        .size:           4
        .value_kind:     by_value
      - .offset:         20
        .size:           4
        .value_kind:     by_value
      - .address_space:  global
        .offset:         24
        .size:           8
        .value_kind:     global_buffer
      - .address_space:  global
        .offset:         32
        .size:           8
        .value_kind:     global_buffer
      - .address_space:  global
        .offset:         40
        .size:           8
        .value_kind:     global_buffer
      - .address_space:  global
        .offset:         48
        .size:           8
        .value_kind:     global_buffer
      - .offset:         56
        .size:           4
        .value_kind:     by_value
      - .offset:         60
        .size:           4
        .value_kind:     by_value
      - .offset:         64
        .size:           4
        .value_kind:     hidden_block_count_x
      - .offset:         68
        .size:           4
        .value_kind:     hidden_block_count_y
      - .offset:         72
        .size:           4
        .value_kind:     hidden_block_count_z
      - .offset:         76
        .size:           2
        .value_kind:     hidden_group_size_x
      - .offset:         78
        .size:           2
        .value_kind:     hidden_group_size_y
      - .offset:         80
        .size:           2
        .value_kind:     hidden_group_size_z
      - .offset:         82
        .size:           2
        .value_kind:     hidden_remainder_x
      - .offset:         84
        .size:           2
        .value_kind:     hidden_remainder_y
      - .offset:         86
        .size:           2
        .value_kind:     hidden_remainder_z
      - .offset:         104
        .size:           8
        .value_kind:     hidden_global_offset_x
      - .offset:         112
        .size:           8
        .value_kind:     hidden_global_offset_y
      - .offset:         120
        .size:           8
        .value_kind:     hidden_global_offset_z
      - .offset:         128
        .size:           2
        .value_kind:     hidden_grid_dims
      - .offset:         184
        .size:           4
        .value_kind:     hidden_dynamic_lds_size
    .group_segment_fixed_size: 0
    .kernarg_segment_align: 8
    .kernarg_segment_size: 320
    .language:       OpenCL C
    .language_version:
      - 2
      - 0
    .max_flat_workgroup_size: 1024
    .name:           _ZN12tensorrt_llm7kernels32fusedQKNormRopeKernelNTokenHeadsIN3c104HalfES3_Li256ELb0ELi8EEEvPviiifPKvS6_S6_PKlii
    .private_segment_fixed_size: 0
    .sgpr_count:     28
    .sgpr_spill_count: 0
    .symbol:         _ZN12tensorrt_llm7kernels32fusedQKNormRopeKernelNTokenHeadsIN3c104HalfES3_Li256ELb0ELi8EEEvPviiifPKvS6_S6_PKlii.kd
    .uniform_work_group_size: 1
    .uses_dynamic_stack: false
    .vgpr_count:     61
    .vgpr_spill_count: 0
    .wavefront_size: 64
  - .agpr_count:     0
    .args:
      - .address_space:  global
        .offset:         0
        .size:           8
        .value_kind:     global_buffer
      - .offset:         8
        .size:           4
        .value_kind:     by_value
      - .offset:         12
        .size:           4
        .value_kind:     by_value
      - .offset:         16
        .size:           4
        .value_kind:     by_value
      - .offset:         20
        .size:           4
        .value_kind:     by_value
      - .address_space:  global
        .offset:         24
        .size:           8
        .value_kind:     global_buffer
      - .address_space:  global
        .offset:         32
        .size:           8
        .value_kind:     global_buffer
      - .address_space:  global
        .offset:         40
        .size:           8
        .value_kind:     global_buffer
      - .address_space:  global
        .offset:         48
        .size:           8
        .value_kind:     global_buffer
      - .offset:         56
        .size:           4
        .value_kind:     by_value
      - .offset:         60
        .size:           4
        .value_kind:     by_value
      - .offset:         64
        .size:           4
        .value_kind:     hidden_block_count_x
      - .offset:         68
        .size:           4
        .value_kind:     hidden_block_count_y
      - .offset:         72
        .size:           4
        .value_kind:     hidden_block_count_z
      - .offset:         76
        .size:           2
        .value_kind:     hidden_group_size_x
      - .offset:         78
        .size:           2
        .value_kind:     hidden_group_size_y
      - .offset:         80
        .size:           2
        .value_kind:     hidden_group_size_z
      - .offset:         82
        .size:           2
        .value_kind:     hidden_remainder_x
      - .offset:         84
        .size:           2
        .value_kind:     hidden_remainder_y
      - .offset:         86
        .size:           2
        .value_kind:     hidden_remainder_z
      - .offset:         104
        .size:           8
        .value_kind:     hidden_global_offset_x
      - .offset:         112
        .size:           8
        .value_kind:     hidden_global_offset_y
      - .offset:         120
        .size:           8
        .value_kind:     hidden_global_offset_z
      - .offset:         128
        .size:           2
        .value_kind:     hidden_grid_dims
    .group_segment_fixed_size: 0
    .kernarg_segment_align: 8
    .kernarg_segment_size: 320
    .language:       OpenCL C
    .language_version:
      - 2
      - 0
    .max_flat_workgroup_size: 1024
    .name:           _ZN12tensorrt_llm7kernels21fusedQKNormRopeKernelIN3c104HalfENS2_8BFloat16ELi64ELb1EEEvPviiifPKvS7_S7_PKlii
    .private_segment_fixed_size: 0
    .sgpr_count:     18
    .sgpr_spill_count: 0
    .symbol:         _ZN12tensorrt_llm7kernels21fusedQKNormRopeKernelIN3c104HalfENS2_8BFloat16ELi64ELb1EEEvPviiifPKvS7_S7_PKlii.kd
    .uniform_work_group_size: 1
    .uses_dynamic_stack: false
    .vgpr_count:     13
    .vgpr_spill_count: 0
    .wavefront_size: 64
  - .agpr_count:     0
    .args:
      - .address_space:  global
        .offset:         0
        .size:           8
        .value_kind:     global_buffer
      - .offset:         8
        .size:           4
        .value_kind:     by_value
      - .offset:         12
        .size:           4
        .value_kind:     by_value
      - .offset:         16
        .size:           4
        .value_kind:     by_value
      - .offset:         20
        .size:           4
        .value_kind:     by_value
      - .address_space:  global
        .offset:         24
        .size:           8
        .value_kind:     global_buffer
      - .address_space:  global
        .offset:         32
        .size:           8
        .value_kind:     global_buffer
      - .address_space:  global
        .offset:         40
        .size:           8
        .value_kind:     global_buffer
      - .address_space:  global
        .offset:         48
        .size:           8
        .value_kind:     global_buffer
      - .offset:         56
        .size:           4
        .value_kind:     by_value
      - .offset:         60
        .size:           4
        .value_kind:     by_value
      - .offset:         64
        .size:           4
        .value_kind:     hidden_block_count_x
      - .offset:         68
        .size:           4
        .value_kind:     hidden_block_count_y
      - .offset:         72
        .size:           4
        .value_kind:     hidden_block_count_z
      - .offset:         76
        .size:           2
        .value_kind:     hidden_group_size_x
      - .offset:         78
        .size:           2
        .value_kind:     hidden_group_size_y
      - .offset:         80
        .size:           2
        .value_kind:     hidden_group_size_z
      - .offset:         82
        .size:           2
        .value_kind:     hidden_remainder_x
      - .offset:         84
        .size:           2
        .value_kind:     hidden_remainder_y
      - .offset:         86
        .size:           2
        .value_kind:     hidden_remainder_z
      - .offset:         104
        .size:           8
        .value_kind:     hidden_global_offset_x
      - .offset:         112
        .size:           8
        .value_kind:     hidden_global_offset_y
      - .offset:         120
        .size:           8
        .value_kind:     hidden_global_offset_z
      - .offset:         128
        .size:           2
        .value_kind:     hidden_grid_dims
    .group_segment_fixed_size: 0
    .kernarg_segment_align: 8
    .kernarg_segment_size: 320
    .language:       OpenCL C
    .language_version:
      - 2
      - 0
    .max_flat_workgroup_size: 1024
    .name:           _ZN12tensorrt_llm7kernels21fusedQKNormRopeKernelIN3c104HalfENS2_8BFloat16ELi64ELb0EEEvPviiifPKvS7_S7_PKlii
    .private_segment_fixed_size: 0
    .sgpr_count:     18
    .sgpr_spill_count: 0
    .symbol:         _ZN12tensorrt_llm7kernels21fusedQKNormRopeKernelIN3c104HalfENS2_8BFloat16ELi64ELb0EEEvPviiifPKvS7_S7_PKlii.kd
    .uniform_work_group_size: 1
    .uses_dynamic_stack: false
    .vgpr_count:     18
    .vgpr_spill_count: 0
    .wavefront_size: 64
  - .agpr_count:     0
    .args:
      - .address_space:  global
        .offset:         0
        .size:           8
        .value_kind:     global_buffer
      - .offset:         8
        .size:           4
        .value_kind:     by_value
      - .offset:         12
        .size:           4
        .value_kind:     by_value
      - .offset:         16
        .size:           4
        .value_kind:     by_value
      - .offset:         20
        .size:           4
        .value_kind:     by_value
      - .address_space:  global
        .offset:         24
        .size:           8
        .value_kind:     global_buffer
      - .address_space:  global
        .offset:         32
        .size:           8
        .value_kind:     global_buffer
      - .address_space:  global
        .offset:         40
        .size:           8
        .value_kind:     global_buffer
      - .address_space:  global
        .offset:         48
        .size:           8
        .value_kind:     global_buffer
      - .offset:         56
        .size:           4
        .value_kind:     by_value
      - .offset:         60
        .size:           4
        .value_kind:     by_value
      - .offset:         64
        .size:           4
        .value_kind:     hidden_block_count_x
      - .offset:         68
        .size:           4
        .value_kind:     hidden_block_count_y
      - .offset:         72
        .size:           4
        .value_kind:     hidden_block_count_z
      - .offset:         76
        .size:           2
        .value_kind:     hidden_group_size_x
      - .offset:         78
        .size:           2
        .value_kind:     hidden_group_size_y
      - .offset:         80
        .size:           2
        .value_kind:     hidden_group_size_z
      - .offset:         82
        .size:           2
        .value_kind:     hidden_remainder_x
      - .offset:         84
        .size:           2
        .value_kind:     hidden_remainder_y
      - .offset:         86
        .size:           2
        .value_kind:     hidden_remainder_z
      - .offset:         104
        .size:           8
        .value_kind:     hidden_global_offset_x
      - .offset:         112
        .size:           8
        .value_kind:     hidden_global_offset_y
      - .offset:         120
        .size:           8
        .value_kind:     hidden_global_offset_z
      - .offset:         128
        .size:           2
        .value_kind:     hidden_grid_dims
    .group_segment_fixed_size: 0
    .kernarg_segment_align: 8
    .kernarg_segment_size: 320
    .language:       OpenCL C
    .language_version:
      - 2
      - 0
    .max_flat_workgroup_size: 1024
    .name:           _ZN12tensorrt_llm7kernels21fusedQKNormRopeKernelIN3c104HalfENS2_8BFloat16ELi128ELb1EEEvPviiifPKvS7_S7_PKlii
    .private_segment_fixed_size: 0
    .sgpr_count:     18
    .sgpr_spill_count: 0
    .symbol:         _ZN12tensorrt_llm7kernels21fusedQKNormRopeKernelIN3c104HalfENS2_8BFloat16ELi128ELb1EEEvPviiifPKvS7_S7_PKlii.kd
    .uniform_work_group_size: 1
    .uses_dynamic_stack: false
    .vgpr_count:     20
    .vgpr_spill_count: 0
    .wavefront_size: 64
  - .agpr_count:     0
    .args:
      - .address_space:  global
        .offset:         0
        .size:           8
        .value_kind:     global_buffer
      - .offset:         8
        .size:           4
        .value_kind:     by_value
      - .offset:         12
        .size:           4
        .value_kind:     by_value
      - .offset:         16
        .size:           4
        .value_kind:     by_value
      - .offset:         20
        .size:           4
        .value_kind:     by_value
      - .address_space:  global
        .offset:         24
        .size:           8
        .value_kind:     global_buffer
      - .address_space:  global
        .offset:         32
        .size:           8
        .value_kind:     global_buffer
      - .address_space:  global
        .offset:         40
        .size:           8
        .value_kind:     global_buffer
      - .address_space:  global
        .offset:         48
        .size:           8
        .value_kind:     global_buffer
      - .offset:         56
        .size:           4
        .value_kind:     by_value
      - .offset:         60
        .size:           4
        .value_kind:     by_value
      - .offset:         64
        .size:           4
        .value_kind:     hidden_block_count_x
      - .offset:         68
        .size:           4
        .value_kind:     hidden_block_count_y
      - .offset:         72
        .size:           4
        .value_kind:     hidden_block_count_z
      - .offset:         76
        .size:           2
        .value_kind:     hidden_group_size_x
      - .offset:         78
        .size:           2
        .value_kind:     hidden_group_size_y
      - .offset:         80
        .size:           2
        .value_kind:     hidden_group_size_z
      - .offset:         82
        .size:           2
        .value_kind:     hidden_remainder_x
      - .offset:         84
        .size:           2
        .value_kind:     hidden_remainder_y
      - .offset:         86
        .size:           2
        .value_kind:     hidden_remainder_z
      - .offset:         104
        .size:           8
        .value_kind:     hidden_global_offset_x
      - .offset:         112
        .size:           8
        .value_kind:     hidden_global_offset_y
      - .offset:         120
        .size:           8
        .value_kind:     hidden_global_offset_z
      - .offset:         128
        .size:           2
        .value_kind:     hidden_grid_dims
    .group_segment_fixed_size: 0
    .kernarg_segment_align: 8
    .kernarg_segment_size: 320
    .language:       OpenCL C
    .language_version:
      - 2
      - 0
    .max_flat_workgroup_size: 1024
    .name:           _ZN12tensorrt_llm7kernels21fusedQKNormRopeKernelIN3c104HalfENS2_8BFloat16ELi128ELb0EEEvPviiifPKvS7_S7_PKlii
    .private_segment_fixed_size: 0
    .sgpr_count:     18
    .sgpr_spill_count: 0
    .symbol:         _ZN12tensorrt_llm7kernels21fusedQKNormRopeKernelIN3c104HalfENS2_8BFloat16ELi128ELb0EEEvPviiifPKvS7_S7_PKlii.kd
    .uniform_work_group_size: 1
    .uses_dynamic_stack: false
    .vgpr_count:     32
    .vgpr_spill_count: 0
    .wavefront_size: 64
  - .agpr_count:     0
    .args:
      - .address_space:  global
        .offset:         0
        .size:           8
        .value_kind:     global_buffer
      - .offset:         8
        .size:           4
        .value_kind:     by_value
      - .offset:         12
        .size:           4
        .value_kind:     by_value
      - .offset:         16
        .size:           4
        .value_kind:     by_value
      - .offset:         20
        .size:           4
        .value_kind:     by_value
      - .address_space:  global
        .offset:         24
        .size:           8
        .value_kind:     global_buffer
      - .address_space:  global
        .offset:         32
        .size:           8
        .value_kind:     global_buffer
      - .address_space:  global
        .offset:         40
        .size:           8
        .value_kind:     global_buffer
      - .address_space:  global
        .offset:         48
        .size:           8
        .value_kind:     global_buffer
      - .offset:         56
        .size:           4
        .value_kind:     by_value
      - .offset:         60
        .size:           4
        .value_kind:     by_value
      - .offset:         64
        .size:           4
        .value_kind:     hidden_block_count_x
      - .offset:         68
        .size:           4
        .value_kind:     hidden_block_count_y
      - .offset:         72
        .size:           4
        .value_kind:     hidden_block_count_z
      - .offset:         76
        .size:           2
        .value_kind:     hidden_group_size_x
      - .offset:         78
        .size:           2
        .value_kind:     hidden_group_size_y
      - .offset:         80
        .size:           2
        .value_kind:     hidden_group_size_z
      - .offset:         82
        .size:           2
        .value_kind:     hidden_remainder_x
      - .offset:         84
        .size:           2
        .value_kind:     hidden_remainder_y
      - .offset:         86
        .size:           2
        .value_kind:     hidden_remainder_z
      - .offset:         104
        .size:           8
        .value_kind:     hidden_global_offset_x
      - .offset:         112
        .size:           8
        .value_kind:     hidden_global_offset_y
      - .offset:         120
        .size:           8
        .value_kind:     hidden_global_offset_z
      - .offset:         128
        .size:           2
        .value_kind:     hidden_grid_dims
    .group_segment_fixed_size: 0
    .kernarg_segment_align: 8
    .kernarg_segment_size: 320
    .language:       OpenCL C
    .language_version:
      - 2
      - 0
    .max_flat_workgroup_size: 1024
    .name:           _ZN12tensorrt_llm7kernels21fusedQKNormRopeKernelIN3c104HalfENS2_8BFloat16ELi256ELb1EEEvPviiifPKvS7_S7_PKlii
    .private_segment_fixed_size: 0
    .sgpr_count:     18
    .sgpr_spill_count: 0
    .symbol:         _ZN12tensorrt_llm7kernels21fusedQKNormRopeKernelIN3c104HalfENS2_8BFloat16ELi256ELb1EEEvPviiifPKvS7_S7_PKlii.kd
    .uniform_work_group_size: 1
    .uses_dynamic_stack: false
    .vgpr_count:     32
    .vgpr_spill_count: 0
    .wavefront_size: 64
  - .agpr_count:     0
    .args:
      - .address_space:  global
        .offset:         0
        .size:           8
        .value_kind:     global_buffer
      - .offset:         8
        .size:           4
        .value_kind:     by_value
      - .offset:         12
        .size:           4
        .value_kind:     by_value
      - .offset:         16
        .size:           4
        .value_kind:     by_value
      - .offset:         20
        .size:           4
        .value_kind:     by_value
      - .address_space:  global
        .offset:         24
        .size:           8
        .value_kind:     global_buffer
      - .address_space:  global
        .offset:         32
        .size:           8
        .value_kind:     global_buffer
      - .address_space:  global
        .offset:         40
        .size:           8
        .value_kind:     global_buffer
      - .address_space:  global
        .offset:         48
        .size:           8
        .value_kind:     global_buffer
      - .offset:         56
        .size:           4
        .value_kind:     by_value
      - .offset:         60
        .size:           4
        .value_kind:     by_value
      - .offset:         64
        .size:           4
        .value_kind:     hidden_block_count_x
      - .offset:         68
        .size:           4
        .value_kind:     hidden_block_count_y
      - .offset:         72
        .size:           4
        .value_kind:     hidden_block_count_z
      - .offset:         76
        .size:           2
        .value_kind:     hidden_group_size_x
      - .offset:         78
        .size:           2
        .value_kind:     hidden_group_size_y
      - .offset:         80
        .size:           2
        .value_kind:     hidden_group_size_z
      - .offset:         82
        .size:           2
        .value_kind:     hidden_remainder_x
      - .offset:         84
        .size:           2
        .value_kind:     hidden_remainder_y
      - .offset:         86
        .size:           2
        .value_kind:     hidden_remainder_z
      - .offset:         104
        .size:           8
        .value_kind:     hidden_global_offset_x
      - .offset:         112
        .size:           8
        .value_kind:     hidden_global_offset_y
      - .offset:         120
        .size:           8
        .value_kind:     hidden_global_offset_z
      - .offset:         128
        .size:           2
        .value_kind:     hidden_grid_dims
    .group_segment_fixed_size: 0
    .kernarg_segment_align: 8
    .kernarg_segment_size: 320
    .language:       OpenCL C
    .language_version:
      - 2
      - 0
    .max_flat_workgroup_size: 1024
    .name:           _ZN12tensorrt_llm7kernels21fusedQKNormRopeKernelIN3c104HalfENS2_8BFloat16ELi256ELb0EEEvPviiifPKvS7_S7_PKlii
    .private_segment_fixed_size: 0
    .sgpr_count:     18
    .sgpr_spill_count: 0
    .symbol:         _ZN12tensorrt_llm7kernels21fusedQKNormRopeKernelIN3c104HalfENS2_8BFloat16ELi256ELb0EEEvPviiifPKvS7_S7_PKlii.kd
    .uniform_work_group_size: 1
    .uses_dynamic_stack: false
    .vgpr_count:     44
    .vgpr_spill_count: 0
    .wavefront_size: 64
  - .agpr_count:     0
    .args:
      - .address_space:  global
        .offset:         0
        .size:           8
        .value_kind:     global_buffer
      - .offset:         8
        .size:           4
        .value_kind:     by_value
      - .offset:         12
        .size:           4
        .value_kind:     by_value
      - .offset:         16
        .size:           4
        .value_kind:     by_value
      - .offset:         20
        .size:           4
        .value_kind:     by_value
      - .address_space:  global
        .offset:         24
        .size:           8
        .value_kind:     global_buffer
      - .address_space:  global
        .offset:         32
        .size:           8
        .value_kind:     global_buffer
      - .address_space:  global
        .offset:         40
        .size:           8
        .value_kind:     global_buffer
      - .address_space:  global
        .offset:         48
        .size:           8
        .value_kind:     global_buffer
      - .offset:         56
        .size:           4
        .value_kind:     by_value
      - .offset:         60
        .size:           4
        .value_kind:     by_value
      - .offset:         64
        .size:           4
        .value_kind:     hidden_block_count_x
      - .offset:         68
        .size:           4
        .value_kind:     hidden_block_count_y
      - .offset:         72
        .size:           4
        .value_kind:     hidden_block_count_z
      - .offset:         76
        .size:           2
        .value_kind:     hidden_group_size_x
      - .offset:         78
        .size:           2
        .value_kind:     hidden_group_size_y
      - .offset:         80
        .size:           2
        .value_kind:     hidden_group_size_z
      - .offset:         82
        .size:           2
        .value_kind:     hidden_remainder_x
      - .offset:         84
        .size:           2
        .value_kind:     hidden_remainder_y
      - .offset:         86
        .size:           2
        .value_kind:     hidden_remainder_z
      - .offset:         104
        .size:           8
        .value_kind:     hidden_global_offset_x
      - .offset:         112
        .size:           8
        .value_kind:     hidden_global_offset_y
      - .offset:         120
        .size:           8
        .value_kind:     hidden_global_offset_z
      - .offset:         128
        .size:           2
        .value_kind:     hidden_grid_dims
      - .offset:         184
        .size:           4
        .value_kind:     hidden_dynamic_lds_size
    .group_segment_fixed_size: 0
    .kernarg_segment_align: 8
    .kernarg_segment_size: 320
    .language:       OpenCL C
    .language_version:
      - 2
      - 0
    .max_flat_workgroup_size: 1024
    .name:           _ZN12tensorrt_llm7kernels32fusedQKNormRopeKernelNTokenHeadsIN3c104HalfENS2_8BFloat16ELi64ELb1ELi2EEEvPviiifPKvS7_S7_PKlii
    .private_segment_fixed_size: 0
    .sgpr_count:     28
    .sgpr_spill_count: 0
    .symbol:         _ZN12tensorrt_llm7kernels32fusedQKNormRopeKernelNTokenHeadsIN3c104HalfENS2_8BFloat16ELi64ELb1ELi2EEEvPviiifPKvS7_S7_PKlii.kd
    .uniform_work_group_size: 1
    .uses_dynamic_stack: false
    .vgpr_count:     25
    .vgpr_spill_count: 0
    .wavefront_size: 64
  - .agpr_count:     0
    .args:
      - .address_space:  global
        .offset:         0
        .size:           8
        .value_kind:     global_buffer
      - .offset:         8
        .size:           4
        .value_kind:     by_value
      - .offset:         12
        .size:           4
        .value_kind:     by_value
      - .offset:         16
        .size:           4
        .value_kind:     by_value
      - .offset:         20
        .size:           4
        .value_kind:     by_value
      - .address_space:  global
        .offset:         24
        .size:           8
        .value_kind:     global_buffer
      - .address_space:  global
        .offset:         32
        .size:           8
        .value_kind:     global_buffer
      - .address_space:  global
        .offset:         40
        .size:           8
        .value_kind:     global_buffer
      - .address_space:  global
        .offset:         48
        .size:           8
        .value_kind:     global_buffer
      - .offset:         56
        .size:           4
        .value_kind:     by_value
      - .offset:         60
        .size:           4
        .value_kind:     by_value
      - .offset:         64
        .size:           4
        .value_kind:     hidden_block_count_x
      - .offset:         68
        .size:           4
        .value_kind:     hidden_block_count_y
      - .offset:         72
        .size:           4
        .value_kind:     hidden_block_count_z
      - .offset:         76
        .size:           2
        .value_kind:     hidden_group_size_x
      - .offset:         78
        .size:           2
        .value_kind:     hidden_group_size_y
      - .offset:         80
        .size:           2
        .value_kind:     hidden_group_size_z
      - .offset:         82
        .size:           2
        .value_kind:     hidden_remainder_x
      - .offset:         84
        .size:           2
        .value_kind:     hidden_remainder_y
      - .offset:         86
        .size:           2
        .value_kind:     hidden_remainder_z
      - .offset:         104
        .size:           8
        .value_kind:     hidden_global_offset_x
      - .offset:         112
        .size:           8
        .value_kind:     hidden_global_offset_y
      - .offset:         120
        .size:           8
        .value_kind:     hidden_global_offset_z
      - .offset:         128
        .size:           2
        .value_kind:     hidden_grid_dims
      - .offset:         184
        .size:           4
        .value_kind:     hidden_dynamic_lds_size
    .group_segment_fixed_size: 0
    .kernarg_segment_align: 8
    .kernarg_segment_size: 320
    .language:       OpenCL C
    .language_version:
      - 2
      - 0
    .max_flat_workgroup_size: 1024
    .name:           _ZN12tensorrt_llm7kernels32fusedQKNormRopeKernelNTokenHeadsIN3c104HalfENS2_8BFloat16ELi64ELb0ELi2EEEvPviiifPKvS7_S7_PKlii
    .private_segment_fixed_size: 0
    .sgpr_count:     28
    .sgpr_spill_count: 0
    .symbol:         _ZN12tensorrt_llm7kernels32fusedQKNormRopeKernelNTokenHeadsIN3c104HalfENS2_8BFloat16ELi64ELb0ELi2EEEvPviiifPKvS7_S7_PKlii.kd
    .uniform_work_group_size: 1
    .uses_dynamic_stack: false
    .vgpr_count:     28
    .vgpr_spill_count: 0
    .wavefront_size: 64
  - .agpr_count:     0
    .args:
      - .address_space:  global
        .offset:         0
        .size:           8
        .value_kind:     global_buffer
      - .offset:         8
        .size:           4
        .value_kind:     by_value
      - .offset:         12
        .size:           4
        .value_kind:     by_value
      - .offset:         16
        .size:           4
        .value_kind:     by_value
      - .offset:         20
        .size:           4
        .value_kind:     by_value
      - .address_space:  global
        .offset:         24
        .size:           8
        .value_kind:     global_buffer
      - .address_space:  global
        .offset:         32
        .size:           8
        .value_kind:     global_buffer
      - .address_space:  global
        .offset:         40
        .size:           8
        .value_kind:     global_buffer
      - .address_space:  global
        .offset:         48
        .size:           8
        .value_kind:     global_buffer
      - .offset:         56
        .size:           4
        .value_kind:     by_value
      - .offset:         60
        .size:           4
        .value_kind:     by_value
      - .offset:         64
        .size:           4
        .value_kind:     hidden_block_count_x
      - .offset:         68
        .size:           4
        .value_kind:     hidden_block_count_y
      - .offset:         72
        .size:           4
        .value_kind:     hidden_block_count_z
      - .offset:         76
        .size:           2
        .value_kind:     hidden_group_size_x
      - .offset:         78
        .size:           2
        .value_kind:     hidden_group_size_y
      - .offset:         80
        .size:           2
        .value_kind:     hidden_group_size_z
      - .offset:         82
        .size:           2
        .value_kind:     hidden_remainder_x
      - .offset:         84
        .size:           2
        .value_kind:     hidden_remainder_y
      - .offset:         86
        .size:           2
        .value_kind:     hidden_remainder_z
      - .offset:         104
        .size:           8
        .value_kind:     hidden_global_offset_x
      - .offset:         112
        .size:           8
        .value_kind:     hidden_global_offset_y
      - .offset:         120
        .size:           8
        .value_kind:     hidden_global_offset_z
      - .offset:         128
        .size:           2
        .value_kind:     hidden_grid_dims
      - .offset:         184
        .size:           4
        .value_kind:     hidden_dynamic_lds_size
    .group_segment_fixed_size: 0
    .kernarg_segment_align: 8
    .kernarg_segment_size: 320
    .language:       OpenCL C
    .language_version:
      - 2
      - 0
    .max_flat_workgroup_size: 1024
    .name:           _ZN12tensorrt_llm7kernels32fusedQKNormRopeKernelNTokenHeadsIN3c104HalfENS2_8BFloat16ELi128ELb1ELi2EEEvPviiifPKvS7_S7_PKlii
    .private_segment_fixed_size: 0
    .sgpr_count:     28
    .sgpr_spill_count: 0
    .symbol:         _ZN12tensorrt_llm7kernels32fusedQKNormRopeKernelNTokenHeadsIN3c104HalfENS2_8BFloat16ELi128ELb1ELi2EEEvPviiifPKvS7_S7_PKlii.kd
    .uniform_work_group_size: 1
    .uses_dynamic_stack: false
    .vgpr_count:     36
    .vgpr_spill_count: 0
    .wavefront_size: 64
  - .agpr_count:     0
    .args:
      - .address_space:  global
        .offset:         0
        .size:           8
        .value_kind:     global_buffer
      - .offset:         8
        .size:           4
        .value_kind:     by_value
      - .offset:         12
        .size:           4
        .value_kind:     by_value
      - .offset:         16
        .size:           4
        .value_kind:     by_value
      - .offset:         20
        .size:           4
        .value_kind:     by_value
      - .address_space:  global
        .offset:         24
        .size:           8
        .value_kind:     global_buffer
      - .address_space:  global
        .offset:         32
        .size:           8
        .value_kind:     global_buffer
      - .address_space:  global
        .offset:         40
        .size:           8
        .value_kind:     global_buffer
      - .address_space:  global
        .offset:         48
        .size:           8
        .value_kind:     global_buffer
      - .offset:         56
        .size:           4
        .value_kind:     by_value
      - .offset:         60
        .size:           4
        .value_kind:     by_value
      - .offset:         64
        .size:           4
        .value_kind:     hidden_block_count_x
      - .offset:         68
        .size:           4
        .value_kind:     hidden_block_count_y
      - .offset:         72
        .size:           4
        .value_kind:     hidden_block_count_z
      - .offset:         76
        .size:           2
        .value_kind:     hidden_group_size_x
      - .offset:         78
        .size:           2
        .value_kind:     hidden_group_size_y
      - .offset:         80
        .size:           2
        .value_kind:     hidden_group_size_z
      - .offset:         82
        .size:           2
        .value_kind:     hidden_remainder_x
      - .offset:         84
        .size:           2
        .value_kind:     hidden_remainder_y
      - .offset:         86
        .size:           2
        .value_kind:     hidden_remainder_z
      - .offset:         104
        .size:           8
        .value_kind:     hidden_global_offset_x
      - .offset:         112
        .size:           8
        .value_kind:     hidden_global_offset_y
      - .offset:         120
        .size:           8
        .value_kind:     hidden_global_offset_z
      - .offset:         128
        .size:           2
        .value_kind:     hidden_grid_dims
      - .offset:         184
        .size:           4
        .value_kind:     hidden_dynamic_lds_size
    .group_segment_fixed_size: 0
    .kernarg_segment_align: 8
    .kernarg_segment_size: 320
    .language:       OpenCL C
    .language_version:
      - 2
      - 0
    .max_flat_workgroup_size: 1024
    .name:           _ZN12tensorrt_llm7kernels32fusedQKNormRopeKernelNTokenHeadsIN3c104HalfENS2_8BFloat16ELi128ELb0ELi2EEEvPviiifPKvS7_S7_PKlii
    .private_segment_fixed_size: 0
    .sgpr_count:     28
    .sgpr_spill_count: 0
    .symbol:         _ZN12tensorrt_llm7kernels32fusedQKNormRopeKernelNTokenHeadsIN3c104HalfENS2_8BFloat16ELi128ELb0ELi2EEEvPviiifPKvS7_S7_PKlii.kd
    .uniform_work_group_size: 1
    .uses_dynamic_stack: false
    .vgpr_count:     41
    .vgpr_spill_count: 0
    .wavefront_size: 64
  - .agpr_count:     0
    .args:
      - .address_space:  global
        .offset:         0
        .size:           8
        .value_kind:     global_buffer
      - .offset:         8
        .size:           4
        .value_kind:     by_value
      - .offset:         12
        .size:           4
        .value_kind:     by_value
      - .offset:         16
        .size:           4
        .value_kind:     by_value
      - .offset:         20
        .size:           4
        .value_kind:     by_value
      - .address_space:  global
        .offset:         24
        .size:           8
        .value_kind:     global_buffer
      - .address_space:  global
        .offset:         32
        .size:           8
        .value_kind:     global_buffer
      - .address_space:  global
        .offset:         40
        .size:           8
        .value_kind:     global_buffer
      - .address_space:  global
        .offset:         48
        .size:           8
        .value_kind:     global_buffer
      - .offset:         56
        .size:           4
        .value_kind:     by_value
      - .offset:         60
        .size:           4
        .value_kind:     by_value
      - .offset:         64
        .size:           4
        .value_kind:     hidden_block_count_x
      - .offset:         68
        .size:           4
        .value_kind:     hidden_block_count_y
      - .offset:         72
        .size:           4
        .value_kind:     hidden_block_count_z
      - .offset:         76
        .size:           2
        .value_kind:     hidden_group_size_x
      - .offset:         78
        .size:           2
        .value_kind:     hidden_group_size_y
      - .offset:         80
        .size:           2
        .value_kind:     hidden_group_size_z
      - .offset:         82
        .size:           2
        .value_kind:     hidden_remainder_x
      - .offset:         84
        .size:           2
        .value_kind:     hidden_remainder_y
      - .offset:         86
        .size:           2
        .value_kind:     hidden_remainder_z
      - .offset:         104
        .size:           8
        .value_kind:     hidden_global_offset_x
      - .offset:         112
        .size:           8
        .value_kind:     hidden_global_offset_y
      - .offset:         120
        .size:           8
        .value_kind:     hidden_global_offset_z
      - .offset:         128
        .size:           2
        .value_kind:     hidden_grid_dims
      - .offset:         184
        .size:           4
        .value_kind:     hidden_dynamic_lds_size
    .group_segment_fixed_size: 0
    .kernarg_segment_align: 8
    .kernarg_segment_size: 320
    .language:       OpenCL C
    .language_version:
      - 2
      - 0
    .max_flat_workgroup_size: 1024
    .name:           _ZN12tensorrt_llm7kernels32fusedQKNormRopeKernelNTokenHeadsIN3c104HalfENS2_8BFloat16ELi256ELb1ELi2EEEvPviiifPKvS7_S7_PKlii
    .private_segment_fixed_size: 0
    .sgpr_count:     28
    .sgpr_spill_count: 0
    .symbol:         _ZN12tensorrt_llm7kernels32fusedQKNormRopeKernelNTokenHeadsIN3c104HalfENS2_8BFloat16ELi256ELb1ELi2EEEvPviiifPKvS7_S7_PKlii.kd
    .uniform_work_group_size: 1
    .uses_dynamic_stack: false
    .vgpr_count:     52
    .vgpr_spill_count: 0
    .wavefront_size: 64
  - .agpr_count:     0
    .args:
      - .address_space:  global
        .offset:         0
        .size:           8
        .value_kind:     global_buffer
      - .offset:         8
        .size:           4
        .value_kind:     by_value
      - .offset:         12
        .size:           4
        .value_kind:     by_value
      - .offset:         16
        .size:           4
        .value_kind:     by_value
      - .offset:         20
        .size:           4
        .value_kind:     by_value
      - .address_space:  global
        .offset:         24
        .size:           8
        .value_kind:     global_buffer
      - .address_space:  global
        .offset:         32
        .size:           8
        .value_kind:     global_buffer
      - .address_space:  global
        .offset:         40
        .size:           8
        .value_kind:     global_buffer
      - .address_space:  global
        .offset:         48
        .size:           8
        .value_kind:     global_buffer
      - .offset:         56
        .size:           4
        .value_kind:     by_value
      - .offset:         60
        .size:           4
        .value_kind:     by_value
      - .offset:         64
        .size:           4
        .value_kind:     hidden_block_count_x
      - .offset:         68
        .size:           4
        .value_kind:     hidden_block_count_y
      - .offset:         72
        .size:           4
        .value_kind:     hidden_block_count_z
      - .offset:         76
        .size:           2
        .value_kind:     hidden_group_size_x
      - .offset:         78
        .size:           2
        .value_kind:     hidden_group_size_y
      - .offset:         80
        .size:           2
        .value_kind:     hidden_group_size_z
      - .offset:         82
        .size:           2
        .value_kind:     hidden_remainder_x
      - .offset:         84
        .size:           2
        .value_kind:     hidden_remainder_y
      - .offset:         86
        .size:           2
        .value_kind:     hidden_remainder_z
      - .offset:         104
        .size:           8
        .value_kind:     hidden_global_offset_x
      - .offset:         112
        .size:           8
        .value_kind:     hidden_global_offset_y
      - .offset:         120
        .size:           8
        .value_kind:     hidden_global_offset_z
      - .offset:         128
        .size:           2
        .value_kind:     hidden_grid_dims
      - .offset:         184
        .size:           4
        .value_kind:     hidden_dynamic_lds_size
    .group_segment_fixed_size: 0
    .kernarg_segment_align: 8
    .kernarg_segment_size: 320
    .language:       OpenCL C
    .language_version:
      - 2
      - 0
    .max_flat_workgroup_size: 1024
    .name:           _ZN12tensorrt_llm7kernels32fusedQKNormRopeKernelNTokenHeadsIN3c104HalfENS2_8BFloat16ELi256ELb0ELi2EEEvPviiifPKvS7_S7_PKlii
    .private_segment_fixed_size: 0
    .sgpr_count:     28
    .sgpr_spill_count: 0
    .symbol:         _ZN12tensorrt_llm7kernels32fusedQKNormRopeKernelNTokenHeadsIN3c104HalfENS2_8BFloat16ELi256ELb0ELi2EEEvPviiifPKvS7_S7_PKlii.kd
    .uniform_work_group_size: 1
    .uses_dynamic_stack: false
    .vgpr_count:     61
    .vgpr_spill_count: 0
    .wavefront_size: 64
  - .agpr_count:     0
    .args:
      - .address_space:  global
        .offset:         0
        .size:           8
        .value_kind:     global_buffer
      - .offset:         8
        .size:           4
        .value_kind:     by_value
      - .offset:         12
        .size:           4
        .value_kind:     by_value
      - .offset:         16
        .size:           4
        .value_kind:     by_value
      - .offset:         20
        .size:           4
        .value_kind:     by_value
      - .address_space:  global
        .offset:         24
        .size:           8
        .value_kind:     global_buffer
      - .address_space:  global
        .offset:         32
        .size:           8
        .value_kind:     global_buffer
      - .address_space:  global
        .offset:         40
        .size:           8
        .value_kind:     global_buffer
      - .address_space:  global
        .offset:         48
        .size:           8
        .value_kind:     global_buffer
      - .offset:         56
        .size:           4
        .value_kind:     by_value
      - .offset:         60
        .size:           4
        .value_kind:     by_value
      - .offset:         64
        .size:           4
        .value_kind:     hidden_block_count_x
      - .offset:         68
        .size:           4
        .value_kind:     hidden_block_count_y
      - .offset:         72
        .size:           4
        .value_kind:     hidden_block_count_z
      - .offset:         76
        .size:           2
        .value_kind:     hidden_group_size_x
      - .offset:         78
        .size:           2
        .value_kind:     hidden_group_size_y
      - .offset:         80
        .size:           2
        .value_kind:     hidden_group_size_z
      - .offset:         82
        .size:           2
        .value_kind:     hidden_remainder_x
      - .offset:         84
        .size:           2
        .value_kind:     hidden_remainder_y
      - .offset:         86
        .size:           2
        .value_kind:     hidden_remainder_z
      - .offset:         104
        .size:           8
        .value_kind:     hidden_global_offset_x
      - .offset:         112
        .size:           8
        .value_kind:     hidden_global_offset_y
      - .offset:         120
        .size:           8
        .value_kind:     hidden_global_offset_z
      - .offset:         128
        .size:           2
        .value_kind:     hidden_grid_dims
      - .offset:         184
        .size:           4
        .value_kind:     hidden_dynamic_lds_size
    .group_segment_fixed_size: 0
    .kernarg_segment_align: 8
    .kernarg_segment_size: 320
    .language:       OpenCL C
    .language_version:
      - 2
      - 0
    .max_flat_workgroup_size: 1024
    .name:           _ZN12tensorrt_llm7kernels32fusedQKNormRopeKernelNTokenHeadsIN3c104HalfENS2_8BFloat16ELi64ELb1ELi4EEEvPviiifPKvS7_S7_PKlii
    .private_segment_fixed_size: 0
    .sgpr_count:     28
    .sgpr_spill_count: 0
    .symbol:         _ZN12tensorrt_llm7kernels32fusedQKNormRopeKernelNTokenHeadsIN3c104HalfENS2_8BFloat16ELi64ELb1ELi4EEEvPviiifPKvS7_S7_PKlii.kd
    .uniform_work_group_size: 1
    .uses_dynamic_stack: false
    .vgpr_count:     25
    .vgpr_spill_count: 0
    .wavefront_size: 64
  - .agpr_count:     0
    .args:
      - .address_space:  global
        .offset:         0
        .size:           8
        .value_kind:     global_buffer
      - .offset:         8
        .size:           4
        .value_kind:     by_value
      - .offset:         12
        .size:           4
        .value_kind:     by_value
      - .offset:         16
        .size:           4
        .value_kind:     by_value
      - .offset:         20
        .size:           4
        .value_kind:     by_value
      - .address_space:  global
        .offset:         24
        .size:           8
        .value_kind:     global_buffer
      - .address_space:  global
        .offset:         32
        .size:           8
        .value_kind:     global_buffer
      - .address_space:  global
        .offset:         40
        .size:           8
        .value_kind:     global_buffer
      - .address_space:  global
        .offset:         48
        .size:           8
        .value_kind:     global_buffer
      - .offset:         56
        .size:           4
        .value_kind:     by_value
      - .offset:         60
        .size:           4
        .value_kind:     by_value
      - .offset:         64
        .size:           4
        .value_kind:     hidden_block_count_x
      - .offset:         68
        .size:           4
        .value_kind:     hidden_block_count_y
      - .offset:         72
        .size:           4
        .value_kind:     hidden_block_count_z
      - .offset:         76
        .size:           2
        .value_kind:     hidden_group_size_x
      - .offset:         78
        .size:           2
        .value_kind:     hidden_group_size_y
      - .offset:         80
        .size:           2
        .value_kind:     hidden_group_size_z
      - .offset:         82
        .size:           2
        .value_kind:     hidden_remainder_x
      - .offset:         84
        .size:           2
        .value_kind:     hidden_remainder_y
      - .offset:         86
        .size:           2
        .value_kind:     hidden_remainder_z
      - .offset:         104
        .size:           8
        .value_kind:     hidden_global_offset_x
      - .offset:         112
        .size:           8
        .value_kind:     hidden_global_offset_y
      - .offset:         120
        .size:           8
        .value_kind:     hidden_global_offset_z
      - .offset:         128
        .size:           2
        .value_kind:     hidden_grid_dims
      - .offset:         184
        .size:           4
        .value_kind:     hidden_dynamic_lds_size
    .group_segment_fixed_size: 0
    .kernarg_segment_align: 8
    .kernarg_segment_size: 320
    .language:       OpenCL C
    .language_version:
      - 2
      - 0
    .max_flat_workgroup_size: 1024
    .name:           _ZN12tensorrt_llm7kernels32fusedQKNormRopeKernelNTokenHeadsIN3c104HalfENS2_8BFloat16ELi64ELb0ELi4EEEvPviiifPKvS7_S7_PKlii
    .private_segment_fixed_size: 0
    .sgpr_count:     28
    .sgpr_spill_count: 0
    .symbol:         _ZN12tensorrt_llm7kernels32fusedQKNormRopeKernelNTokenHeadsIN3c104HalfENS2_8BFloat16ELi64ELb0ELi4EEEvPviiifPKvS7_S7_PKlii.kd
    .uniform_work_group_size: 1
    .uses_dynamic_stack: false
    .vgpr_count:     28
    .vgpr_spill_count: 0
    .wavefront_size: 64
  - .agpr_count:     0
    .args:
      - .address_space:  global
        .offset:         0
        .size:           8
        .value_kind:     global_buffer
      - .offset:         8
        .size:           4
        .value_kind:     by_value
      - .offset:         12
        .size:           4
        .value_kind:     by_value
      - .offset:         16
        .size:           4
        .value_kind:     by_value
      - .offset:         20
        .size:           4
        .value_kind:     by_value
      - .address_space:  global
        .offset:         24
        .size:           8
        .value_kind:     global_buffer
      - .address_space:  global
        .offset:         32
        .size:           8
        .value_kind:     global_buffer
      - .address_space:  global
        .offset:         40
        .size:           8
        .value_kind:     global_buffer
      - .address_space:  global
        .offset:         48
        .size:           8
        .value_kind:     global_buffer
      - .offset:         56
        .size:           4
        .value_kind:     by_value
      - .offset:         60
        .size:           4
        .value_kind:     by_value
      - .offset:         64
        .size:           4
        .value_kind:     hidden_block_count_x
      - .offset:         68
        .size:           4
        .value_kind:     hidden_block_count_y
      - .offset:         72
        .size:           4
        .value_kind:     hidden_block_count_z
      - .offset:         76
        .size:           2
        .value_kind:     hidden_group_size_x
      - .offset:         78
        .size:           2
        .value_kind:     hidden_group_size_y
      - .offset:         80
        .size:           2
        .value_kind:     hidden_group_size_z
      - .offset:         82
        .size:           2
        .value_kind:     hidden_remainder_x
      - .offset:         84
        .size:           2
        .value_kind:     hidden_remainder_y
      - .offset:         86
        .size:           2
        .value_kind:     hidden_remainder_z
      - .offset:         104
        .size:           8
        .value_kind:     hidden_global_offset_x
      - .offset:         112
        .size:           8
        .value_kind:     hidden_global_offset_y
      - .offset:         120
        .size:           8
        .value_kind:     hidden_global_offset_z
      - .offset:         128
        .size:           2
        .value_kind:     hidden_grid_dims
      - .offset:         184
        .size:           4
        .value_kind:     hidden_dynamic_lds_size
    .group_segment_fixed_size: 0
    .kernarg_segment_align: 8
    .kernarg_segment_size: 320
    .language:       OpenCL C
    .language_version:
      - 2
      - 0
    .max_flat_workgroup_size: 1024
    .name:           _ZN12tensorrt_llm7kernels32fusedQKNormRopeKernelNTokenHeadsIN3c104HalfENS2_8BFloat16ELi128ELb1ELi4EEEvPviiifPKvS7_S7_PKlii
    .private_segment_fixed_size: 0
    .sgpr_count:     28
    .sgpr_spill_count: 0
    .symbol:         _ZN12tensorrt_llm7kernels32fusedQKNormRopeKernelNTokenHeadsIN3c104HalfENS2_8BFloat16ELi128ELb1ELi4EEEvPviiifPKvS7_S7_PKlii.kd
    .uniform_work_group_size: 1
    .uses_dynamic_stack: false
    .vgpr_count:     36
    .vgpr_spill_count: 0
    .wavefront_size: 64
  - .agpr_count:     0
    .args:
      - .address_space:  global
        .offset:         0
        .size:           8
        .value_kind:     global_buffer
      - .offset:         8
        .size:           4
        .value_kind:     by_value
      - .offset:         12
        .size:           4
        .value_kind:     by_value
      - .offset:         16
        .size:           4
        .value_kind:     by_value
      - .offset:         20
        .size:           4
        .value_kind:     by_value
      - .address_space:  global
        .offset:         24
        .size:           8
        .value_kind:     global_buffer
      - .address_space:  global
        .offset:         32
        .size:           8
        .value_kind:     global_buffer
      - .address_space:  global
        .offset:         40
        .size:           8
        .value_kind:     global_buffer
      - .address_space:  global
        .offset:         48
        .size:           8
        .value_kind:     global_buffer
      - .offset:         56
        .size:           4
        .value_kind:     by_value
      - .offset:         60
        .size:           4
        .value_kind:     by_value
      - .offset:         64
        .size:           4
        .value_kind:     hidden_block_count_x
      - .offset:         68
        .size:           4
        .value_kind:     hidden_block_count_y
      - .offset:         72
        .size:           4
        .value_kind:     hidden_block_count_z
      - .offset:         76
        .size:           2
        .value_kind:     hidden_group_size_x
      - .offset:         78
        .size:           2
        .value_kind:     hidden_group_size_y
      - .offset:         80
        .size:           2
        .value_kind:     hidden_group_size_z
      - .offset:         82
        .size:           2
        .value_kind:     hidden_remainder_x
      - .offset:         84
        .size:           2
        .value_kind:     hidden_remainder_y
      - .offset:         86
        .size:           2
        .value_kind:     hidden_remainder_z
      - .offset:         104
        .size:           8
        .value_kind:     hidden_global_offset_x
      - .offset:         112
        .size:           8
        .value_kind:     hidden_global_offset_y
      - .offset:         120
        .size:           8
        .value_kind:     hidden_global_offset_z
      - .offset:         128
        .size:           2
        .value_kind:     hidden_grid_dims
      - .offset:         184
        .size:           4
        .value_kind:     hidden_dynamic_lds_size
    .group_segment_fixed_size: 0
    .kernarg_segment_align: 8
    .kernarg_segment_size: 320
    .language:       OpenCL C
    .language_version:
      - 2
      - 0
    .max_flat_workgroup_size: 1024
    .name:           _ZN12tensorrt_llm7kernels32fusedQKNormRopeKernelNTokenHeadsIN3c104HalfENS2_8BFloat16ELi128ELb0ELi4EEEvPviiifPKvS7_S7_PKlii
    .private_segment_fixed_size: 0
    .sgpr_count:     28
    .sgpr_spill_count: 0
    .symbol:         _ZN12tensorrt_llm7kernels32fusedQKNormRopeKernelNTokenHeadsIN3c104HalfENS2_8BFloat16ELi128ELb0ELi4EEEvPviiifPKvS7_S7_PKlii.kd
    .uniform_work_group_size: 1
    .uses_dynamic_stack: false
    .vgpr_count:     41
    .vgpr_spill_count: 0
    .wavefront_size: 64
  - .agpr_count:     0
    .args:
      - .address_space:  global
        .offset:         0
        .size:           8
        .value_kind:     global_buffer
      - .offset:         8
        .size:           4
        .value_kind:     by_value
      - .offset:         12
        .size:           4
        .value_kind:     by_value
      - .offset:         16
        .size:           4
        .value_kind:     by_value
      - .offset:         20
        .size:           4
        .value_kind:     by_value
      - .address_space:  global
        .offset:         24
        .size:           8
        .value_kind:     global_buffer
      - .address_space:  global
        .offset:         32
        .size:           8
        .value_kind:     global_buffer
      - .address_space:  global
        .offset:         40
        .size:           8
        .value_kind:     global_buffer
      - .address_space:  global
        .offset:         48
        .size:           8
        .value_kind:     global_buffer
      - .offset:         56
        .size:           4
        .value_kind:     by_value
      - .offset:         60
        .size:           4
        .value_kind:     by_value
      - .offset:         64
        .size:           4
        .value_kind:     hidden_block_count_x
      - .offset:         68
        .size:           4
        .value_kind:     hidden_block_count_y
      - .offset:         72
        .size:           4
        .value_kind:     hidden_block_count_z
      - .offset:         76
        .size:           2
        .value_kind:     hidden_group_size_x
      - .offset:         78
        .size:           2
        .value_kind:     hidden_group_size_y
      - .offset:         80
        .size:           2
        .value_kind:     hidden_group_size_z
      - .offset:         82
        .size:           2
        .value_kind:     hidden_remainder_x
      - .offset:         84
        .size:           2
        .value_kind:     hidden_remainder_y
      - .offset:         86
        .size:           2
        .value_kind:     hidden_remainder_z
      - .offset:         104
        .size:           8
        .value_kind:     hidden_global_offset_x
      - .offset:         112
        .size:           8
        .value_kind:     hidden_global_offset_y
      - .offset:         120
        .size:           8
        .value_kind:     hidden_global_offset_z
      - .offset:         128
        .size:           2
        .value_kind:     hidden_grid_dims
      - .offset:         184
        .size:           4
        .value_kind:     hidden_dynamic_lds_size
    .group_segment_fixed_size: 0
    .kernarg_segment_align: 8
    .kernarg_segment_size: 320
    .language:       OpenCL C
    .language_version:
      - 2
      - 0
    .max_flat_workgroup_size: 1024
    .name:           _ZN12tensorrt_llm7kernels32fusedQKNormRopeKernelNTokenHeadsIN3c104HalfENS2_8BFloat16ELi256ELb1ELi4EEEvPviiifPKvS7_S7_PKlii
    .private_segment_fixed_size: 0
    .sgpr_count:     28
    .sgpr_spill_count: 0
    .symbol:         _ZN12tensorrt_llm7kernels32fusedQKNormRopeKernelNTokenHeadsIN3c104HalfENS2_8BFloat16ELi256ELb1ELi4EEEvPviiifPKvS7_S7_PKlii.kd
    .uniform_work_group_size: 1
    .uses_dynamic_stack: false
    .vgpr_count:     52
    .vgpr_spill_count: 0
    .wavefront_size: 64
  - .agpr_count:     0
    .args:
      - .address_space:  global
        .offset:         0
        .size:           8
        .value_kind:     global_buffer
      - .offset:         8
        .size:           4
        .value_kind:     by_value
      - .offset:         12
        .size:           4
        .value_kind:     by_value
      - .offset:         16
        .size:           4
        .value_kind:     by_value
      - .offset:         20
        .size:           4
        .value_kind:     by_value
      - .address_space:  global
        .offset:         24
        .size:           8
        .value_kind:     global_buffer
      - .address_space:  global
        .offset:         32
        .size:           8
        .value_kind:     global_buffer
      - .address_space:  global
        .offset:         40
        .size:           8
        .value_kind:     global_buffer
      - .address_space:  global
        .offset:         48
        .size:           8
        .value_kind:     global_buffer
      - .offset:         56
        .size:           4
        .value_kind:     by_value
      - .offset:         60
        .size:           4
        .value_kind:     by_value
      - .offset:         64
        .size:           4
        .value_kind:     hidden_block_count_x
      - .offset:         68
        .size:           4
        .value_kind:     hidden_block_count_y
      - .offset:         72
        .size:           4
        .value_kind:     hidden_block_count_z
      - .offset:         76
        .size:           2
        .value_kind:     hidden_group_size_x
      - .offset:         78
        .size:           2
        .value_kind:     hidden_group_size_y
      - .offset:         80
        .size:           2
        .value_kind:     hidden_group_size_z
      - .offset:         82
        .size:           2
        .value_kind:     hidden_remainder_x
      - .offset:         84
        .size:           2
        .value_kind:     hidden_remainder_y
      - .offset:         86
        .size:           2
        .value_kind:     hidden_remainder_z
      - .offset:         104
        .size:           8
        .value_kind:     hidden_global_offset_x
      - .offset:         112
        .size:           8
        .value_kind:     hidden_global_offset_y
      - .offset:         120
        .size:           8
        .value_kind:     hidden_global_offset_z
      - .offset:         128
        .size:           2
        .value_kind:     hidden_grid_dims
      - .offset:         184
        .size:           4
        .value_kind:     hidden_dynamic_lds_size
    .group_segment_fixed_size: 0
    .kernarg_segment_align: 8
    .kernarg_segment_size: 320
    .language:       OpenCL C
    .language_version:
      - 2
      - 0
    .max_flat_workgroup_size: 1024
    .name:           _ZN12tensorrt_llm7kernels32fusedQKNormRopeKernelNTokenHeadsIN3c104HalfENS2_8BFloat16ELi256ELb0ELi4EEEvPviiifPKvS7_S7_PKlii
    .private_segment_fixed_size: 0
    .sgpr_count:     28
    .sgpr_spill_count: 0
    .symbol:         _ZN12tensorrt_llm7kernels32fusedQKNormRopeKernelNTokenHeadsIN3c104HalfENS2_8BFloat16ELi256ELb0ELi4EEEvPviiifPKvS7_S7_PKlii.kd
    .uniform_work_group_size: 1
    .uses_dynamic_stack: false
    .vgpr_count:     61
    .vgpr_spill_count: 0
    .wavefront_size: 64
  - .agpr_count:     0
    .args:
      - .address_space:  global
        .offset:         0
        .size:           8
        .value_kind:     global_buffer
      - .offset:         8
        .size:           4
        .value_kind:     by_value
      - .offset:         12
        .size:           4
        .value_kind:     by_value
      - .offset:         16
        .size:           4
        .value_kind:     by_value
      - .offset:         20
        .size:           4
        .value_kind:     by_value
      - .address_space:  global
        .offset:         24
        .size:           8
        .value_kind:     global_buffer
      - .address_space:  global
        .offset:         32
        .size:           8
        .value_kind:     global_buffer
      - .address_space:  global
        .offset:         40
        .size:           8
        .value_kind:     global_buffer
      - .address_space:  global
        .offset:         48
        .size:           8
        .value_kind:     global_buffer
      - .offset:         56
        .size:           4
        .value_kind:     by_value
      - .offset:         60
        .size:           4
        .value_kind:     by_value
      - .offset:         64
        .size:           4
        .value_kind:     hidden_block_count_x
      - .offset:         68
        .size:           4
        .value_kind:     hidden_block_count_y
      - .offset:         72
        .size:           4
        .value_kind:     hidden_block_count_z
      - .offset:         76
        .size:           2
        .value_kind:     hidden_group_size_x
      - .offset:         78
        .size:           2
        .value_kind:     hidden_group_size_y
      - .offset:         80
        .size:           2
        .value_kind:     hidden_group_size_z
      - .offset:         82
        .size:           2
        .value_kind:     hidden_remainder_x
      - .offset:         84
        .size:           2
        .value_kind:     hidden_remainder_y
      - .offset:         86
        .size:           2
        .value_kind:     hidden_remainder_z
      - .offset:         104
        .size:           8
        .value_kind:     hidden_global_offset_x
      - .offset:         112
        .size:           8
        .value_kind:     hidden_global_offset_y
      - .offset:         120
        .size:           8
        .value_kind:     hidden_global_offset_z
      - .offset:         128
        .size:           2
        .value_kind:     hidden_grid_dims
      - .offset:         184
        .size:           4
        .value_kind:     hidden_dynamic_lds_size
    .group_segment_fixed_size: 0
    .kernarg_segment_align: 8
    .kernarg_segment_size: 320
    .language:       OpenCL C
    .language_version:
      - 2
      - 0
    .max_flat_workgroup_size: 1024
    .name:           _ZN12tensorrt_llm7kernels32fusedQKNormRopeKernelNTokenHeadsIN3c104HalfENS2_8BFloat16ELi64ELb1ELi8EEEvPviiifPKvS7_S7_PKlii
    .private_segment_fixed_size: 0
    .sgpr_count:     28
    .sgpr_spill_count: 0
    .symbol:         _ZN12tensorrt_llm7kernels32fusedQKNormRopeKernelNTokenHeadsIN3c104HalfENS2_8BFloat16ELi64ELb1ELi8EEEvPviiifPKvS7_S7_PKlii.kd
    .uniform_work_group_size: 1
    .uses_dynamic_stack: false
    .vgpr_count:     25
    .vgpr_spill_count: 0
    .wavefront_size: 64
  - .agpr_count:     0
    .args:
      - .address_space:  global
        .offset:         0
        .size:           8
        .value_kind:     global_buffer
      - .offset:         8
        .size:           4
        .value_kind:     by_value
      - .offset:         12
        .size:           4
        .value_kind:     by_value
      - .offset:         16
        .size:           4
        .value_kind:     by_value
      - .offset:         20
        .size:           4
        .value_kind:     by_value
      - .address_space:  global
        .offset:         24
        .size:           8
        .value_kind:     global_buffer
      - .address_space:  global
        .offset:         32
        .size:           8
        .value_kind:     global_buffer
      - .address_space:  global
        .offset:         40
        .size:           8
        .value_kind:     global_buffer
      - .address_space:  global
        .offset:         48
        .size:           8
        .value_kind:     global_buffer
      - .offset:         56
        .size:           4
        .value_kind:     by_value
      - .offset:         60
        .size:           4
        .value_kind:     by_value
      - .offset:         64
        .size:           4
        .value_kind:     hidden_block_count_x
      - .offset:         68
        .size:           4
        .value_kind:     hidden_block_count_y
      - .offset:         72
        .size:           4
        .value_kind:     hidden_block_count_z
      - .offset:         76
        .size:           2
        .value_kind:     hidden_group_size_x
      - .offset:         78
        .size:           2
        .value_kind:     hidden_group_size_y
      - .offset:         80
        .size:           2
        .value_kind:     hidden_group_size_z
      - .offset:         82
        .size:           2
        .value_kind:     hidden_remainder_x
      - .offset:         84
        .size:           2
        .value_kind:     hidden_remainder_y
      - .offset:         86
        .size:           2
        .value_kind:     hidden_remainder_z
      - .offset:         104
        .size:           8
        .value_kind:     hidden_global_offset_x
      - .offset:         112
        .size:           8
        .value_kind:     hidden_global_offset_y
      - .offset:         120
        .size:           8
        .value_kind:     hidden_global_offset_z
      - .offset:         128
        .size:           2
        .value_kind:     hidden_grid_dims
      - .offset:         184
        .size:           4
        .value_kind:     hidden_dynamic_lds_size
    .group_segment_fixed_size: 0
    .kernarg_segment_align: 8
    .kernarg_segment_size: 320
    .language:       OpenCL C
    .language_version:
      - 2
      - 0
    .max_flat_workgroup_size: 1024
    .name:           _ZN12tensorrt_llm7kernels32fusedQKNormRopeKernelNTokenHeadsIN3c104HalfENS2_8BFloat16ELi64ELb0ELi8EEEvPviiifPKvS7_S7_PKlii
    .private_segment_fixed_size: 0
    .sgpr_count:     28
    .sgpr_spill_count: 0
    .symbol:         _ZN12tensorrt_llm7kernels32fusedQKNormRopeKernelNTokenHeadsIN3c104HalfENS2_8BFloat16ELi64ELb0ELi8EEEvPviiifPKvS7_S7_PKlii.kd
    .uniform_work_group_size: 1
    .uses_dynamic_stack: false
    .vgpr_count:     28
    .vgpr_spill_count: 0
    .wavefront_size: 64
  - .agpr_count:     0
    .args:
      - .address_space:  global
        .offset:         0
        .size:           8
        .value_kind:     global_buffer
      - .offset:         8
        .size:           4
        .value_kind:     by_value
      - .offset:         12
        .size:           4
        .value_kind:     by_value
      - .offset:         16
        .size:           4
        .value_kind:     by_value
      - .offset:         20
        .size:           4
        .value_kind:     by_value
      - .address_space:  global
        .offset:         24
        .size:           8
        .value_kind:     global_buffer
      - .address_space:  global
        .offset:         32
        .size:           8
        .value_kind:     global_buffer
      - .address_space:  global
        .offset:         40
        .size:           8
        .value_kind:     global_buffer
      - .address_space:  global
        .offset:         48
        .size:           8
        .value_kind:     global_buffer
      - .offset:         56
        .size:           4
        .value_kind:     by_value
      - .offset:         60
        .size:           4
        .value_kind:     by_value
      - .offset:         64
        .size:           4
        .value_kind:     hidden_block_count_x
      - .offset:         68
        .size:           4
        .value_kind:     hidden_block_count_y
      - .offset:         72
        .size:           4
        .value_kind:     hidden_block_count_z
      - .offset:         76
        .size:           2
        .value_kind:     hidden_group_size_x
      - .offset:         78
        .size:           2
        .value_kind:     hidden_group_size_y
      - .offset:         80
        .size:           2
        .value_kind:     hidden_group_size_z
      - .offset:         82
        .size:           2
        .value_kind:     hidden_remainder_x
      - .offset:         84
        .size:           2
        .value_kind:     hidden_remainder_y
      - .offset:         86
        .size:           2
        .value_kind:     hidden_remainder_z
      - .offset:         104
        .size:           8
        .value_kind:     hidden_global_offset_x
      - .offset:         112
        .size:           8
        .value_kind:     hidden_global_offset_y
      - .offset:         120
        .size:           8
        .value_kind:     hidden_global_offset_z
      - .offset:         128
        .size:           2
        .value_kind:     hidden_grid_dims
      - .offset:         184
        .size:           4
        .value_kind:     hidden_dynamic_lds_size
    .group_segment_fixed_size: 0
    .kernarg_segment_align: 8
    .kernarg_segment_size: 320
    .language:       OpenCL C
    .language_version:
      - 2
      - 0
    .max_flat_workgroup_size: 1024
    .name:           _ZN12tensorrt_llm7kernels32fusedQKNormRopeKernelNTokenHeadsIN3c104HalfENS2_8BFloat16ELi128ELb1ELi8EEEvPviiifPKvS7_S7_PKlii
    .private_segment_fixed_size: 0
    .sgpr_count:     28
    .sgpr_spill_count: 0
    .symbol:         _ZN12tensorrt_llm7kernels32fusedQKNormRopeKernelNTokenHeadsIN3c104HalfENS2_8BFloat16ELi128ELb1ELi8EEEvPviiifPKvS7_S7_PKlii.kd
    .uniform_work_group_size: 1
    .uses_dynamic_stack: false
    .vgpr_count:     36
    .vgpr_spill_count: 0
    .wavefront_size: 64
  - .agpr_count:     0
    .args:
      - .address_space:  global
        .offset:         0
        .size:           8
        .value_kind:     global_buffer
      - .offset:         8
        .size:           4
        .value_kind:     by_value
      - .offset:         12
        .size:           4
        .value_kind:     by_value
      - .offset:         16
        .size:           4
        .value_kind:     by_value
      - .offset:         20
        .size:           4
        .value_kind:     by_value
      - .address_space:  global
        .offset:         24
        .size:           8
        .value_kind:     global_buffer
      - .address_space:  global
        .offset:         32
        .size:           8
        .value_kind:     global_buffer
      - .address_space:  global
        .offset:         40
        .size:           8
        .value_kind:     global_buffer
      - .address_space:  global
        .offset:         48
        .size:           8
        .value_kind:     global_buffer
      - .offset:         56
        .size:           4
        .value_kind:     by_value
      - .offset:         60
        .size:           4
        .value_kind:     by_value
      - .offset:         64
        .size:           4
        .value_kind:     hidden_block_count_x
      - .offset:         68
        .size:           4
        .value_kind:     hidden_block_count_y
      - .offset:         72
        .size:           4
        .value_kind:     hidden_block_count_z
      - .offset:         76
        .size:           2
        .value_kind:     hidden_group_size_x
      - .offset:         78
        .size:           2
        .value_kind:     hidden_group_size_y
      - .offset:         80
        .size:           2
        .value_kind:     hidden_group_size_z
      - .offset:         82
        .size:           2
        .value_kind:     hidden_remainder_x
      - .offset:         84
        .size:           2
        .value_kind:     hidden_remainder_y
      - .offset:         86
        .size:           2
        .value_kind:     hidden_remainder_z
      - .offset:         104
        .size:           8
        .value_kind:     hidden_global_offset_x
      - .offset:         112
        .size:           8
        .value_kind:     hidden_global_offset_y
      - .offset:         120
        .size:           8
        .value_kind:     hidden_global_offset_z
      - .offset:         128
        .size:           2
        .value_kind:     hidden_grid_dims
      - .offset:         184
        .size:           4
        .value_kind:     hidden_dynamic_lds_size
    .group_segment_fixed_size: 0
    .kernarg_segment_align: 8
    .kernarg_segment_size: 320
    .language:       OpenCL C
    .language_version:
      - 2
      - 0
    .max_flat_workgroup_size: 1024
    .name:           _ZN12tensorrt_llm7kernels32fusedQKNormRopeKernelNTokenHeadsIN3c104HalfENS2_8BFloat16ELi128ELb0ELi8EEEvPviiifPKvS7_S7_PKlii
    .private_segment_fixed_size: 0
    .sgpr_count:     28
    .sgpr_spill_count: 0
    .symbol:         _ZN12tensorrt_llm7kernels32fusedQKNormRopeKernelNTokenHeadsIN3c104HalfENS2_8BFloat16ELi128ELb0ELi8EEEvPviiifPKvS7_S7_PKlii.kd
    .uniform_work_group_size: 1
    .uses_dynamic_stack: false
    .vgpr_count:     41
    .vgpr_spill_count: 0
    .wavefront_size: 64
  - .agpr_count:     0
    .args:
      - .address_space:  global
        .offset:         0
        .size:           8
        .value_kind:     global_buffer
      - .offset:         8
        .size:           4
        .value_kind:     by_value
      - .offset:         12
        .size:           4
        .value_kind:     by_value
      - .offset:         16
        .size:           4
        .value_kind:     by_value
      - .offset:         20
        .size:           4
        .value_kind:     by_value
      - .address_space:  global
        .offset:         24
        .size:           8
        .value_kind:     global_buffer
      - .address_space:  global
        .offset:         32
        .size:           8
        .value_kind:     global_buffer
      - .address_space:  global
        .offset:         40
        .size:           8
        .value_kind:     global_buffer
      - .address_space:  global
        .offset:         48
        .size:           8
        .value_kind:     global_buffer
      - .offset:         56
        .size:           4
        .value_kind:     by_value
      - .offset:         60
        .size:           4
        .value_kind:     by_value
      - .offset:         64
        .size:           4
        .value_kind:     hidden_block_count_x
      - .offset:         68
        .size:           4
        .value_kind:     hidden_block_count_y
      - .offset:         72
        .size:           4
        .value_kind:     hidden_block_count_z
      - .offset:         76
        .size:           2
        .value_kind:     hidden_group_size_x
      - .offset:         78
        .size:           2
        .value_kind:     hidden_group_size_y
      - .offset:         80
        .size:           2
        .value_kind:     hidden_group_size_z
      - .offset:         82
        .size:           2
        .value_kind:     hidden_remainder_x
      - .offset:         84
        .size:           2
        .value_kind:     hidden_remainder_y
      - .offset:         86
        .size:           2
        .value_kind:     hidden_remainder_z
      - .offset:         104
        .size:           8
        .value_kind:     hidden_global_offset_x
      - .offset:         112
        .size:           8
        .value_kind:     hidden_global_offset_y
      - .offset:         120
        .size:           8
        .value_kind:     hidden_global_offset_z
      - .offset:         128
        .size:           2
        .value_kind:     hidden_grid_dims
      - .offset:         184
        .size:           4
        .value_kind:     hidden_dynamic_lds_size
    .group_segment_fixed_size: 0
    .kernarg_segment_align: 8
    .kernarg_segment_size: 320
    .language:       OpenCL C
    .language_version:
      - 2
      - 0
    .max_flat_workgroup_size: 1024
    .name:           _ZN12tensorrt_llm7kernels32fusedQKNormRopeKernelNTokenHeadsIN3c104HalfENS2_8BFloat16ELi256ELb1ELi8EEEvPviiifPKvS7_S7_PKlii
    .private_segment_fixed_size: 0
    .sgpr_count:     28
    .sgpr_spill_count: 0
    .symbol:         _ZN12tensorrt_llm7kernels32fusedQKNormRopeKernelNTokenHeadsIN3c104HalfENS2_8BFloat16ELi256ELb1ELi8EEEvPviiifPKvS7_S7_PKlii.kd
    .uniform_work_group_size: 1
    .uses_dynamic_stack: false
    .vgpr_count:     52
    .vgpr_spill_count: 0
    .wavefront_size: 64
  - .agpr_count:     0
    .args:
      - .address_space:  global
        .offset:         0
        .size:           8
        .value_kind:     global_buffer
      - .offset:         8
        .size:           4
        .value_kind:     by_value
      - .offset:         12
        .size:           4
        .value_kind:     by_value
      - .offset:         16
        .size:           4
        .value_kind:     by_value
      - .offset:         20
        .size:           4
        .value_kind:     by_value
      - .address_space:  global
        .offset:         24
        .size:           8
        .value_kind:     global_buffer
      - .address_space:  global
        .offset:         32
        .size:           8
        .value_kind:     global_buffer
      - .address_space:  global
        .offset:         40
        .size:           8
        .value_kind:     global_buffer
      - .address_space:  global
        .offset:         48
        .size:           8
        .value_kind:     global_buffer
      - .offset:         56
        .size:           4
        .value_kind:     by_value
      - .offset:         60
        .size:           4
        .value_kind:     by_value
      - .offset:         64
        .size:           4
        .value_kind:     hidden_block_count_x
      - .offset:         68
        .size:           4
        .value_kind:     hidden_block_count_y
      - .offset:         72
        .size:           4
        .value_kind:     hidden_block_count_z
      - .offset:         76
        .size:           2
        .value_kind:     hidden_group_size_x
      - .offset:         78
        .size:           2
        .value_kind:     hidden_group_size_y
      - .offset:         80
        .size:           2
        .value_kind:     hidden_group_size_z
      - .offset:         82
        .size:           2
        .value_kind:     hidden_remainder_x
      - .offset:         84
        .size:           2
        .value_kind:     hidden_remainder_y
      - .offset:         86
        .size:           2
        .value_kind:     hidden_remainder_z
      - .offset:         104
        .size:           8
        .value_kind:     hidden_global_offset_x
      - .offset:         112
        .size:           8
        .value_kind:     hidden_global_offset_y
      - .offset:         120
        .size:           8
        .value_kind:     hidden_global_offset_z
      - .offset:         128
        .size:           2
        .value_kind:     hidden_grid_dims
      - .offset:         184
        .size:           4
        .value_kind:     hidden_dynamic_lds_size
    .group_segment_fixed_size: 0
    .kernarg_segment_align: 8
    .kernarg_segment_size: 320
    .language:       OpenCL C
    .language_version:
      - 2
      - 0
    .max_flat_workgroup_size: 1024
    .name:           _ZN12tensorrt_llm7kernels32fusedQKNormRopeKernelNTokenHeadsIN3c104HalfENS2_8BFloat16ELi256ELb0ELi8EEEvPviiifPKvS7_S7_PKlii
    .private_segment_fixed_size: 0
    .sgpr_count:     28
    .sgpr_spill_count: 0
    .symbol:         _ZN12tensorrt_llm7kernels32fusedQKNormRopeKernelNTokenHeadsIN3c104HalfENS2_8BFloat16ELi256ELb0ELi8EEEvPviiifPKvS7_S7_PKlii.kd
    .uniform_work_group_size: 1
    .uses_dynamic_stack: false
    .vgpr_count:     61
    .vgpr_spill_count: 0
    .wavefront_size: 64
  - .agpr_count:     0
    .args:
      - .address_space:  global
        .offset:         0
        .size:           8
        .value_kind:     global_buffer
      - .offset:         8
        .size:           4
        .value_kind:     by_value
      - .offset:         12
        .size:           4
        .value_kind:     by_value
      - .offset:         16
        .size:           4
        .value_kind:     by_value
      - .offset:         20
        .size:           4
        .value_kind:     by_value
      - .address_space:  global
        .offset:         24
        .size:           8
        .value_kind:     global_buffer
      - .address_space:  global
        .offset:         32
        .size:           8
        .value_kind:     global_buffer
      - .address_space:  global
        .offset:         40
        .size:           8
        .value_kind:     global_buffer
      - .address_space:  global
        .offset:         48
        .size:           8
        .value_kind:     global_buffer
      - .offset:         56
        .size:           4
        .value_kind:     by_value
      - .offset:         60
        .size:           4
        .value_kind:     by_value
      - .offset:         64
        .size:           4
        .value_kind:     hidden_block_count_x
      - .offset:         68
        .size:           4
        .value_kind:     hidden_block_count_y
      - .offset:         72
        .size:           4
        .value_kind:     hidden_block_count_z
      - .offset:         76
        .size:           2
        .value_kind:     hidden_group_size_x
      - .offset:         78
        .size:           2
        .value_kind:     hidden_group_size_y
      - .offset:         80
        .size:           2
        .value_kind:     hidden_group_size_z
      - .offset:         82
        .size:           2
        .value_kind:     hidden_remainder_x
      - .offset:         84
        .size:           2
        .value_kind:     hidden_remainder_y
      - .offset:         86
        .size:           2
        .value_kind:     hidden_remainder_z
      - .offset:         104
        .size:           8
        .value_kind:     hidden_global_offset_x
      - .offset:         112
        .size:           8
        .value_kind:     hidden_global_offset_y
      - .offset:         120
        .size:           8
        .value_kind:     hidden_global_offset_z
      - .offset:         128
        .size:           2
        .value_kind:     hidden_grid_dims
    .group_segment_fixed_size: 0
    .kernarg_segment_align: 8
    .kernarg_segment_size: 320
    .language:       OpenCL C
    .language_version:
      - 2
      - 0
    .max_flat_workgroup_size: 1024
    .name:           _ZN12tensorrt_llm7kernels21fusedQKNormRopeKernelIN3c108BFloat16EfLi64ELb1EEEvPviiifPKvS6_S6_PKlii
    .private_segment_fixed_size: 0
    .sgpr_count:     18
    .sgpr_spill_count: 0
    .symbol:         _ZN12tensorrt_llm7kernels21fusedQKNormRopeKernelIN3c108BFloat16EfLi64ELb1EEEvPviiifPKvS6_S6_PKlii.kd
    .uniform_work_group_size: 1
    .uses_dynamic_stack: false
    .vgpr_count:     14
    .vgpr_spill_count: 0
    .wavefront_size: 64
  - .agpr_count:     0
    .args:
      - .address_space:  global
        .offset:         0
        .size:           8
        .value_kind:     global_buffer
      - .offset:         8
        .size:           4
        .value_kind:     by_value
      - .offset:         12
        .size:           4
        .value_kind:     by_value
      - .offset:         16
        .size:           4
        .value_kind:     by_value
      - .offset:         20
        .size:           4
        .value_kind:     by_value
      - .address_space:  global
        .offset:         24
        .size:           8
        .value_kind:     global_buffer
      - .address_space:  global
        .offset:         32
        .size:           8
        .value_kind:     global_buffer
      - .address_space:  global
        .offset:         40
        .size:           8
        .value_kind:     global_buffer
      - .address_space:  global
        .offset:         48
        .size:           8
        .value_kind:     global_buffer
      - .offset:         56
        .size:           4
        .value_kind:     by_value
      - .offset:         60
        .size:           4
        .value_kind:     by_value
      - .offset:         64
        .size:           4
        .value_kind:     hidden_block_count_x
      - .offset:         68
        .size:           4
        .value_kind:     hidden_block_count_y
      - .offset:         72
        .size:           4
        .value_kind:     hidden_block_count_z
      - .offset:         76
        .size:           2
        .value_kind:     hidden_group_size_x
      - .offset:         78
        .size:           2
        .value_kind:     hidden_group_size_y
      - .offset:         80
        .size:           2
        .value_kind:     hidden_group_size_z
      - .offset:         82
        .size:           2
        .value_kind:     hidden_remainder_x
      - .offset:         84
        .size:           2
        .value_kind:     hidden_remainder_y
      - .offset:         86
        .size:           2
        .value_kind:     hidden_remainder_z
      - .offset:         104
        .size:           8
        .value_kind:     hidden_global_offset_x
      - .offset:         112
        .size:           8
        .value_kind:     hidden_global_offset_y
      - .offset:         120
        .size:           8
        .value_kind:     hidden_global_offset_z
      - .offset:         128
        .size:           2
        .value_kind:     hidden_grid_dims
    .group_segment_fixed_size: 0
    .kernarg_segment_align: 8
    .kernarg_segment_size: 320
    .language:       OpenCL C
    .language_version:
      - 2
      - 0
    .max_flat_workgroup_size: 1024
    .name:           _ZN12tensorrt_llm7kernels21fusedQKNormRopeKernelIN3c108BFloat16EfLi64ELb0EEEvPviiifPKvS6_S6_PKlii
    .private_segment_fixed_size: 0
    .sgpr_count:     18
    .sgpr_spill_count: 0
    .symbol:         _ZN12tensorrt_llm7kernels21fusedQKNormRopeKernelIN3c108BFloat16EfLi64ELb0EEEvPviiifPKvS6_S6_PKlii.kd
    .uniform_work_group_size: 1
    .uses_dynamic_stack: false
    .vgpr_count:     19
    .vgpr_spill_count: 0
    .wavefront_size: 64
  - .agpr_count:     0
    .args:
      - .address_space:  global
        .offset:         0
        .size:           8
        .value_kind:     global_buffer
      - .offset:         8
        .size:           4
        .value_kind:     by_value
      - .offset:         12
        .size:           4
        .value_kind:     by_value
      - .offset:         16
        .size:           4
        .value_kind:     by_value
      - .offset:         20
        .size:           4
        .value_kind:     by_value
      - .address_space:  global
        .offset:         24
        .size:           8
        .value_kind:     global_buffer
      - .address_space:  global
        .offset:         32
        .size:           8
        .value_kind:     global_buffer
      - .address_space:  global
        .offset:         40
        .size:           8
        .value_kind:     global_buffer
      - .address_space:  global
        .offset:         48
        .size:           8
        .value_kind:     global_buffer
      - .offset:         56
        .size:           4
        .value_kind:     by_value
      - .offset:         60
        .size:           4
        .value_kind:     by_value
      - .offset:         64
        .size:           4
        .value_kind:     hidden_block_count_x
      - .offset:         68
        .size:           4
        .value_kind:     hidden_block_count_y
      - .offset:         72
        .size:           4
        .value_kind:     hidden_block_count_z
      - .offset:         76
        .size:           2
        .value_kind:     hidden_group_size_x
      - .offset:         78
        .size:           2
        .value_kind:     hidden_group_size_y
      - .offset:         80
        .size:           2
        .value_kind:     hidden_group_size_z
      - .offset:         82
        .size:           2
        .value_kind:     hidden_remainder_x
      - .offset:         84
        .size:           2
        .value_kind:     hidden_remainder_y
      - .offset:         86
        .size:           2
        .value_kind:     hidden_remainder_z
      - .offset:         104
        .size:           8
        .value_kind:     hidden_global_offset_x
      - .offset:         112
        .size:           8
        .value_kind:     hidden_global_offset_y
      - .offset:         120
        .size:           8
        .value_kind:     hidden_global_offset_z
      - .offset:         128
        .size:           2
        .value_kind:     hidden_grid_dims
    .group_segment_fixed_size: 0
    .kernarg_segment_align: 8
    .kernarg_segment_size: 320
    .language:       OpenCL C
    .language_version:
      - 2
      - 0
    .max_flat_workgroup_size: 1024
    .name:           _ZN12tensorrt_llm7kernels21fusedQKNormRopeKernelIN3c108BFloat16EfLi128ELb1EEEvPviiifPKvS6_S6_PKlii
    .private_segment_fixed_size: 0
    .sgpr_count:     18
    .sgpr_spill_count: 0
    .symbol:         _ZN12tensorrt_llm7kernels21fusedQKNormRopeKernelIN3c108BFloat16EfLi128ELb1EEEvPviiifPKvS6_S6_PKlii.kd
    .uniform_work_group_size: 1
    .uses_dynamic_stack: false
    .vgpr_count:     19
    .vgpr_spill_count: 0
    .wavefront_size: 64
  - .agpr_count:     0
    .args:
      - .address_space:  global
        .offset:         0
        .size:           8
        .value_kind:     global_buffer
      - .offset:         8
        .size:           4
        .value_kind:     by_value
      - .offset:         12
        .size:           4
        .value_kind:     by_value
      - .offset:         16
        .size:           4
        .value_kind:     by_value
      - .offset:         20
        .size:           4
        .value_kind:     by_value
      - .address_space:  global
        .offset:         24
        .size:           8
        .value_kind:     global_buffer
      - .address_space:  global
        .offset:         32
        .size:           8
        .value_kind:     global_buffer
      - .address_space:  global
        .offset:         40
        .size:           8
        .value_kind:     global_buffer
      - .address_space:  global
        .offset:         48
        .size:           8
        .value_kind:     global_buffer
      - .offset:         56
        .size:           4
        .value_kind:     by_value
      - .offset:         60
        .size:           4
        .value_kind:     by_value
      - .offset:         64
        .size:           4
        .value_kind:     hidden_block_count_x
      - .offset:         68
        .size:           4
        .value_kind:     hidden_block_count_y
      - .offset:         72
        .size:           4
        .value_kind:     hidden_block_count_z
      - .offset:         76
        .size:           2
        .value_kind:     hidden_group_size_x
      - .offset:         78
        .size:           2
        .value_kind:     hidden_group_size_y
      - .offset:         80
        .size:           2
        .value_kind:     hidden_group_size_z
      - .offset:         82
        .size:           2
        .value_kind:     hidden_remainder_x
      - .offset:         84
        .size:           2
        .value_kind:     hidden_remainder_y
      - .offset:         86
        .size:           2
        .value_kind:     hidden_remainder_z
      - .offset:         104
        .size:           8
        .value_kind:     hidden_global_offset_x
      - .offset:         112
        .size:           8
        .value_kind:     hidden_global_offset_y
      - .offset:         120
        .size:           8
        .value_kind:     hidden_global_offset_z
      - .offset:         128
        .size:           2
        .value_kind:     hidden_grid_dims
    .group_segment_fixed_size: 0
    .kernarg_segment_align: 8
    .kernarg_segment_size: 320
    .language:       OpenCL C
    .language_version:
      - 2
      - 0
    .max_flat_workgroup_size: 1024
    .name:           _ZN12tensorrt_llm7kernels21fusedQKNormRopeKernelIN3c108BFloat16EfLi128ELb0EEEvPviiifPKvS6_S6_PKlii
    .private_segment_fixed_size: 0
    .sgpr_count:     18
    .sgpr_spill_count: 0
    .symbol:         _ZN12tensorrt_llm7kernels21fusedQKNormRopeKernelIN3c108BFloat16EfLi128ELb0EEEvPviiifPKvS6_S6_PKlii.kd
    .uniform_work_group_size: 1
    .uses_dynamic_stack: false
    .vgpr_count:     34
    .vgpr_spill_count: 0
    .wavefront_size: 64
  - .agpr_count:     0
    .args:
      - .address_space:  global
        .offset:         0
        .size:           8
        .value_kind:     global_buffer
      - .offset:         8
        .size:           4
        .value_kind:     by_value
      - .offset:         12
        .size:           4
        .value_kind:     by_value
      - .offset:         16
        .size:           4
        .value_kind:     by_value
      - .offset:         20
        .size:           4
        .value_kind:     by_value
      - .address_space:  global
        .offset:         24
        .size:           8
        .value_kind:     global_buffer
      - .address_space:  global
        .offset:         32
        .size:           8
        .value_kind:     global_buffer
      - .address_space:  global
        .offset:         40
        .size:           8
        .value_kind:     global_buffer
      - .address_space:  global
        .offset:         48
        .size:           8
        .value_kind:     global_buffer
      - .offset:         56
        .size:           4
        .value_kind:     by_value
      - .offset:         60
        .size:           4
        .value_kind:     by_value
      - .offset:         64
        .size:           4
        .value_kind:     hidden_block_count_x
      - .offset:         68
        .size:           4
        .value_kind:     hidden_block_count_y
      - .offset:         72
        .size:           4
        .value_kind:     hidden_block_count_z
      - .offset:         76
        .size:           2
        .value_kind:     hidden_group_size_x
      - .offset:         78
        .size:           2
        .value_kind:     hidden_group_size_y
      - .offset:         80
        .size:           2
        .value_kind:     hidden_group_size_z
      - .offset:         82
        .size:           2
        .value_kind:     hidden_remainder_x
      - .offset:         84
        .size:           2
        .value_kind:     hidden_remainder_y
      - .offset:         86
        .size:           2
        .value_kind:     hidden_remainder_z
      - .offset:         104
        .size:           8
        .value_kind:     hidden_global_offset_x
      - .offset:         112
        .size:           8
        .value_kind:     hidden_global_offset_y
      - .offset:         120
        .size:           8
        .value_kind:     hidden_global_offset_z
      - .offset:         128
        .size:           2
        .value_kind:     hidden_grid_dims
    .group_segment_fixed_size: 0
    .kernarg_segment_align: 8
    .kernarg_segment_size: 320
    .language:       OpenCL C
    .language_version:
      - 2
      - 0
    .max_flat_workgroup_size: 1024
    .name:           _ZN12tensorrt_llm7kernels21fusedQKNormRopeKernelIN3c108BFloat16EfLi256ELb1EEEvPviiifPKvS6_S6_PKlii
    .private_segment_fixed_size: 0
    .sgpr_count:     18
    .sgpr_spill_count: 0
    .symbol:         _ZN12tensorrt_llm7kernels21fusedQKNormRopeKernelIN3c108BFloat16EfLi256ELb1EEEvPviiifPKvS6_S6_PKlii.kd
    .uniform_work_group_size: 1
    .uses_dynamic_stack: false
    .vgpr_count:     32
    .vgpr_spill_count: 0
    .wavefront_size: 64
  - .agpr_count:     0
    .args:
      - .address_space:  global
        .offset:         0
        .size:           8
        .value_kind:     global_buffer
      - .offset:         8
        .size:           4
        .value_kind:     by_value
      - .offset:         12
        .size:           4
        .value_kind:     by_value
      - .offset:         16
        .size:           4
        .value_kind:     by_value
      - .offset:         20
        .size:           4
        .value_kind:     by_value
      - .address_space:  global
        .offset:         24
        .size:           8
        .value_kind:     global_buffer
      - .address_space:  global
        .offset:         32
        .size:           8
        .value_kind:     global_buffer
      - .address_space:  global
        .offset:         40
        .size:           8
        .value_kind:     global_buffer
      - .address_space:  global
        .offset:         48
        .size:           8
        .value_kind:     global_buffer
      - .offset:         56
        .size:           4
        .value_kind:     by_value
      - .offset:         60
        .size:           4
        .value_kind:     by_value
      - .offset:         64
        .size:           4
        .value_kind:     hidden_block_count_x
      - .offset:         68
        .size:           4
        .value_kind:     hidden_block_count_y
      - .offset:         72
        .size:           4
        .value_kind:     hidden_block_count_z
      - .offset:         76
        .size:           2
        .value_kind:     hidden_group_size_x
      - .offset:         78
        .size:           2
        .value_kind:     hidden_group_size_y
      - .offset:         80
        .size:           2
        .value_kind:     hidden_group_size_z
      - .offset:         82
        .size:           2
        .value_kind:     hidden_remainder_x
      - .offset:         84
        .size:           2
        .value_kind:     hidden_remainder_y
      - .offset:         86
        .size:           2
        .value_kind:     hidden_remainder_z
      - .offset:         104
        .size:           8
        .value_kind:     hidden_global_offset_x
      - .offset:         112
        .size:           8
        .value_kind:     hidden_global_offset_y
      - .offset:         120
        .size:           8
        .value_kind:     hidden_global_offset_z
      - .offset:         128
        .size:           2
        .value_kind:     hidden_grid_dims
    .group_segment_fixed_size: 0
    .kernarg_segment_align: 8
    .kernarg_segment_size: 320
    .language:       OpenCL C
    .language_version:
      - 2
      - 0
    .max_flat_workgroup_size: 1024
    .name:           _ZN12tensorrt_llm7kernels21fusedQKNormRopeKernelIN3c108BFloat16EfLi256ELb0EEEvPviiifPKvS6_S6_PKlii
    .private_segment_fixed_size: 0
    .sgpr_count:     18
    .sgpr_spill_count: 0
    .symbol:         _ZN12tensorrt_llm7kernels21fusedQKNormRopeKernelIN3c108BFloat16EfLi256ELb0EEEvPviiifPKvS6_S6_PKlii.kd
    .uniform_work_group_size: 1
    .uses_dynamic_stack: false
    .vgpr_count:     46
    .vgpr_spill_count: 0
    .wavefront_size: 64
  - .agpr_count:     0
    .args:
      - .address_space:  global
        .offset:         0
        .size:           8
        .value_kind:     global_buffer
      - .offset:         8
        .size:           4
        .value_kind:     by_value
      - .offset:         12
        .size:           4
        .value_kind:     by_value
      - .offset:         16
        .size:           4
        .value_kind:     by_value
      - .offset:         20
        .size:           4
        .value_kind:     by_value
      - .address_space:  global
        .offset:         24
        .size:           8
        .value_kind:     global_buffer
      - .address_space:  global
        .offset:         32
        .size:           8
        .value_kind:     global_buffer
      - .address_space:  global
        .offset:         40
        .size:           8
        .value_kind:     global_buffer
      - .address_space:  global
        .offset:         48
        .size:           8
        .value_kind:     global_buffer
      - .offset:         56
        .size:           4
        .value_kind:     by_value
      - .offset:         60
        .size:           4
        .value_kind:     by_value
      - .offset:         64
        .size:           4
        .value_kind:     hidden_block_count_x
      - .offset:         68
        .size:           4
        .value_kind:     hidden_block_count_y
      - .offset:         72
        .size:           4
        .value_kind:     hidden_block_count_z
      - .offset:         76
        .size:           2
        .value_kind:     hidden_group_size_x
      - .offset:         78
        .size:           2
        .value_kind:     hidden_group_size_y
      - .offset:         80
        .size:           2
        .value_kind:     hidden_group_size_z
      - .offset:         82
        .size:           2
        .value_kind:     hidden_remainder_x
      - .offset:         84
        .size:           2
        .value_kind:     hidden_remainder_y
      - .offset:         86
        .size:           2
        .value_kind:     hidden_remainder_z
      - .offset:         104
        .size:           8
        .value_kind:     hidden_global_offset_x
      - .offset:         112
        .size:           8
        .value_kind:     hidden_global_offset_y
      - .offset:         120
        .size:           8
        .value_kind:     hidden_global_offset_z
      - .offset:         128
        .size:           2
        .value_kind:     hidden_grid_dims
      - .offset:         184
        .size:           4
        .value_kind:     hidden_dynamic_lds_size
    .group_segment_fixed_size: 0
    .kernarg_segment_align: 8
    .kernarg_segment_size: 320
    .language:       OpenCL C
    .language_version:
      - 2
      - 0
    .max_flat_workgroup_size: 1024
    .name:           _ZN12tensorrt_llm7kernels32fusedQKNormRopeKernelNTokenHeadsIN3c108BFloat16EfLi64ELb1ELi2EEEvPviiifPKvS6_S6_PKlii
    .private_segment_fixed_size: 0
    .sgpr_count:     28
    .sgpr_spill_count: 0
    .symbol:         _ZN12tensorrt_llm7kernels32fusedQKNormRopeKernelNTokenHeadsIN3c108BFloat16EfLi64ELb1ELi2EEEvPviiifPKvS6_S6_PKlii.kd
    .uniform_work_group_size: 1
    .uses_dynamic_stack: false
    .vgpr_count:     28
    .vgpr_spill_count: 0
    .wavefront_size: 64
  - .agpr_count:     0
    .args:
      - .address_space:  global
        .offset:         0
        .size:           8
        .value_kind:     global_buffer
      - .offset:         8
        .size:           4
        .value_kind:     by_value
      - .offset:         12
        .size:           4
        .value_kind:     by_value
      - .offset:         16
        .size:           4
        .value_kind:     by_value
      - .offset:         20
        .size:           4
        .value_kind:     by_value
      - .address_space:  global
        .offset:         24
        .size:           8
        .value_kind:     global_buffer
      - .address_space:  global
        .offset:         32
        .size:           8
        .value_kind:     global_buffer
      - .address_space:  global
        .offset:         40
        .size:           8
        .value_kind:     global_buffer
      - .address_space:  global
        .offset:         48
        .size:           8
        .value_kind:     global_buffer
      - .offset:         56
        .size:           4
        .value_kind:     by_value
      - .offset:         60
        .size:           4
        .value_kind:     by_value
      - .offset:         64
        .size:           4
        .value_kind:     hidden_block_count_x
      - .offset:         68
        .size:           4
        .value_kind:     hidden_block_count_y
      - .offset:         72
        .size:           4
        .value_kind:     hidden_block_count_z
      - .offset:         76
        .size:           2
        .value_kind:     hidden_group_size_x
      - .offset:         78
        .size:           2
        .value_kind:     hidden_group_size_y
      - .offset:         80
        .size:           2
        .value_kind:     hidden_group_size_z
      - .offset:         82
        .size:           2
        .value_kind:     hidden_remainder_x
      - .offset:         84
        .size:           2
        .value_kind:     hidden_remainder_y
      - .offset:         86
        .size:           2
        .value_kind:     hidden_remainder_z
      - .offset:         104
        .size:           8
        .value_kind:     hidden_global_offset_x
      - .offset:         112
        .size:           8
        .value_kind:     hidden_global_offset_y
      - .offset:         120
        .size:           8
        .value_kind:     hidden_global_offset_z
      - .offset:         128
        .size:           2
        .value_kind:     hidden_grid_dims
      - .offset:         184
        .size:           4
        .value_kind:     hidden_dynamic_lds_size
    .group_segment_fixed_size: 0
    .kernarg_segment_align: 8
    .kernarg_segment_size: 320
    .language:       OpenCL C
    .language_version:
      - 2
      - 0
    .max_flat_workgroup_size: 1024
    .name:           _ZN12tensorrt_llm7kernels32fusedQKNormRopeKernelNTokenHeadsIN3c108BFloat16EfLi64ELb0ELi2EEEvPviiifPKvS6_S6_PKlii
    .private_segment_fixed_size: 0
    .sgpr_count:     28
    .sgpr_spill_count: 0
    .symbol:         _ZN12tensorrt_llm7kernels32fusedQKNormRopeKernelNTokenHeadsIN3c108BFloat16EfLi64ELb0ELi2EEEvPviiifPKvS6_S6_PKlii.kd
    .uniform_work_group_size: 1
    .uses_dynamic_stack: false
    .vgpr_count:     28
    .vgpr_spill_count: 0
    .wavefront_size: 64
  - .agpr_count:     0
    .args:
      - .address_space:  global
        .offset:         0
        .size:           8
        .value_kind:     global_buffer
      - .offset:         8
        .size:           4
        .value_kind:     by_value
      - .offset:         12
        .size:           4
        .value_kind:     by_value
      - .offset:         16
        .size:           4
        .value_kind:     by_value
      - .offset:         20
        .size:           4
        .value_kind:     by_value
      - .address_space:  global
        .offset:         24
        .size:           8
        .value_kind:     global_buffer
      - .address_space:  global
        .offset:         32
        .size:           8
        .value_kind:     global_buffer
      - .address_space:  global
        .offset:         40
        .size:           8
        .value_kind:     global_buffer
      - .address_space:  global
        .offset:         48
        .size:           8
        .value_kind:     global_buffer
      - .offset:         56
        .size:           4
        .value_kind:     by_value
      - .offset:         60
        .size:           4
        .value_kind:     by_value
      - .offset:         64
        .size:           4
        .value_kind:     hidden_block_count_x
      - .offset:         68
        .size:           4
        .value_kind:     hidden_block_count_y
      - .offset:         72
        .size:           4
        .value_kind:     hidden_block_count_z
      - .offset:         76
        .size:           2
        .value_kind:     hidden_group_size_x
      - .offset:         78
        .size:           2
        .value_kind:     hidden_group_size_y
      - .offset:         80
        .size:           2
        .value_kind:     hidden_group_size_z
      - .offset:         82
        .size:           2
        .value_kind:     hidden_remainder_x
      - .offset:         84
        .size:           2
        .value_kind:     hidden_remainder_y
      - .offset:         86
        .size:           2
        .value_kind:     hidden_remainder_z
      - .offset:         104
        .size:           8
        .value_kind:     hidden_global_offset_x
      - .offset:         112
        .size:           8
        .value_kind:     hidden_global_offset_y
      - .offset:         120
        .size:           8
        .value_kind:     hidden_global_offset_z
      - .offset:         128
        .size:           2
        .value_kind:     hidden_grid_dims
      - .offset:         184
        .size:           4
        .value_kind:     hidden_dynamic_lds_size
    .group_segment_fixed_size: 0
    .kernarg_segment_align: 8
    .kernarg_segment_size: 320
    .language:       OpenCL C
    .language_version:
      - 2
      - 0
    .max_flat_workgroup_size: 1024
    .name:           _ZN12tensorrt_llm7kernels32fusedQKNormRopeKernelNTokenHeadsIN3c108BFloat16EfLi128ELb1ELi2EEEvPviiifPKvS6_S6_PKlii
    .private_segment_fixed_size: 0
    .sgpr_count:     28
    .sgpr_spill_count: 0
    .symbol:         _ZN12tensorrt_llm7kernels32fusedQKNormRopeKernelNTokenHeadsIN3c108BFloat16EfLi128ELb1ELi2EEEvPviiifPKvS6_S6_PKlii.kd
    .uniform_work_group_size: 1
    .uses_dynamic_stack: false
    .vgpr_count:     34
    .vgpr_spill_count: 0
    .wavefront_size: 64
  - .agpr_count:     0
    .args:
      - .address_space:  global
        .offset:         0
        .size:           8
        .value_kind:     global_buffer
      - .offset:         8
        .size:           4
        .value_kind:     by_value
      - .offset:         12
        .size:           4
        .value_kind:     by_value
      - .offset:         16
        .size:           4
        .value_kind:     by_value
      - .offset:         20
        .size:           4
        .value_kind:     by_value
      - .address_space:  global
        .offset:         24
        .size:           8
        .value_kind:     global_buffer
      - .address_space:  global
        .offset:         32
        .size:           8
        .value_kind:     global_buffer
      - .address_space:  global
        .offset:         40
        .size:           8
        .value_kind:     global_buffer
      - .address_space:  global
        .offset:         48
        .size:           8
        .value_kind:     global_buffer
      - .offset:         56
        .size:           4
        .value_kind:     by_value
      - .offset:         60
        .size:           4
        .value_kind:     by_value
      - .offset:         64
        .size:           4
        .value_kind:     hidden_block_count_x
      - .offset:         68
        .size:           4
        .value_kind:     hidden_block_count_y
      - .offset:         72
        .size:           4
        .value_kind:     hidden_block_count_z
      - .offset:         76
        .size:           2
        .value_kind:     hidden_group_size_x
      - .offset:         78
        .size:           2
        .value_kind:     hidden_group_size_y
      - .offset:         80
        .size:           2
        .value_kind:     hidden_group_size_z
      - .offset:         82
        .size:           2
        .value_kind:     hidden_remainder_x
      - .offset:         84
        .size:           2
        .value_kind:     hidden_remainder_y
      - .offset:         86
        .size:           2
        .value_kind:     hidden_remainder_z
      - .offset:         104
        .size:           8
        .value_kind:     hidden_global_offset_x
      - .offset:         112
        .size:           8
        .value_kind:     hidden_global_offset_y
      - .offset:         120
        .size:           8
        .value_kind:     hidden_global_offset_z
      - .offset:         128
        .size:           2
        .value_kind:     hidden_grid_dims
      - .offset:         184
        .size:           4
        .value_kind:     hidden_dynamic_lds_size
    .group_segment_fixed_size: 0
    .kernarg_segment_align: 8
    .kernarg_segment_size: 320
    .language:       OpenCL C
    .language_version:
      - 2
      - 0
    .max_flat_workgroup_size: 1024
    .name:           _ZN12tensorrt_llm7kernels32fusedQKNormRopeKernelNTokenHeadsIN3c108BFloat16EfLi128ELb0ELi2EEEvPviiifPKvS6_S6_PKlii
    .private_segment_fixed_size: 0
    .sgpr_count:     28
    .sgpr_spill_count: 0
    .symbol:         _ZN12tensorrt_llm7kernels32fusedQKNormRopeKernelNTokenHeadsIN3c108BFloat16EfLi128ELb0ELi2EEEvPviiifPKvS6_S6_PKlii.kd
    .uniform_work_group_size: 1
    .uses_dynamic_stack: false
    .vgpr_count:     42
    .vgpr_spill_count: 0
    .wavefront_size: 64
  - .agpr_count:     0
    .args:
      - .address_space:  global
        .offset:         0
        .size:           8
        .value_kind:     global_buffer
      - .offset:         8
        .size:           4
        .value_kind:     by_value
      - .offset:         12
        .size:           4
        .value_kind:     by_value
      - .offset:         16
        .size:           4
        .value_kind:     by_value
      - .offset:         20
        .size:           4
        .value_kind:     by_value
      - .address_space:  global
        .offset:         24
        .size:           8
        .value_kind:     global_buffer
      - .address_space:  global
        .offset:         32
        .size:           8
        .value_kind:     global_buffer
      - .address_space:  global
        .offset:         40
        .size:           8
        .value_kind:     global_buffer
      - .address_space:  global
        .offset:         48
        .size:           8
        .value_kind:     global_buffer
      - .offset:         56
        .size:           4
        .value_kind:     by_value
      - .offset:         60
        .size:           4
        .value_kind:     by_value
      - .offset:         64
        .size:           4
        .value_kind:     hidden_block_count_x
      - .offset:         68
        .size:           4
        .value_kind:     hidden_block_count_y
      - .offset:         72
        .size:           4
        .value_kind:     hidden_block_count_z
      - .offset:         76
        .size:           2
        .value_kind:     hidden_group_size_x
      - .offset:         78
        .size:           2
        .value_kind:     hidden_group_size_y
      - .offset:         80
        .size:           2
        .value_kind:     hidden_group_size_z
      - .offset:         82
        .size:           2
        .value_kind:     hidden_remainder_x
      - .offset:         84
        .size:           2
        .value_kind:     hidden_remainder_y
      - .offset:         86
        .size:           2
        .value_kind:     hidden_remainder_z
      - .offset:         104
        .size:           8
        .value_kind:     hidden_global_offset_x
      - .offset:         112
        .size:           8
        .value_kind:     hidden_global_offset_y
      - .offset:         120
        .size:           8
        .value_kind:     hidden_global_offset_z
      - .offset:         128
        .size:           2
        .value_kind:     hidden_grid_dims
      - .offset:         184
        .size:           4
        .value_kind:     hidden_dynamic_lds_size
    .group_segment_fixed_size: 0
    .kernarg_segment_align: 8
    .kernarg_segment_size: 320
    .language:       OpenCL C
    .language_version:
      - 2
      - 0
    .max_flat_workgroup_size: 1024
    .name:           _ZN12tensorrt_llm7kernels32fusedQKNormRopeKernelNTokenHeadsIN3c108BFloat16EfLi256ELb1ELi2EEEvPviiifPKvS6_S6_PKlii
    .private_segment_fixed_size: 0
    .sgpr_count:     28
    .sgpr_spill_count: 0
    .symbol:         _ZN12tensorrt_llm7kernels32fusedQKNormRopeKernelNTokenHeadsIN3c108BFloat16EfLi256ELb1ELi2EEEvPviiifPKvS6_S6_PKlii.kd
    .uniform_work_group_size: 1
    .uses_dynamic_stack: false
    .vgpr_count:     52
    .vgpr_spill_count: 0
    .wavefront_size: 64
  - .agpr_count:     0
    .args:
      - .address_space:  global
        .offset:         0
        .size:           8
        .value_kind:     global_buffer
      - .offset:         8
        .size:           4
        .value_kind:     by_value
      - .offset:         12
        .size:           4
        .value_kind:     by_value
      - .offset:         16
        .size:           4
        .value_kind:     by_value
      - .offset:         20
        .size:           4
        .value_kind:     by_value
      - .address_space:  global
        .offset:         24
        .size:           8
        .value_kind:     global_buffer
      - .address_space:  global
        .offset:         32
        .size:           8
        .value_kind:     global_buffer
      - .address_space:  global
        .offset:         40
        .size:           8
        .value_kind:     global_buffer
      - .address_space:  global
        .offset:         48
        .size:           8
        .value_kind:     global_buffer
      - .offset:         56
        .size:           4
        .value_kind:     by_value
      - .offset:         60
        .size:           4
        .value_kind:     by_value
      - .offset:         64
        .size:           4
        .value_kind:     hidden_block_count_x
      - .offset:         68
        .size:           4
        .value_kind:     hidden_block_count_y
      - .offset:         72
        .size:           4
        .value_kind:     hidden_block_count_z
      - .offset:         76
        .size:           2
        .value_kind:     hidden_group_size_x
      - .offset:         78
        .size:           2
        .value_kind:     hidden_group_size_y
      - .offset:         80
        .size:           2
        .value_kind:     hidden_group_size_z
      - .offset:         82
        .size:           2
        .value_kind:     hidden_remainder_x
      - .offset:         84
        .size:           2
        .value_kind:     hidden_remainder_y
      - .offset:         86
        .size:           2
        .value_kind:     hidden_remainder_z
      - .offset:         104
        .size:           8
        .value_kind:     hidden_global_offset_x
      - .offset:         112
        .size:           8
        .value_kind:     hidden_global_offset_y
      - .offset:         120
        .size:           8
        .value_kind:     hidden_global_offset_z
      - .offset:         128
        .size:           2
        .value_kind:     hidden_grid_dims
      - .offset:         184
        .size:           4
        .value_kind:     hidden_dynamic_lds_size
    .group_segment_fixed_size: 0
    .kernarg_segment_align: 8
    .kernarg_segment_size: 320
    .language:       OpenCL C
    .language_version:
      - 2
      - 0
    .max_flat_workgroup_size: 1024
    .name:           _ZN12tensorrt_llm7kernels32fusedQKNormRopeKernelNTokenHeadsIN3c108BFloat16EfLi256ELb0ELi2EEEvPviiifPKvS6_S6_PKlii
    .private_segment_fixed_size: 0
    .sgpr_count:     28
    .sgpr_spill_count: 0
    .symbol:         _ZN12tensorrt_llm7kernels32fusedQKNormRopeKernelNTokenHeadsIN3c108BFloat16EfLi256ELb0ELi2EEEvPviiifPKvS6_S6_PKlii.kd
    .uniform_work_group_size: 1
    .uses_dynamic_stack: false
    .vgpr_count:     62
    .vgpr_spill_count: 0
    .wavefront_size: 64
  - .agpr_count:     0
    .args:
      - .address_space:  global
        .offset:         0
        .size:           8
        .value_kind:     global_buffer
      - .offset:         8
        .size:           4
        .value_kind:     by_value
      - .offset:         12
        .size:           4
        .value_kind:     by_value
      - .offset:         16
        .size:           4
        .value_kind:     by_value
      - .offset:         20
        .size:           4
        .value_kind:     by_value
      - .address_space:  global
        .offset:         24
        .size:           8
        .value_kind:     global_buffer
      - .address_space:  global
        .offset:         32
        .size:           8
        .value_kind:     global_buffer
      - .address_space:  global
        .offset:         40
        .size:           8
        .value_kind:     global_buffer
      - .address_space:  global
        .offset:         48
        .size:           8
        .value_kind:     global_buffer
      - .offset:         56
        .size:           4
        .value_kind:     by_value
      - .offset:         60
        .size:           4
        .value_kind:     by_value
      - .offset:         64
        .size:           4
        .value_kind:     hidden_block_count_x
      - .offset:         68
        .size:           4
        .value_kind:     hidden_block_count_y
      - .offset:         72
        .size:           4
        .value_kind:     hidden_block_count_z
      - .offset:         76
        .size:           2
        .value_kind:     hidden_group_size_x
      - .offset:         78
        .size:           2
        .value_kind:     hidden_group_size_y
      - .offset:         80
        .size:           2
        .value_kind:     hidden_group_size_z
      - .offset:         82
        .size:           2
        .value_kind:     hidden_remainder_x
      - .offset:         84
        .size:           2
        .value_kind:     hidden_remainder_y
      - .offset:         86
        .size:           2
        .value_kind:     hidden_remainder_z
      - .offset:         104
        .size:           8
        .value_kind:     hidden_global_offset_x
      - .offset:         112
        .size:           8
        .value_kind:     hidden_global_offset_y
      - .offset:         120
        .size:           8
        .value_kind:     hidden_global_offset_z
      - .offset:         128
        .size:           2
        .value_kind:     hidden_grid_dims
      - .offset:         184
        .size:           4
        .value_kind:     hidden_dynamic_lds_size
    .group_segment_fixed_size: 0
    .kernarg_segment_align: 8
    .kernarg_segment_size: 320
    .language:       OpenCL C
    .language_version:
      - 2
      - 0
    .max_flat_workgroup_size: 1024
    .name:           _ZN12tensorrt_llm7kernels32fusedQKNormRopeKernelNTokenHeadsIN3c108BFloat16EfLi64ELb1ELi4EEEvPviiifPKvS6_S6_PKlii
    .private_segment_fixed_size: 0
    .sgpr_count:     28
    .sgpr_spill_count: 0
    .symbol:         _ZN12tensorrt_llm7kernels32fusedQKNormRopeKernelNTokenHeadsIN3c108BFloat16EfLi64ELb1ELi4EEEvPviiifPKvS6_S6_PKlii.kd
    .uniform_work_group_size: 1
    .uses_dynamic_stack: false
    .vgpr_count:     28
    .vgpr_spill_count: 0
    .wavefront_size: 64
  - .agpr_count:     0
    .args:
      - .address_space:  global
        .offset:         0
        .size:           8
        .value_kind:     global_buffer
      - .offset:         8
        .size:           4
        .value_kind:     by_value
      - .offset:         12
        .size:           4
        .value_kind:     by_value
      - .offset:         16
        .size:           4
        .value_kind:     by_value
      - .offset:         20
        .size:           4
        .value_kind:     by_value
      - .address_space:  global
        .offset:         24
        .size:           8
        .value_kind:     global_buffer
      - .address_space:  global
        .offset:         32
        .size:           8
        .value_kind:     global_buffer
      - .address_space:  global
        .offset:         40
        .size:           8
        .value_kind:     global_buffer
      - .address_space:  global
        .offset:         48
        .size:           8
        .value_kind:     global_buffer
      - .offset:         56
        .size:           4
        .value_kind:     by_value
      - .offset:         60
        .size:           4
        .value_kind:     by_value
      - .offset:         64
        .size:           4
        .value_kind:     hidden_block_count_x
      - .offset:         68
        .size:           4
        .value_kind:     hidden_block_count_y
      - .offset:         72
        .size:           4
        .value_kind:     hidden_block_count_z
      - .offset:         76
        .size:           2
        .value_kind:     hidden_group_size_x
      - .offset:         78
        .size:           2
        .value_kind:     hidden_group_size_y
      - .offset:         80
        .size:           2
        .value_kind:     hidden_group_size_z
      - .offset:         82
        .size:           2
        .value_kind:     hidden_remainder_x
      - .offset:         84
        .size:           2
        .value_kind:     hidden_remainder_y
      - .offset:         86
        .size:           2
        .value_kind:     hidden_remainder_z
      - .offset:         104
        .size:           8
        .value_kind:     hidden_global_offset_x
      - .offset:         112
        .size:           8
        .value_kind:     hidden_global_offset_y
      - .offset:         120
        .size:           8
        .value_kind:     hidden_global_offset_z
      - .offset:         128
        .size:           2
        .value_kind:     hidden_grid_dims
      - .offset:         184
        .size:           4
        .value_kind:     hidden_dynamic_lds_size
    .group_segment_fixed_size: 0
    .kernarg_segment_align: 8
    .kernarg_segment_size: 320
    .language:       OpenCL C
    .language_version:
      - 2
      - 0
    .max_flat_workgroup_size: 1024
    .name:           _ZN12tensorrt_llm7kernels32fusedQKNormRopeKernelNTokenHeadsIN3c108BFloat16EfLi64ELb0ELi4EEEvPviiifPKvS6_S6_PKlii
    .private_segment_fixed_size: 0
    .sgpr_count:     28
    .sgpr_spill_count: 0
    .symbol:         _ZN12tensorrt_llm7kernels32fusedQKNormRopeKernelNTokenHeadsIN3c108BFloat16EfLi64ELb0ELi4EEEvPviiifPKvS6_S6_PKlii.kd
    .uniform_work_group_size: 1
    .uses_dynamic_stack: false
    .vgpr_count:     28
    .vgpr_spill_count: 0
    .wavefront_size: 64
  - .agpr_count:     0
    .args:
      - .address_space:  global
        .offset:         0
        .size:           8
        .value_kind:     global_buffer
      - .offset:         8
        .size:           4
        .value_kind:     by_value
      - .offset:         12
        .size:           4
        .value_kind:     by_value
      - .offset:         16
        .size:           4
        .value_kind:     by_value
      - .offset:         20
        .size:           4
        .value_kind:     by_value
      - .address_space:  global
        .offset:         24
        .size:           8
        .value_kind:     global_buffer
      - .address_space:  global
        .offset:         32
        .size:           8
        .value_kind:     global_buffer
      - .address_space:  global
        .offset:         40
        .size:           8
        .value_kind:     global_buffer
      - .address_space:  global
        .offset:         48
        .size:           8
        .value_kind:     global_buffer
      - .offset:         56
        .size:           4
        .value_kind:     by_value
      - .offset:         60
        .size:           4
        .value_kind:     by_value
      - .offset:         64
        .size:           4
        .value_kind:     hidden_block_count_x
      - .offset:         68
        .size:           4
        .value_kind:     hidden_block_count_y
      - .offset:         72
        .size:           4
        .value_kind:     hidden_block_count_z
      - .offset:         76
        .size:           2
        .value_kind:     hidden_group_size_x
      - .offset:         78
        .size:           2
        .value_kind:     hidden_group_size_y
      - .offset:         80
        .size:           2
        .value_kind:     hidden_group_size_z
      - .offset:         82
        .size:           2
        .value_kind:     hidden_remainder_x
      - .offset:         84
        .size:           2
        .value_kind:     hidden_remainder_y
      - .offset:         86
        .size:           2
        .value_kind:     hidden_remainder_z
      - .offset:         104
        .size:           8
        .value_kind:     hidden_global_offset_x
      - .offset:         112
        .size:           8
        .value_kind:     hidden_global_offset_y
      - .offset:         120
        .size:           8
        .value_kind:     hidden_global_offset_z
      - .offset:         128
        .size:           2
        .value_kind:     hidden_grid_dims
      - .offset:         184
        .size:           4
        .value_kind:     hidden_dynamic_lds_size
    .group_segment_fixed_size: 0
    .kernarg_segment_align: 8
    .kernarg_segment_size: 320
    .language:       OpenCL C
    .language_version:
      - 2
      - 0
    .max_flat_workgroup_size: 1024
    .name:           _ZN12tensorrt_llm7kernels32fusedQKNormRopeKernelNTokenHeadsIN3c108BFloat16EfLi128ELb1ELi4EEEvPviiifPKvS6_S6_PKlii
    .private_segment_fixed_size: 0
    .sgpr_count:     28
    .sgpr_spill_count: 0
    .symbol:         _ZN12tensorrt_llm7kernels32fusedQKNormRopeKernelNTokenHeadsIN3c108BFloat16EfLi128ELb1ELi4EEEvPviiifPKvS6_S6_PKlii.kd
    .uniform_work_group_size: 1
    .uses_dynamic_stack: false
    .vgpr_count:     34
    .vgpr_spill_count: 0
    .wavefront_size: 64
  - .agpr_count:     0
    .args:
      - .address_space:  global
        .offset:         0
        .size:           8
        .value_kind:     global_buffer
      - .offset:         8
        .size:           4
        .value_kind:     by_value
      - .offset:         12
        .size:           4
        .value_kind:     by_value
      - .offset:         16
        .size:           4
        .value_kind:     by_value
      - .offset:         20
        .size:           4
        .value_kind:     by_value
      - .address_space:  global
        .offset:         24
        .size:           8
        .value_kind:     global_buffer
      - .address_space:  global
        .offset:         32
        .size:           8
        .value_kind:     global_buffer
      - .address_space:  global
        .offset:         40
        .size:           8
        .value_kind:     global_buffer
      - .address_space:  global
        .offset:         48
        .size:           8
        .value_kind:     global_buffer
      - .offset:         56
        .size:           4
        .value_kind:     by_value
      - .offset:         60
        .size:           4
        .value_kind:     by_value
      - .offset:         64
        .size:           4
        .value_kind:     hidden_block_count_x
      - .offset:         68
        .size:           4
        .value_kind:     hidden_block_count_y
      - .offset:         72
        .size:           4
        .value_kind:     hidden_block_count_z
      - .offset:         76
        .size:           2
        .value_kind:     hidden_group_size_x
      - .offset:         78
        .size:           2
        .value_kind:     hidden_group_size_y
      - .offset:         80
        .size:           2
        .value_kind:     hidden_group_size_z
      - .offset:         82
        .size:           2
        .value_kind:     hidden_remainder_x
      - .offset:         84
        .size:           2
        .value_kind:     hidden_remainder_y
      - .offset:         86
        .size:           2
        .value_kind:     hidden_remainder_z
      - .offset:         104
        .size:           8
        .value_kind:     hidden_global_offset_x
      - .offset:         112
        .size:           8
        .value_kind:     hidden_global_offset_y
      - .offset:         120
        .size:           8
        .value_kind:     hidden_global_offset_z
      - .offset:         128
        .size:           2
        .value_kind:     hidden_grid_dims
      - .offset:         184
        .size:           4
        .value_kind:     hidden_dynamic_lds_size
    .group_segment_fixed_size: 0
    .kernarg_segment_align: 8
    .kernarg_segment_size: 320
    .language:       OpenCL C
    .language_version:
      - 2
      - 0
    .max_flat_workgroup_size: 1024
    .name:           _ZN12tensorrt_llm7kernels32fusedQKNormRopeKernelNTokenHeadsIN3c108BFloat16EfLi128ELb0ELi4EEEvPviiifPKvS6_S6_PKlii
    .private_segment_fixed_size: 0
    .sgpr_count:     28
    .sgpr_spill_count: 0
    .symbol:         _ZN12tensorrt_llm7kernels32fusedQKNormRopeKernelNTokenHeadsIN3c108BFloat16EfLi128ELb0ELi4EEEvPviiifPKvS6_S6_PKlii.kd
    .uniform_work_group_size: 1
    .uses_dynamic_stack: false
    .vgpr_count:     42
    .vgpr_spill_count: 0
    .wavefront_size: 64
  - .agpr_count:     0
    .args:
      - .address_space:  global
        .offset:         0
        .size:           8
        .value_kind:     global_buffer
      - .offset:         8
        .size:           4
        .value_kind:     by_value
      - .offset:         12
        .size:           4
        .value_kind:     by_value
      - .offset:         16
        .size:           4
        .value_kind:     by_value
      - .offset:         20
        .size:           4
        .value_kind:     by_value
      - .address_space:  global
        .offset:         24
        .size:           8
        .value_kind:     global_buffer
      - .address_space:  global
        .offset:         32
        .size:           8
        .value_kind:     global_buffer
      - .address_space:  global
        .offset:         40
        .size:           8
        .value_kind:     global_buffer
      - .address_space:  global
        .offset:         48
        .size:           8
        .value_kind:     global_buffer
      - .offset:         56
        .size:           4
        .value_kind:     by_value
      - .offset:         60
        .size:           4
        .value_kind:     by_value
      - .offset:         64
        .size:           4
        .value_kind:     hidden_block_count_x
      - .offset:         68
        .size:           4
        .value_kind:     hidden_block_count_y
      - .offset:         72
        .size:           4
        .value_kind:     hidden_block_count_z
      - .offset:         76
        .size:           2
        .value_kind:     hidden_group_size_x
      - .offset:         78
        .size:           2
        .value_kind:     hidden_group_size_y
      - .offset:         80
        .size:           2
        .value_kind:     hidden_group_size_z
      - .offset:         82
        .size:           2
        .value_kind:     hidden_remainder_x
      - .offset:         84
        .size:           2
        .value_kind:     hidden_remainder_y
      - .offset:         86
        .size:           2
        .value_kind:     hidden_remainder_z
      - .offset:         104
        .size:           8
        .value_kind:     hidden_global_offset_x
      - .offset:         112
        .size:           8
        .value_kind:     hidden_global_offset_y
      - .offset:         120
        .size:           8
        .value_kind:     hidden_global_offset_z
      - .offset:         128
        .size:           2
        .value_kind:     hidden_grid_dims
      - .offset:         184
        .size:           4
        .value_kind:     hidden_dynamic_lds_size
    .group_segment_fixed_size: 0
    .kernarg_segment_align: 8
    .kernarg_segment_size: 320
    .language:       OpenCL C
    .language_version:
      - 2
      - 0
    .max_flat_workgroup_size: 1024
    .name:           _ZN12tensorrt_llm7kernels32fusedQKNormRopeKernelNTokenHeadsIN3c108BFloat16EfLi256ELb1ELi4EEEvPviiifPKvS6_S6_PKlii
    .private_segment_fixed_size: 0
    .sgpr_count:     28
    .sgpr_spill_count: 0
    .symbol:         _ZN12tensorrt_llm7kernels32fusedQKNormRopeKernelNTokenHeadsIN3c108BFloat16EfLi256ELb1ELi4EEEvPviiifPKvS6_S6_PKlii.kd
    .uniform_work_group_size: 1
    .uses_dynamic_stack: false
    .vgpr_count:     52
    .vgpr_spill_count: 0
    .wavefront_size: 64
  - .agpr_count:     0
    .args:
      - .address_space:  global
        .offset:         0
        .size:           8
        .value_kind:     global_buffer
      - .offset:         8
        .size:           4
        .value_kind:     by_value
      - .offset:         12
        .size:           4
        .value_kind:     by_value
      - .offset:         16
        .size:           4
        .value_kind:     by_value
      - .offset:         20
        .size:           4
        .value_kind:     by_value
      - .address_space:  global
        .offset:         24
        .size:           8
        .value_kind:     global_buffer
      - .address_space:  global
        .offset:         32
        .size:           8
        .value_kind:     global_buffer
      - .address_space:  global
        .offset:         40
        .size:           8
        .value_kind:     global_buffer
      - .address_space:  global
        .offset:         48
        .size:           8
        .value_kind:     global_buffer
      - .offset:         56
        .size:           4
        .value_kind:     by_value
      - .offset:         60
        .size:           4
        .value_kind:     by_value
      - .offset:         64
        .size:           4
        .value_kind:     hidden_block_count_x
      - .offset:         68
        .size:           4
        .value_kind:     hidden_block_count_y
      - .offset:         72
        .size:           4
        .value_kind:     hidden_block_count_z
      - .offset:         76
        .size:           2
        .value_kind:     hidden_group_size_x
      - .offset:         78
        .size:           2
        .value_kind:     hidden_group_size_y
      - .offset:         80
        .size:           2
        .value_kind:     hidden_group_size_z
      - .offset:         82
        .size:           2
        .value_kind:     hidden_remainder_x
      - .offset:         84
        .size:           2
        .value_kind:     hidden_remainder_y
      - .offset:         86
        .size:           2
        .value_kind:     hidden_remainder_z
      - .offset:         104
        .size:           8
        .value_kind:     hidden_global_offset_x
      - .offset:         112
        .size:           8
        .value_kind:     hidden_global_offset_y
      - .offset:         120
        .size:           8
        .value_kind:     hidden_global_offset_z
      - .offset:         128
        .size:           2
        .value_kind:     hidden_grid_dims
      - .offset:         184
        .size:           4
        .value_kind:     hidden_dynamic_lds_size
    .group_segment_fixed_size: 0
    .kernarg_segment_align: 8
    .kernarg_segment_size: 320
    .language:       OpenCL C
    .language_version:
      - 2
      - 0
    .max_flat_workgroup_size: 1024
    .name:           _ZN12tensorrt_llm7kernels32fusedQKNormRopeKernelNTokenHeadsIN3c108BFloat16EfLi256ELb0ELi4EEEvPviiifPKvS6_S6_PKlii
    .private_segment_fixed_size: 0
    .sgpr_count:     28
    .sgpr_spill_count: 0
    .symbol:         _ZN12tensorrt_llm7kernels32fusedQKNormRopeKernelNTokenHeadsIN3c108BFloat16EfLi256ELb0ELi4EEEvPviiifPKvS6_S6_PKlii.kd
    .uniform_work_group_size: 1
    .uses_dynamic_stack: false
    .vgpr_count:     62
    .vgpr_spill_count: 0
    .wavefront_size: 64
  - .agpr_count:     0
    .args:
      - .address_space:  global
        .offset:         0
        .size:           8
        .value_kind:     global_buffer
      - .offset:         8
        .size:           4
        .value_kind:     by_value
      - .offset:         12
        .size:           4
        .value_kind:     by_value
      - .offset:         16
        .size:           4
        .value_kind:     by_value
      - .offset:         20
        .size:           4
        .value_kind:     by_value
      - .address_space:  global
        .offset:         24
        .size:           8
        .value_kind:     global_buffer
      - .address_space:  global
        .offset:         32
        .size:           8
        .value_kind:     global_buffer
      - .address_space:  global
        .offset:         40
        .size:           8
        .value_kind:     global_buffer
      - .address_space:  global
        .offset:         48
        .size:           8
        .value_kind:     global_buffer
      - .offset:         56
        .size:           4
        .value_kind:     by_value
      - .offset:         60
        .size:           4
        .value_kind:     by_value
      - .offset:         64
        .size:           4
        .value_kind:     hidden_block_count_x
      - .offset:         68
        .size:           4
        .value_kind:     hidden_block_count_y
      - .offset:         72
        .size:           4
        .value_kind:     hidden_block_count_z
      - .offset:         76
        .size:           2
        .value_kind:     hidden_group_size_x
      - .offset:         78
        .size:           2
        .value_kind:     hidden_group_size_y
      - .offset:         80
        .size:           2
        .value_kind:     hidden_group_size_z
      - .offset:         82
        .size:           2
        .value_kind:     hidden_remainder_x
      - .offset:         84
        .size:           2
        .value_kind:     hidden_remainder_y
      - .offset:         86
        .size:           2
        .value_kind:     hidden_remainder_z
      - .offset:         104
        .size:           8
        .value_kind:     hidden_global_offset_x
      - .offset:         112
        .size:           8
        .value_kind:     hidden_global_offset_y
      - .offset:         120
        .size:           8
        .value_kind:     hidden_global_offset_z
      - .offset:         128
        .size:           2
        .value_kind:     hidden_grid_dims
      - .offset:         184
        .size:           4
        .value_kind:     hidden_dynamic_lds_size
    .group_segment_fixed_size: 0
    .kernarg_segment_align: 8
    .kernarg_segment_size: 320
    .language:       OpenCL C
    .language_version:
      - 2
      - 0
    .max_flat_workgroup_size: 1024
    .name:           _ZN12tensorrt_llm7kernels32fusedQKNormRopeKernelNTokenHeadsIN3c108BFloat16EfLi64ELb1ELi8EEEvPviiifPKvS6_S6_PKlii
    .private_segment_fixed_size: 0
    .sgpr_count:     28
    .sgpr_spill_count: 0
    .symbol:         _ZN12tensorrt_llm7kernels32fusedQKNormRopeKernelNTokenHeadsIN3c108BFloat16EfLi64ELb1ELi8EEEvPviiifPKvS6_S6_PKlii.kd
    .uniform_work_group_size: 1
    .uses_dynamic_stack: false
    .vgpr_count:     28
    .vgpr_spill_count: 0
    .wavefront_size: 64
  - .agpr_count:     0
    .args:
      - .address_space:  global
        .offset:         0
        .size:           8
        .value_kind:     global_buffer
      - .offset:         8
        .size:           4
        .value_kind:     by_value
      - .offset:         12
        .size:           4
        .value_kind:     by_value
      - .offset:         16
        .size:           4
        .value_kind:     by_value
      - .offset:         20
        .size:           4
        .value_kind:     by_value
      - .address_space:  global
        .offset:         24
        .size:           8
        .value_kind:     global_buffer
      - .address_space:  global
        .offset:         32
        .size:           8
        .value_kind:     global_buffer
      - .address_space:  global
        .offset:         40
        .size:           8
        .value_kind:     global_buffer
      - .address_space:  global
        .offset:         48
        .size:           8
        .value_kind:     global_buffer
      - .offset:         56
        .size:           4
        .value_kind:     by_value
      - .offset:         60
        .size:           4
        .value_kind:     by_value
      - .offset:         64
        .size:           4
        .value_kind:     hidden_block_count_x
      - .offset:         68
        .size:           4
        .value_kind:     hidden_block_count_y
      - .offset:         72
        .size:           4
        .value_kind:     hidden_block_count_z
      - .offset:         76
        .size:           2
        .value_kind:     hidden_group_size_x
      - .offset:         78
        .size:           2
        .value_kind:     hidden_group_size_y
      - .offset:         80
        .size:           2
        .value_kind:     hidden_group_size_z
      - .offset:         82
        .size:           2
        .value_kind:     hidden_remainder_x
      - .offset:         84
        .size:           2
        .value_kind:     hidden_remainder_y
      - .offset:         86
        .size:           2
        .value_kind:     hidden_remainder_z
      - .offset:         104
        .size:           8
        .value_kind:     hidden_global_offset_x
      - .offset:         112
        .size:           8
        .value_kind:     hidden_global_offset_y
      - .offset:         120
        .size:           8
        .value_kind:     hidden_global_offset_z
      - .offset:         128
        .size:           2
        .value_kind:     hidden_grid_dims
      - .offset:         184
        .size:           4
        .value_kind:     hidden_dynamic_lds_size
    .group_segment_fixed_size: 0
    .kernarg_segment_align: 8
    .kernarg_segment_size: 320
    .language:       OpenCL C
    .language_version:
      - 2
      - 0
    .max_flat_workgroup_size: 1024
    .name:           _ZN12tensorrt_llm7kernels32fusedQKNormRopeKernelNTokenHeadsIN3c108BFloat16EfLi64ELb0ELi8EEEvPviiifPKvS6_S6_PKlii
    .private_segment_fixed_size: 0
    .sgpr_count:     28
    .sgpr_spill_count: 0
    .symbol:         _ZN12tensorrt_llm7kernels32fusedQKNormRopeKernelNTokenHeadsIN3c108BFloat16EfLi64ELb0ELi8EEEvPviiifPKvS6_S6_PKlii.kd
    .uniform_work_group_size: 1
    .uses_dynamic_stack: false
    .vgpr_count:     28
    .vgpr_spill_count: 0
    .wavefront_size: 64
  - .agpr_count:     0
    .args:
      - .address_space:  global
        .offset:         0
        .size:           8
        .value_kind:     global_buffer
      - .offset:         8
        .size:           4
        .value_kind:     by_value
      - .offset:         12
        .size:           4
        .value_kind:     by_value
      - .offset:         16
        .size:           4
        .value_kind:     by_value
      - .offset:         20
        .size:           4
        .value_kind:     by_value
      - .address_space:  global
        .offset:         24
        .size:           8
        .value_kind:     global_buffer
      - .address_space:  global
        .offset:         32
        .size:           8
        .value_kind:     global_buffer
      - .address_space:  global
        .offset:         40
        .size:           8
        .value_kind:     global_buffer
      - .address_space:  global
        .offset:         48
        .size:           8
        .value_kind:     global_buffer
      - .offset:         56
        .size:           4
        .value_kind:     by_value
      - .offset:         60
        .size:           4
        .value_kind:     by_value
      - .offset:         64
        .size:           4
        .value_kind:     hidden_block_count_x
      - .offset:         68
        .size:           4
        .value_kind:     hidden_block_count_y
      - .offset:         72
        .size:           4
        .value_kind:     hidden_block_count_z
      - .offset:         76
        .size:           2
        .value_kind:     hidden_group_size_x
      - .offset:         78
        .size:           2
        .value_kind:     hidden_group_size_y
      - .offset:         80
        .size:           2
        .value_kind:     hidden_group_size_z
      - .offset:         82
        .size:           2
        .value_kind:     hidden_remainder_x
      - .offset:         84
        .size:           2
        .value_kind:     hidden_remainder_y
      - .offset:         86
        .size:           2
        .value_kind:     hidden_remainder_z
      - .offset:         104
        .size:           8
        .value_kind:     hidden_global_offset_x
      - .offset:         112
        .size:           8
        .value_kind:     hidden_global_offset_y
      - .offset:         120
        .size:           8
        .value_kind:     hidden_global_offset_z
      - .offset:         128
        .size:           2
        .value_kind:     hidden_grid_dims
      - .offset:         184
        .size:           4
        .value_kind:     hidden_dynamic_lds_size
    .group_segment_fixed_size: 0
    .kernarg_segment_align: 8
    .kernarg_segment_size: 320
    .language:       OpenCL C
    .language_version:
      - 2
      - 0
    .max_flat_workgroup_size: 1024
    .name:           _ZN12tensorrt_llm7kernels32fusedQKNormRopeKernelNTokenHeadsIN3c108BFloat16EfLi128ELb1ELi8EEEvPviiifPKvS6_S6_PKlii
    .private_segment_fixed_size: 0
    .sgpr_count:     28
    .sgpr_spill_count: 0
    .symbol:         _ZN12tensorrt_llm7kernels32fusedQKNormRopeKernelNTokenHeadsIN3c108BFloat16EfLi128ELb1ELi8EEEvPviiifPKvS6_S6_PKlii.kd
    .uniform_work_group_size: 1
    .uses_dynamic_stack: false
    .vgpr_count:     34
    .vgpr_spill_count: 0
    .wavefront_size: 64
  - .agpr_count:     0
    .args:
      - .address_space:  global
        .offset:         0
        .size:           8
        .value_kind:     global_buffer
      - .offset:         8
        .size:           4
        .value_kind:     by_value
      - .offset:         12
        .size:           4
        .value_kind:     by_value
      - .offset:         16
        .size:           4
        .value_kind:     by_value
      - .offset:         20
        .size:           4
        .value_kind:     by_value
      - .address_space:  global
        .offset:         24
        .size:           8
        .value_kind:     global_buffer
      - .address_space:  global
        .offset:         32
        .size:           8
        .value_kind:     global_buffer
      - .address_space:  global
        .offset:         40
        .size:           8
        .value_kind:     global_buffer
      - .address_space:  global
        .offset:         48
        .size:           8
        .value_kind:     global_buffer
      - .offset:         56
        .size:           4
        .value_kind:     by_value
      - .offset:         60
        .size:           4
        .value_kind:     by_value
      - .offset:         64
        .size:           4
        .value_kind:     hidden_block_count_x
      - .offset:         68
        .size:           4
        .value_kind:     hidden_block_count_y
      - .offset:         72
        .size:           4
        .value_kind:     hidden_block_count_z
      - .offset:         76
        .size:           2
        .value_kind:     hidden_group_size_x
      - .offset:         78
        .size:           2
        .value_kind:     hidden_group_size_y
      - .offset:         80
        .size:           2
        .value_kind:     hidden_group_size_z
      - .offset:         82
        .size:           2
        .value_kind:     hidden_remainder_x
      - .offset:         84
        .size:           2
        .value_kind:     hidden_remainder_y
      - .offset:         86
        .size:           2
        .value_kind:     hidden_remainder_z
      - .offset:         104
        .size:           8
        .value_kind:     hidden_global_offset_x
      - .offset:         112
        .size:           8
        .value_kind:     hidden_global_offset_y
      - .offset:         120
        .size:           8
        .value_kind:     hidden_global_offset_z
      - .offset:         128
        .size:           2
        .value_kind:     hidden_grid_dims
      - .offset:         184
        .size:           4
        .value_kind:     hidden_dynamic_lds_size
    .group_segment_fixed_size: 0
    .kernarg_segment_align: 8
    .kernarg_segment_size: 320
    .language:       OpenCL C
    .language_version:
      - 2
      - 0
    .max_flat_workgroup_size: 1024
    .name:           _ZN12tensorrt_llm7kernels32fusedQKNormRopeKernelNTokenHeadsIN3c108BFloat16EfLi128ELb0ELi8EEEvPviiifPKvS6_S6_PKlii
    .private_segment_fixed_size: 0
    .sgpr_count:     28
    .sgpr_spill_count: 0
    .symbol:         _ZN12tensorrt_llm7kernels32fusedQKNormRopeKernelNTokenHeadsIN3c108BFloat16EfLi128ELb0ELi8EEEvPviiifPKvS6_S6_PKlii.kd
    .uniform_work_group_size: 1
    .uses_dynamic_stack: false
    .vgpr_count:     42
    .vgpr_spill_count: 0
    .wavefront_size: 64
  - .agpr_count:     0
    .args:
      - .address_space:  global
        .offset:         0
        .size:           8
        .value_kind:     global_buffer
      - .offset:         8
        .size:           4
        .value_kind:     by_value
      - .offset:         12
        .size:           4
        .value_kind:     by_value
      - .offset:         16
        .size:           4
        .value_kind:     by_value
      - .offset:         20
        .size:           4
        .value_kind:     by_value
      - .address_space:  global
        .offset:         24
        .size:           8
        .value_kind:     global_buffer
      - .address_space:  global
        .offset:         32
        .size:           8
        .value_kind:     global_buffer
      - .address_space:  global
        .offset:         40
        .size:           8
        .value_kind:     global_buffer
      - .address_space:  global
        .offset:         48
        .size:           8
        .value_kind:     global_buffer
      - .offset:         56
        .size:           4
        .value_kind:     by_value
      - .offset:         60
        .size:           4
        .value_kind:     by_value
      - .offset:         64
        .size:           4
        .value_kind:     hidden_block_count_x
      - .offset:         68
        .size:           4
        .value_kind:     hidden_block_count_y
      - .offset:         72
        .size:           4
        .value_kind:     hidden_block_count_z
      - .offset:         76
        .size:           2
        .value_kind:     hidden_group_size_x
      - .offset:         78
        .size:           2
        .value_kind:     hidden_group_size_y
      - .offset:         80
        .size:           2
        .value_kind:     hidden_group_size_z
      - .offset:         82
        .size:           2
        .value_kind:     hidden_remainder_x
      - .offset:         84
        .size:           2
        .value_kind:     hidden_remainder_y
      - .offset:         86
        .size:           2
        .value_kind:     hidden_remainder_z
      - .offset:         104
        .size:           8
        .value_kind:     hidden_global_offset_x
      - .offset:         112
        .size:           8
        .value_kind:     hidden_global_offset_y
      - .offset:         120
        .size:           8
        .value_kind:     hidden_global_offset_z
      - .offset:         128
        .size:           2
        .value_kind:     hidden_grid_dims
      - .offset:         184
        .size:           4
        .value_kind:     hidden_dynamic_lds_size
    .group_segment_fixed_size: 0
    .kernarg_segment_align: 8
    .kernarg_segment_size: 320
    .language:       OpenCL C
    .language_version:
      - 2
      - 0
    .max_flat_workgroup_size: 1024
    .name:           _ZN12tensorrt_llm7kernels32fusedQKNormRopeKernelNTokenHeadsIN3c108BFloat16EfLi256ELb1ELi8EEEvPviiifPKvS6_S6_PKlii
    .private_segment_fixed_size: 0
    .sgpr_count:     28
    .sgpr_spill_count: 0
    .symbol:         _ZN12tensorrt_llm7kernels32fusedQKNormRopeKernelNTokenHeadsIN3c108BFloat16EfLi256ELb1ELi8EEEvPviiifPKvS6_S6_PKlii.kd
    .uniform_work_group_size: 1
    .uses_dynamic_stack: false
    .vgpr_count:     52
    .vgpr_spill_count: 0
    .wavefront_size: 64
  - .agpr_count:     0
    .args:
      - .address_space:  global
        .offset:         0
        .size:           8
        .value_kind:     global_buffer
      - .offset:         8
        .size:           4
        .value_kind:     by_value
      - .offset:         12
        .size:           4
        .value_kind:     by_value
      - .offset:         16
        .size:           4
        .value_kind:     by_value
      - .offset:         20
        .size:           4
        .value_kind:     by_value
      - .address_space:  global
        .offset:         24
        .size:           8
        .value_kind:     global_buffer
      - .address_space:  global
        .offset:         32
        .size:           8
        .value_kind:     global_buffer
      - .address_space:  global
        .offset:         40
        .size:           8
        .value_kind:     global_buffer
      - .address_space:  global
        .offset:         48
        .size:           8
        .value_kind:     global_buffer
      - .offset:         56
        .size:           4
        .value_kind:     by_value
      - .offset:         60
        .size:           4
        .value_kind:     by_value
      - .offset:         64
        .size:           4
        .value_kind:     hidden_block_count_x
      - .offset:         68
        .size:           4
        .value_kind:     hidden_block_count_y
      - .offset:         72
        .size:           4
        .value_kind:     hidden_block_count_z
      - .offset:         76
        .size:           2
        .value_kind:     hidden_group_size_x
      - .offset:         78
        .size:           2
        .value_kind:     hidden_group_size_y
      - .offset:         80
        .size:           2
        .value_kind:     hidden_group_size_z
      - .offset:         82
        .size:           2
        .value_kind:     hidden_remainder_x
      - .offset:         84
        .size:           2
        .value_kind:     hidden_remainder_y
      - .offset:         86
        .size:           2
        .value_kind:     hidden_remainder_z
      - .offset:         104
        .size:           8
        .value_kind:     hidden_global_offset_x
      - .offset:         112
        .size:           8
        .value_kind:     hidden_global_offset_y
      - .offset:         120
        .size:           8
        .value_kind:     hidden_global_offset_z
      - .offset:         128
        .size:           2
        .value_kind:     hidden_grid_dims
      - .offset:         184
        .size:           4
        .value_kind:     hidden_dynamic_lds_size
    .group_segment_fixed_size: 0
    .kernarg_segment_align: 8
    .kernarg_segment_size: 320
    .language:       OpenCL C
    .language_version:
      - 2
      - 0
    .max_flat_workgroup_size: 1024
    .name:           _ZN12tensorrt_llm7kernels32fusedQKNormRopeKernelNTokenHeadsIN3c108BFloat16EfLi256ELb0ELi8EEEvPviiifPKvS6_S6_PKlii
    .private_segment_fixed_size: 0
    .sgpr_count:     28
    .sgpr_spill_count: 0
    .symbol:         _ZN12tensorrt_llm7kernels32fusedQKNormRopeKernelNTokenHeadsIN3c108BFloat16EfLi256ELb0ELi8EEEvPviiifPKvS6_S6_PKlii.kd
    .uniform_work_group_size: 1
    .uses_dynamic_stack: false
    .vgpr_count:     62
    .vgpr_spill_count: 0
    .wavefront_size: 64
  - .agpr_count:     0
    .args:
      - .address_space:  global
        .offset:         0
        .size:           8
        .value_kind:     global_buffer
      - .offset:         8
        .size:           4
        .value_kind:     by_value
      - .offset:         12
        .size:           4
        .value_kind:     by_value
      - .offset:         16
        .size:           4
        .value_kind:     by_value
      - .offset:         20
        .size:           4
        .value_kind:     by_value
      - .address_space:  global
        .offset:         24
        .size:           8
        .value_kind:     global_buffer
      - .address_space:  global
        .offset:         32
        .size:           8
        .value_kind:     global_buffer
      - .address_space:  global
        .offset:         40
        .size:           8
        .value_kind:     global_buffer
      - .address_space:  global
        .offset:         48
        .size:           8
        .value_kind:     global_buffer
      - .offset:         56
        .size:           4
        .value_kind:     by_value
      - .offset:         60
        .size:           4
        .value_kind:     by_value
      - .offset:         64
        .size:           4
        .value_kind:     hidden_block_count_x
      - .offset:         68
        .size:           4
        .value_kind:     hidden_block_count_y
      - .offset:         72
        .size:           4
        .value_kind:     hidden_block_count_z
      - .offset:         76
        .size:           2
        .value_kind:     hidden_group_size_x
      - .offset:         78
        .size:           2
        .value_kind:     hidden_group_size_y
      - .offset:         80
        .size:           2
        .value_kind:     hidden_group_size_z
      - .offset:         82
        .size:           2
        .value_kind:     hidden_remainder_x
      - .offset:         84
        .size:           2
        .value_kind:     hidden_remainder_y
      - .offset:         86
        .size:           2
        .value_kind:     hidden_remainder_z
      - .offset:         104
        .size:           8
        .value_kind:     hidden_global_offset_x
      - .offset:         112
        .size:           8
        .value_kind:     hidden_global_offset_y
      - .offset:         120
        .size:           8
        .value_kind:     hidden_global_offset_z
      - .offset:         128
        .size:           2
        .value_kind:     hidden_grid_dims
    .group_segment_fixed_size: 0
    .kernarg_segment_align: 8
    .kernarg_segment_size: 320
    .language:       OpenCL C
    .language_version:
      - 2
      - 0
    .max_flat_workgroup_size: 1024
    .name:           _ZN12tensorrt_llm7kernels21fusedQKNormRopeKernelIN3c108BFloat16ENS2_4HalfELi64ELb1EEEvPviiifPKvS7_S7_PKlii
    .private_segment_fixed_size: 0
    .sgpr_count:     18
    .sgpr_spill_count: 0
    .symbol:         _ZN12tensorrt_llm7kernels21fusedQKNormRopeKernelIN3c108BFloat16ENS2_4HalfELi64ELb1EEEvPviiifPKvS7_S7_PKlii.kd
    .uniform_work_group_size: 1
    .uses_dynamic_stack: false
    .vgpr_count:     14
    .vgpr_spill_count: 0
    .wavefront_size: 64
  - .agpr_count:     0
    .args:
      - .address_space:  global
        .offset:         0
        .size:           8
        .value_kind:     global_buffer
      - .offset:         8
        .size:           4
        .value_kind:     by_value
      - .offset:         12
        .size:           4
        .value_kind:     by_value
      - .offset:         16
        .size:           4
        .value_kind:     by_value
      - .offset:         20
        .size:           4
        .value_kind:     by_value
      - .address_space:  global
        .offset:         24
        .size:           8
        .value_kind:     global_buffer
      - .address_space:  global
        .offset:         32
        .size:           8
        .value_kind:     global_buffer
      - .address_space:  global
        .offset:         40
        .size:           8
        .value_kind:     global_buffer
      - .address_space:  global
        .offset:         48
        .size:           8
        .value_kind:     global_buffer
      - .offset:         56
        .size:           4
        .value_kind:     by_value
      - .offset:         60
        .size:           4
        .value_kind:     by_value
      - .offset:         64
        .size:           4
        .value_kind:     hidden_block_count_x
      - .offset:         68
        .size:           4
        .value_kind:     hidden_block_count_y
      - .offset:         72
        .size:           4
        .value_kind:     hidden_block_count_z
      - .offset:         76
        .size:           2
        .value_kind:     hidden_group_size_x
      - .offset:         78
        .size:           2
        .value_kind:     hidden_group_size_y
      - .offset:         80
        .size:           2
        .value_kind:     hidden_group_size_z
      - .offset:         82
        .size:           2
        .value_kind:     hidden_remainder_x
      - .offset:         84
        .size:           2
        .value_kind:     hidden_remainder_y
      - .offset:         86
        .size:           2
        .value_kind:     hidden_remainder_z
      - .offset:         104
        .size:           8
        .value_kind:     hidden_global_offset_x
      - .offset:         112
        .size:           8
        .value_kind:     hidden_global_offset_y
      - .offset:         120
        .size:           8
        .value_kind:     hidden_global_offset_z
      - .offset:         128
        .size:           2
        .value_kind:     hidden_grid_dims
    .group_segment_fixed_size: 0
    .kernarg_segment_align: 8
    .kernarg_segment_size: 320
    .language:       OpenCL C
    .language_version:
      - 2
      - 0
    .max_flat_workgroup_size: 1024
    .name:           _ZN12tensorrt_llm7kernels21fusedQKNormRopeKernelIN3c108BFloat16ENS2_4HalfELi64ELb0EEEvPviiifPKvS7_S7_PKlii
    .private_segment_fixed_size: 0
    .sgpr_count:     18
    .sgpr_spill_count: 0
    .symbol:         _ZN12tensorrt_llm7kernels21fusedQKNormRopeKernelIN3c108BFloat16ENS2_4HalfELi64ELb0EEEvPviiifPKvS7_S7_PKlii.kd
    .uniform_work_group_size: 1
    .uses_dynamic_stack: false
    .vgpr_count:     18
    .vgpr_spill_count: 0
    .wavefront_size: 64
  - .agpr_count:     0
    .args:
      - .address_space:  global
        .offset:         0
        .size:           8
        .value_kind:     global_buffer
      - .offset:         8
        .size:           4
        .value_kind:     by_value
      - .offset:         12
        .size:           4
        .value_kind:     by_value
      - .offset:         16
        .size:           4
        .value_kind:     by_value
      - .offset:         20
        .size:           4
        .value_kind:     by_value
      - .address_space:  global
        .offset:         24
        .size:           8
        .value_kind:     global_buffer
      - .address_space:  global
        .offset:         32
        .size:           8
        .value_kind:     global_buffer
      - .address_space:  global
        .offset:         40
        .size:           8
        .value_kind:     global_buffer
      - .address_space:  global
        .offset:         48
        .size:           8
        .value_kind:     global_buffer
      - .offset:         56
        .size:           4
        .value_kind:     by_value
      - .offset:         60
        .size:           4
        .value_kind:     by_value
      - .offset:         64
        .size:           4
        .value_kind:     hidden_block_count_x
      - .offset:         68
        .size:           4
        .value_kind:     hidden_block_count_y
      - .offset:         72
        .size:           4
        .value_kind:     hidden_block_count_z
      - .offset:         76
        .size:           2
        .value_kind:     hidden_group_size_x
      - .offset:         78
        .size:           2
        .value_kind:     hidden_group_size_y
      - .offset:         80
        .size:           2
        .value_kind:     hidden_group_size_z
      - .offset:         82
        .size:           2
        .value_kind:     hidden_remainder_x
      - .offset:         84
        .size:           2
        .value_kind:     hidden_remainder_y
      - .offset:         86
        .size:           2
        .value_kind:     hidden_remainder_z
      - .offset:         104
        .size:           8
        .value_kind:     hidden_global_offset_x
      - .offset:         112
        .size:           8
        .value_kind:     hidden_global_offset_y
      - .offset:         120
        .size:           8
        .value_kind:     hidden_global_offset_z
      - .offset:         128
        .size:           2
        .value_kind:     hidden_grid_dims
    .group_segment_fixed_size: 0
    .kernarg_segment_align: 8
    .kernarg_segment_size: 320
    .language:       OpenCL C
    .language_version:
      - 2
      - 0
    .max_flat_workgroup_size: 1024
    .name:           _ZN12tensorrt_llm7kernels21fusedQKNormRopeKernelIN3c108BFloat16ENS2_4HalfELi128ELb1EEEvPviiifPKvS7_S7_PKlii
    .private_segment_fixed_size: 0
    .sgpr_count:     18
    .sgpr_spill_count: 0
    .symbol:         _ZN12tensorrt_llm7kernels21fusedQKNormRopeKernelIN3c108BFloat16ENS2_4HalfELi128ELb1EEEvPviiifPKvS7_S7_PKlii.kd
    .uniform_work_group_size: 1
    .uses_dynamic_stack: false
    .vgpr_count:     20
    .vgpr_spill_count: 0
    .wavefront_size: 64
  - .agpr_count:     0
    .args:
      - .address_space:  global
        .offset:         0
        .size:           8
        .value_kind:     global_buffer
      - .offset:         8
        .size:           4
        .value_kind:     by_value
      - .offset:         12
        .size:           4
        .value_kind:     by_value
      - .offset:         16
        .size:           4
        .value_kind:     by_value
      - .offset:         20
        .size:           4
        .value_kind:     by_value
      - .address_space:  global
        .offset:         24
        .size:           8
        .value_kind:     global_buffer
      - .address_space:  global
        .offset:         32
        .size:           8
        .value_kind:     global_buffer
      - .address_space:  global
        .offset:         40
        .size:           8
        .value_kind:     global_buffer
      - .address_space:  global
        .offset:         48
        .size:           8
        .value_kind:     global_buffer
      - .offset:         56
        .size:           4
        .value_kind:     by_value
      - .offset:         60
        .size:           4
        .value_kind:     by_value
      - .offset:         64
        .size:           4
        .value_kind:     hidden_block_count_x
      - .offset:         68
        .size:           4
        .value_kind:     hidden_block_count_y
      - .offset:         72
        .size:           4
        .value_kind:     hidden_block_count_z
      - .offset:         76
        .size:           2
        .value_kind:     hidden_group_size_x
      - .offset:         78
        .size:           2
        .value_kind:     hidden_group_size_y
      - .offset:         80
        .size:           2
        .value_kind:     hidden_group_size_z
      - .offset:         82
        .size:           2
        .value_kind:     hidden_remainder_x
      - .offset:         84
        .size:           2
        .value_kind:     hidden_remainder_y
      - .offset:         86
        .size:           2
        .value_kind:     hidden_remainder_z
      - .offset:         104
        .size:           8
        .value_kind:     hidden_global_offset_x
      - .offset:         112
        .size:           8
        .value_kind:     hidden_global_offset_y
      - .offset:         120
        .size:           8
        .value_kind:     hidden_global_offset_z
      - .offset:         128
        .size:           2
        .value_kind:     hidden_grid_dims
    .group_segment_fixed_size: 0
    .kernarg_segment_align: 8
    .kernarg_segment_size: 320
    .language:       OpenCL C
    .language_version:
      - 2
      - 0
    .max_flat_workgroup_size: 1024
    .name:           _ZN12tensorrt_llm7kernels21fusedQKNormRopeKernelIN3c108BFloat16ENS2_4HalfELi128ELb0EEEvPviiifPKvS7_S7_PKlii
    .private_segment_fixed_size: 0
    .sgpr_count:     18
    .sgpr_spill_count: 0
    .symbol:         _ZN12tensorrt_llm7kernels21fusedQKNormRopeKernelIN3c108BFloat16ENS2_4HalfELi128ELb0EEEvPviiifPKvS7_S7_PKlii.kd
    .uniform_work_group_size: 1
    .uses_dynamic_stack: false
    .vgpr_count:     28
    .vgpr_spill_count: 0
    .wavefront_size: 64
  - .agpr_count:     0
    .args:
      - .address_space:  global
        .offset:         0
        .size:           8
        .value_kind:     global_buffer
      - .offset:         8
        .size:           4
        .value_kind:     by_value
      - .offset:         12
        .size:           4
        .value_kind:     by_value
      - .offset:         16
        .size:           4
        .value_kind:     by_value
      - .offset:         20
        .size:           4
        .value_kind:     by_value
      - .address_space:  global
        .offset:         24
        .size:           8
        .value_kind:     global_buffer
      - .address_space:  global
        .offset:         32
        .size:           8
        .value_kind:     global_buffer
      - .address_space:  global
        .offset:         40
        .size:           8
        .value_kind:     global_buffer
      - .address_space:  global
        .offset:         48
        .size:           8
        .value_kind:     global_buffer
      - .offset:         56
        .size:           4
        .value_kind:     by_value
      - .offset:         60
        .size:           4
        .value_kind:     by_value
      - .offset:         64
        .size:           4
        .value_kind:     hidden_block_count_x
      - .offset:         68
        .size:           4
        .value_kind:     hidden_block_count_y
      - .offset:         72
        .size:           4
        .value_kind:     hidden_block_count_z
      - .offset:         76
        .size:           2
        .value_kind:     hidden_group_size_x
      - .offset:         78
        .size:           2
        .value_kind:     hidden_group_size_y
      - .offset:         80
        .size:           2
        .value_kind:     hidden_group_size_z
      - .offset:         82
        .size:           2
        .value_kind:     hidden_remainder_x
      - .offset:         84
        .size:           2
        .value_kind:     hidden_remainder_y
      - .offset:         86
        .size:           2
        .value_kind:     hidden_remainder_z
      - .offset:         104
        .size:           8
        .value_kind:     hidden_global_offset_x
      - .offset:         112
        .size:           8
        .value_kind:     hidden_global_offset_y
      - .offset:         120
        .size:           8
        .value_kind:     hidden_global_offset_z
      - .offset:         128
        .size:           2
        .value_kind:     hidden_grid_dims
    .group_segment_fixed_size: 0
    .kernarg_segment_align: 8
    .kernarg_segment_size: 320
    .language:       OpenCL C
    .language_version:
      - 2
      - 0
    .max_flat_workgroup_size: 1024
    .name:           _ZN12tensorrt_llm7kernels21fusedQKNormRopeKernelIN3c108BFloat16ENS2_4HalfELi256ELb1EEEvPviiifPKvS7_S7_PKlii
    .private_segment_fixed_size: 0
    .sgpr_count:     18
    .sgpr_spill_count: 0
    .symbol:         _ZN12tensorrt_llm7kernels21fusedQKNormRopeKernelIN3c108BFloat16ENS2_4HalfELi256ELb1EEEvPviiifPKvS7_S7_PKlii.kd
    .uniform_work_group_size: 1
    .uses_dynamic_stack: false
    .vgpr_count:     32
    .vgpr_spill_count: 0
    .wavefront_size: 64
  - .agpr_count:     0
    .args:
      - .address_space:  global
        .offset:         0
        .size:           8
        .value_kind:     global_buffer
      - .offset:         8
        .size:           4
        .value_kind:     by_value
      - .offset:         12
        .size:           4
        .value_kind:     by_value
      - .offset:         16
        .size:           4
        .value_kind:     by_value
      - .offset:         20
        .size:           4
        .value_kind:     by_value
      - .address_space:  global
        .offset:         24
        .size:           8
        .value_kind:     global_buffer
      - .address_space:  global
        .offset:         32
        .size:           8
        .value_kind:     global_buffer
      - .address_space:  global
        .offset:         40
        .size:           8
        .value_kind:     global_buffer
      - .address_space:  global
        .offset:         48
        .size:           8
        .value_kind:     global_buffer
      - .offset:         56
        .size:           4
        .value_kind:     by_value
      - .offset:         60
        .size:           4
        .value_kind:     by_value
      - .offset:         64
        .size:           4
        .value_kind:     hidden_block_count_x
      - .offset:         68
        .size:           4
        .value_kind:     hidden_block_count_y
      - .offset:         72
        .size:           4
        .value_kind:     hidden_block_count_z
      - .offset:         76
        .size:           2
        .value_kind:     hidden_group_size_x
      - .offset:         78
        .size:           2
        .value_kind:     hidden_group_size_y
      - .offset:         80
        .size:           2
        .value_kind:     hidden_group_size_z
      - .offset:         82
        .size:           2
        .value_kind:     hidden_remainder_x
      - .offset:         84
        .size:           2
        .value_kind:     hidden_remainder_y
      - .offset:         86
        .size:           2
        .value_kind:     hidden_remainder_z
      - .offset:         104
        .size:           8
        .value_kind:     hidden_global_offset_x
      - .offset:         112
        .size:           8
        .value_kind:     hidden_global_offset_y
      - .offset:         120
        .size:           8
        .value_kind:     hidden_global_offset_z
      - .offset:         128
        .size:           2
        .value_kind:     hidden_grid_dims
    .group_segment_fixed_size: 0
    .kernarg_segment_align: 8
    .kernarg_segment_size: 320
    .language:       OpenCL C
    .language_version:
      - 2
      - 0
    .max_flat_workgroup_size: 1024
    .name:           _ZN12tensorrt_llm7kernels21fusedQKNormRopeKernelIN3c108BFloat16ENS2_4HalfELi256ELb0EEEvPviiifPKvS7_S7_PKlii
    .private_segment_fixed_size: 0
    .sgpr_count:     18
    .sgpr_spill_count: 0
    .symbol:         _ZN12tensorrt_llm7kernels21fusedQKNormRopeKernelIN3c108BFloat16ENS2_4HalfELi256ELb0EEEvPviiifPKvS7_S7_PKlii.kd
    .uniform_work_group_size: 1
    .uses_dynamic_stack: false
    .vgpr_count:     31
    .vgpr_spill_count: 0
    .wavefront_size: 64
  - .agpr_count:     0
    .args:
      - .address_space:  global
        .offset:         0
        .size:           8
        .value_kind:     global_buffer
      - .offset:         8
        .size:           4
        .value_kind:     by_value
      - .offset:         12
        .size:           4
        .value_kind:     by_value
      - .offset:         16
        .size:           4
        .value_kind:     by_value
      - .offset:         20
        .size:           4
        .value_kind:     by_value
      - .address_space:  global
        .offset:         24
        .size:           8
        .value_kind:     global_buffer
      - .address_space:  global
        .offset:         32
        .size:           8
        .value_kind:     global_buffer
      - .address_space:  global
        .offset:         40
        .size:           8
        .value_kind:     global_buffer
      - .address_space:  global
        .offset:         48
        .size:           8
        .value_kind:     global_buffer
      - .offset:         56
        .size:           4
        .value_kind:     by_value
      - .offset:         60
        .size:           4
        .value_kind:     by_value
      - .offset:         64
        .size:           4
        .value_kind:     hidden_block_count_x
      - .offset:         68
        .size:           4
        .value_kind:     hidden_block_count_y
      - .offset:         72
        .size:           4
        .value_kind:     hidden_block_count_z
      - .offset:         76
        .size:           2
        .value_kind:     hidden_group_size_x
      - .offset:         78
        .size:           2
        .value_kind:     hidden_group_size_y
      - .offset:         80
        .size:           2
        .value_kind:     hidden_group_size_z
      - .offset:         82
        .size:           2
        .value_kind:     hidden_remainder_x
      - .offset:         84
        .size:           2
        .value_kind:     hidden_remainder_y
      - .offset:         86
        .size:           2
        .value_kind:     hidden_remainder_z
      - .offset:         104
        .size:           8
        .value_kind:     hidden_global_offset_x
      - .offset:         112
        .size:           8
        .value_kind:     hidden_global_offset_y
      - .offset:         120
        .size:           8
        .value_kind:     hidden_global_offset_z
      - .offset:         128
        .size:           2
        .value_kind:     hidden_grid_dims
      - .offset:         184
        .size:           4
        .value_kind:     hidden_dynamic_lds_size
    .group_segment_fixed_size: 0
    .kernarg_segment_align: 8
    .kernarg_segment_size: 320
    .language:       OpenCL C
    .language_version:
      - 2
      - 0
    .max_flat_workgroup_size: 1024
    .name:           _ZN12tensorrt_llm7kernels32fusedQKNormRopeKernelNTokenHeadsIN3c108BFloat16ENS2_4HalfELi64ELb1ELi2EEEvPviiifPKvS7_S7_PKlii
    .private_segment_fixed_size: 0
    .sgpr_count:     28
    .sgpr_spill_count: 0
    .symbol:         _ZN12tensorrt_llm7kernels32fusedQKNormRopeKernelNTokenHeadsIN3c108BFloat16ENS2_4HalfELi64ELb1ELi2EEEvPviiifPKvS7_S7_PKlii.kd
    .uniform_work_group_size: 1
    .uses_dynamic_stack: false
    .vgpr_count:     26
    .vgpr_spill_count: 0
    .wavefront_size: 64
  - .agpr_count:     0
    .args:
      - .address_space:  global
        .offset:         0
        .size:           8
        .value_kind:     global_buffer
      - .offset:         8
        .size:           4
        .value_kind:     by_value
      - .offset:         12
        .size:           4
        .value_kind:     by_value
      - .offset:         16
        .size:           4
        .value_kind:     by_value
      - .offset:         20
        .size:           4
        .value_kind:     by_value
      - .address_space:  global
        .offset:         24
        .size:           8
        .value_kind:     global_buffer
      - .address_space:  global
        .offset:         32
        .size:           8
        .value_kind:     global_buffer
      - .address_space:  global
        .offset:         40
        .size:           8
        .value_kind:     global_buffer
      - .address_space:  global
        .offset:         48
        .size:           8
        .value_kind:     global_buffer
      - .offset:         56
        .size:           4
        .value_kind:     by_value
      - .offset:         60
        .size:           4
        .value_kind:     by_value
      - .offset:         64
        .size:           4
        .value_kind:     hidden_block_count_x
      - .offset:         68
        .size:           4
        .value_kind:     hidden_block_count_y
      - .offset:         72
        .size:           4
        .value_kind:     hidden_block_count_z
      - .offset:         76
        .size:           2
        .value_kind:     hidden_group_size_x
      - .offset:         78
        .size:           2
        .value_kind:     hidden_group_size_y
      - .offset:         80
        .size:           2
        .value_kind:     hidden_group_size_z
      - .offset:         82
        .size:           2
        .value_kind:     hidden_remainder_x
      - .offset:         84
        .size:           2
        .value_kind:     hidden_remainder_y
      - .offset:         86
        .size:           2
        .value_kind:     hidden_remainder_z
      - .offset:         104
        .size:           8
        .value_kind:     hidden_global_offset_x
      - .offset:         112
        .size:           8
        .value_kind:     hidden_global_offset_y
      - .offset:         120
        .size:           8
        .value_kind:     hidden_global_offset_z
      - .offset:         128
        .size:           2
        .value_kind:     hidden_grid_dims
      - .offset:         184
        .size:           4
        .value_kind:     hidden_dynamic_lds_size
    .group_segment_fixed_size: 0
    .kernarg_segment_align: 8
    .kernarg_segment_size: 320
    .language:       OpenCL C
    .language_version:
      - 2
      - 0
    .max_flat_workgroup_size: 1024
    .name:           _ZN12tensorrt_llm7kernels32fusedQKNormRopeKernelNTokenHeadsIN3c108BFloat16ENS2_4HalfELi64ELb0ELi2EEEvPviiifPKvS7_S7_PKlii
    .private_segment_fixed_size: 0
    .sgpr_count:     28
    .sgpr_spill_count: 0
    .symbol:         _ZN12tensorrt_llm7kernels32fusedQKNormRopeKernelNTokenHeadsIN3c108BFloat16ENS2_4HalfELi64ELb0ELi2EEEvPviiifPKvS7_S7_PKlii.kd
    .uniform_work_group_size: 1
    .uses_dynamic_stack: false
    .vgpr_count:     28
    .vgpr_spill_count: 0
    .wavefront_size: 64
  - .agpr_count:     0
    .args:
      - .address_space:  global
        .offset:         0
        .size:           8
        .value_kind:     global_buffer
      - .offset:         8
        .size:           4
        .value_kind:     by_value
      - .offset:         12
        .size:           4
        .value_kind:     by_value
      - .offset:         16
        .size:           4
        .value_kind:     by_value
      - .offset:         20
        .size:           4
        .value_kind:     by_value
      - .address_space:  global
        .offset:         24
        .size:           8
        .value_kind:     global_buffer
      - .address_space:  global
        .offset:         32
        .size:           8
        .value_kind:     global_buffer
      - .address_space:  global
        .offset:         40
        .size:           8
        .value_kind:     global_buffer
      - .address_space:  global
        .offset:         48
        .size:           8
        .value_kind:     global_buffer
      - .offset:         56
        .size:           4
        .value_kind:     by_value
      - .offset:         60
        .size:           4
        .value_kind:     by_value
      - .offset:         64
        .size:           4
        .value_kind:     hidden_block_count_x
      - .offset:         68
        .size:           4
        .value_kind:     hidden_block_count_y
      - .offset:         72
        .size:           4
        .value_kind:     hidden_block_count_z
      - .offset:         76
        .size:           2
        .value_kind:     hidden_group_size_x
      - .offset:         78
        .size:           2
        .value_kind:     hidden_group_size_y
      - .offset:         80
        .size:           2
        .value_kind:     hidden_group_size_z
      - .offset:         82
        .size:           2
        .value_kind:     hidden_remainder_x
      - .offset:         84
        .size:           2
        .value_kind:     hidden_remainder_y
      - .offset:         86
        .size:           2
        .value_kind:     hidden_remainder_z
      - .offset:         104
        .size:           8
        .value_kind:     hidden_global_offset_x
      - .offset:         112
        .size:           8
        .value_kind:     hidden_global_offset_y
      - .offset:         120
        .size:           8
        .value_kind:     hidden_global_offset_z
      - .offset:         128
        .size:           2
        .value_kind:     hidden_grid_dims
      - .offset:         184
        .size:           4
        .value_kind:     hidden_dynamic_lds_size
    .group_segment_fixed_size: 0
    .kernarg_segment_align: 8
    .kernarg_segment_size: 320
    .language:       OpenCL C
    .language_version:
      - 2
      - 0
    .max_flat_workgroup_size: 1024
    .name:           _ZN12tensorrt_llm7kernels32fusedQKNormRopeKernelNTokenHeadsIN3c108BFloat16ENS2_4HalfELi128ELb1ELi2EEEvPviiifPKvS7_S7_PKlii
    .private_segment_fixed_size: 0
    .sgpr_count:     28
    .sgpr_spill_count: 0
    .symbol:         _ZN12tensorrt_llm7kernels32fusedQKNormRopeKernelNTokenHeadsIN3c108BFloat16ENS2_4HalfELi128ELb1ELi2EEEvPviiifPKvS7_S7_PKlii.kd
    .uniform_work_group_size: 1
    .uses_dynamic_stack: false
    .vgpr_count:     36
    .vgpr_spill_count: 0
    .wavefront_size: 64
  - .agpr_count:     0
    .args:
      - .address_space:  global
        .offset:         0
        .size:           8
        .value_kind:     global_buffer
      - .offset:         8
        .size:           4
        .value_kind:     by_value
      - .offset:         12
        .size:           4
        .value_kind:     by_value
      - .offset:         16
        .size:           4
        .value_kind:     by_value
      - .offset:         20
        .size:           4
        .value_kind:     by_value
      - .address_space:  global
        .offset:         24
        .size:           8
        .value_kind:     global_buffer
      - .address_space:  global
        .offset:         32
        .size:           8
        .value_kind:     global_buffer
      - .address_space:  global
        .offset:         40
        .size:           8
        .value_kind:     global_buffer
      - .address_space:  global
        .offset:         48
        .size:           8
        .value_kind:     global_buffer
      - .offset:         56
        .size:           4
        .value_kind:     by_value
      - .offset:         60
        .size:           4
        .value_kind:     by_value
      - .offset:         64
        .size:           4
        .value_kind:     hidden_block_count_x
      - .offset:         68
        .size:           4
        .value_kind:     hidden_block_count_y
      - .offset:         72
        .size:           4
        .value_kind:     hidden_block_count_z
      - .offset:         76
        .size:           2
        .value_kind:     hidden_group_size_x
      - .offset:         78
        .size:           2
        .value_kind:     hidden_group_size_y
      - .offset:         80
        .size:           2
        .value_kind:     hidden_group_size_z
      - .offset:         82
        .size:           2
        .value_kind:     hidden_remainder_x
      - .offset:         84
        .size:           2
        .value_kind:     hidden_remainder_y
      - .offset:         86
        .size:           2
        .value_kind:     hidden_remainder_z
      - .offset:         104
        .size:           8
        .value_kind:     hidden_global_offset_x
      - .offset:         112
        .size:           8
        .value_kind:     hidden_global_offset_y
      - .offset:         120
        .size:           8
        .value_kind:     hidden_global_offset_z
      - .offset:         128
        .size:           2
        .value_kind:     hidden_grid_dims
      - .offset:         184
        .size:           4
        .value_kind:     hidden_dynamic_lds_size
    .group_segment_fixed_size: 0
    .kernarg_segment_align: 8
    .kernarg_segment_size: 320
    .language:       OpenCL C
    .language_version:
      - 2
      - 0
    .max_flat_workgroup_size: 1024
    .name:           _ZN12tensorrt_llm7kernels32fusedQKNormRopeKernelNTokenHeadsIN3c108BFloat16ENS2_4HalfELi128ELb0ELi2EEEvPviiifPKvS7_S7_PKlii
    .private_segment_fixed_size: 0
    .sgpr_count:     28
    .sgpr_spill_count: 0
    .symbol:         _ZN12tensorrt_llm7kernels32fusedQKNormRopeKernelNTokenHeadsIN3c108BFloat16ENS2_4HalfELi128ELb0ELi2EEEvPviiifPKvS7_S7_PKlii.kd
    .uniform_work_group_size: 1
    .uses_dynamic_stack: false
    .vgpr_count:     42
    .vgpr_spill_count: 0
    .wavefront_size: 64
  - .agpr_count:     0
    .args:
      - .address_space:  global
        .offset:         0
        .size:           8
        .value_kind:     global_buffer
      - .offset:         8
        .size:           4
        .value_kind:     by_value
      - .offset:         12
        .size:           4
        .value_kind:     by_value
      - .offset:         16
        .size:           4
        .value_kind:     by_value
      - .offset:         20
        .size:           4
        .value_kind:     by_value
      - .address_space:  global
        .offset:         24
        .size:           8
        .value_kind:     global_buffer
      - .address_space:  global
        .offset:         32
        .size:           8
        .value_kind:     global_buffer
      - .address_space:  global
        .offset:         40
        .size:           8
        .value_kind:     global_buffer
      - .address_space:  global
        .offset:         48
        .size:           8
        .value_kind:     global_buffer
      - .offset:         56
        .size:           4
        .value_kind:     by_value
      - .offset:         60
        .size:           4
        .value_kind:     by_value
      - .offset:         64
        .size:           4
        .value_kind:     hidden_block_count_x
      - .offset:         68
        .size:           4
        .value_kind:     hidden_block_count_y
      - .offset:         72
        .size:           4
        .value_kind:     hidden_block_count_z
      - .offset:         76
        .size:           2
        .value_kind:     hidden_group_size_x
      - .offset:         78
        .size:           2
        .value_kind:     hidden_group_size_y
      - .offset:         80
        .size:           2
        .value_kind:     hidden_group_size_z
      - .offset:         82
        .size:           2
        .value_kind:     hidden_remainder_x
      - .offset:         84
        .size:           2
        .value_kind:     hidden_remainder_y
      - .offset:         86
        .size:           2
        .value_kind:     hidden_remainder_z
      - .offset:         104
        .size:           8
        .value_kind:     hidden_global_offset_x
      - .offset:         112
        .size:           8
        .value_kind:     hidden_global_offset_y
      - .offset:         120
        .size:           8
        .value_kind:     hidden_global_offset_z
      - .offset:         128
        .size:           2
        .value_kind:     hidden_grid_dims
      - .offset:         184
        .size:           4
        .value_kind:     hidden_dynamic_lds_size
    .group_segment_fixed_size: 0
    .kernarg_segment_align: 8
    .kernarg_segment_size: 320
    .language:       OpenCL C
    .language_version:
      - 2
      - 0
    .max_flat_workgroup_size: 1024
    .name:           _ZN12tensorrt_llm7kernels32fusedQKNormRopeKernelNTokenHeadsIN3c108BFloat16ENS2_4HalfELi256ELb1ELi2EEEvPviiifPKvS7_S7_PKlii
    .private_segment_fixed_size: 0
    .sgpr_count:     28
    .sgpr_spill_count: 0
    .symbol:         _ZN12tensorrt_llm7kernels32fusedQKNormRopeKernelNTokenHeadsIN3c108BFloat16ENS2_4HalfELi256ELb1ELi2EEEvPviiifPKvS7_S7_PKlii.kd
    .uniform_work_group_size: 1
    .uses_dynamic_stack: false
    .vgpr_count:     52
    .vgpr_spill_count: 0
    .wavefront_size: 64
  - .agpr_count:     0
    .args:
      - .address_space:  global
        .offset:         0
        .size:           8
        .value_kind:     global_buffer
      - .offset:         8
        .size:           4
        .value_kind:     by_value
      - .offset:         12
        .size:           4
        .value_kind:     by_value
      - .offset:         16
        .size:           4
        .value_kind:     by_value
      - .offset:         20
        .size:           4
        .value_kind:     by_value
      - .address_space:  global
        .offset:         24
        .size:           8
        .value_kind:     global_buffer
      - .address_space:  global
        .offset:         32
        .size:           8
        .value_kind:     global_buffer
      - .address_space:  global
        .offset:         40
        .size:           8
        .value_kind:     global_buffer
      - .address_space:  global
        .offset:         48
        .size:           8
        .value_kind:     global_buffer
      - .offset:         56
        .size:           4
        .value_kind:     by_value
      - .offset:         60
        .size:           4
        .value_kind:     by_value
      - .offset:         64
        .size:           4
        .value_kind:     hidden_block_count_x
      - .offset:         68
        .size:           4
        .value_kind:     hidden_block_count_y
      - .offset:         72
        .size:           4
        .value_kind:     hidden_block_count_z
      - .offset:         76
        .size:           2
        .value_kind:     hidden_group_size_x
      - .offset:         78
        .size:           2
        .value_kind:     hidden_group_size_y
      - .offset:         80
        .size:           2
        .value_kind:     hidden_group_size_z
      - .offset:         82
        .size:           2
        .value_kind:     hidden_remainder_x
      - .offset:         84
        .size:           2
        .value_kind:     hidden_remainder_y
      - .offset:         86
        .size:           2
        .value_kind:     hidden_remainder_z
      - .offset:         104
        .size:           8
        .value_kind:     hidden_global_offset_x
      - .offset:         112
        .size:           8
        .value_kind:     hidden_global_offset_y
      - .offset:         120
        .size:           8
        .value_kind:     hidden_global_offset_z
      - .offset:         128
        .size:           2
        .value_kind:     hidden_grid_dims
      - .offset:         184
        .size:           4
        .value_kind:     hidden_dynamic_lds_size
    .group_segment_fixed_size: 0
    .kernarg_segment_align: 8
    .kernarg_segment_size: 320
    .language:       OpenCL C
    .language_version:
      - 2
      - 0
    .max_flat_workgroup_size: 1024
    .name:           _ZN12tensorrt_llm7kernels32fusedQKNormRopeKernelNTokenHeadsIN3c108BFloat16ENS2_4HalfELi256ELb0ELi2EEEvPviiifPKvS7_S7_PKlii
    .private_segment_fixed_size: 0
    .sgpr_count:     28
    .sgpr_spill_count: 0
    .symbol:         _ZN12tensorrt_llm7kernels32fusedQKNormRopeKernelNTokenHeadsIN3c108BFloat16ENS2_4HalfELi256ELb0ELi2EEEvPviiifPKvS7_S7_PKlii.kd
    .uniform_work_group_size: 1
    .uses_dynamic_stack: false
    .vgpr_count:     60
    .vgpr_spill_count: 0
    .wavefront_size: 64
  - .agpr_count:     0
    .args:
      - .address_space:  global
        .offset:         0
        .size:           8
        .value_kind:     global_buffer
      - .offset:         8
        .size:           4
        .value_kind:     by_value
      - .offset:         12
        .size:           4
        .value_kind:     by_value
      - .offset:         16
        .size:           4
        .value_kind:     by_value
      - .offset:         20
        .size:           4
        .value_kind:     by_value
      - .address_space:  global
        .offset:         24
        .size:           8
        .value_kind:     global_buffer
      - .address_space:  global
        .offset:         32
        .size:           8
        .value_kind:     global_buffer
      - .address_space:  global
        .offset:         40
        .size:           8
        .value_kind:     global_buffer
      - .address_space:  global
        .offset:         48
        .size:           8
        .value_kind:     global_buffer
      - .offset:         56
        .size:           4
        .value_kind:     by_value
      - .offset:         60
        .size:           4
        .value_kind:     by_value
      - .offset:         64
        .size:           4
        .value_kind:     hidden_block_count_x
      - .offset:         68
        .size:           4
        .value_kind:     hidden_block_count_y
      - .offset:         72
        .size:           4
        .value_kind:     hidden_block_count_z
      - .offset:         76
        .size:           2
        .value_kind:     hidden_group_size_x
      - .offset:         78
        .size:           2
        .value_kind:     hidden_group_size_y
      - .offset:         80
        .size:           2
        .value_kind:     hidden_group_size_z
      - .offset:         82
        .size:           2
        .value_kind:     hidden_remainder_x
      - .offset:         84
        .size:           2
        .value_kind:     hidden_remainder_y
      - .offset:         86
        .size:           2
        .value_kind:     hidden_remainder_z
      - .offset:         104
        .size:           8
        .value_kind:     hidden_global_offset_x
      - .offset:         112
        .size:           8
        .value_kind:     hidden_global_offset_y
      - .offset:         120
        .size:           8
        .value_kind:     hidden_global_offset_z
      - .offset:         128
        .size:           2
        .value_kind:     hidden_grid_dims
      - .offset:         184
        .size:           4
        .value_kind:     hidden_dynamic_lds_size
    .group_segment_fixed_size: 0
    .kernarg_segment_align: 8
    .kernarg_segment_size: 320
    .language:       OpenCL C
    .language_version:
      - 2
      - 0
    .max_flat_workgroup_size: 1024
    .name:           _ZN12tensorrt_llm7kernels32fusedQKNormRopeKernelNTokenHeadsIN3c108BFloat16ENS2_4HalfELi64ELb1ELi4EEEvPviiifPKvS7_S7_PKlii
    .private_segment_fixed_size: 0
    .sgpr_count:     28
    .sgpr_spill_count: 0
    .symbol:         _ZN12tensorrt_llm7kernels32fusedQKNormRopeKernelNTokenHeadsIN3c108BFloat16ENS2_4HalfELi64ELb1ELi4EEEvPviiifPKvS7_S7_PKlii.kd
    .uniform_work_group_size: 1
    .uses_dynamic_stack: false
    .vgpr_count:     26
    .vgpr_spill_count: 0
    .wavefront_size: 64
  - .agpr_count:     0
    .args:
      - .address_space:  global
        .offset:         0
        .size:           8
        .value_kind:     global_buffer
      - .offset:         8
        .size:           4
        .value_kind:     by_value
      - .offset:         12
        .size:           4
        .value_kind:     by_value
      - .offset:         16
        .size:           4
        .value_kind:     by_value
      - .offset:         20
        .size:           4
        .value_kind:     by_value
      - .address_space:  global
        .offset:         24
        .size:           8
        .value_kind:     global_buffer
      - .address_space:  global
        .offset:         32
        .size:           8
        .value_kind:     global_buffer
      - .address_space:  global
        .offset:         40
        .size:           8
        .value_kind:     global_buffer
      - .address_space:  global
        .offset:         48
        .size:           8
        .value_kind:     global_buffer
      - .offset:         56
        .size:           4
        .value_kind:     by_value
      - .offset:         60
        .size:           4
        .value_kind:     by_value
      - .offset:         64
        .size:           4
        .value_kind:     hidden_block_count_x
      - .offset:         68
        .size:           4
        .value_kind:     hidden_block_count_y
      - .offset:         72
        .size:           4
        .value_kind:     hidden_block_count_z
      - .offset:         76
        .size:           2
        .value_kind:     hidden_group_size_x
      - .offset:         78
        .size:           2
        .value_kind:     hidden_group_size_y
      - .offset:         80
        .size:           2
        .value_kind:     hidden_group_size_z
      - .offset:         82
        .size:           2
        .value_kind:     hidden_remainder_x
      - .offset:         84
        .size:           2
        .value_kind:     hidden_remainder_y
      - .offset:         86
        .size:           2
        .value_kind:     hidden_remainder_z
      - .offset:         104
        .size:           8
        .value_kind:     hidden_global_offset_x
      - .offset:         112
        .size:           8
        .value_kind:     hidden_global_offset_y
      - .offset:         120
        .size:           8
        .value_kind:     hidden_global_offset_z
      - .offset:         128
        .size:           2
        .value_kind:     hidden_grid_dims
      - .offset:         184
        .size:           4
        .value_kind:     hidden_dynamic_lds_size
    .group_segment_fixed_size: 0
    .kernarg_segment_align: 8
    .kernarg_segment_size: 320
    .language:       OpenCL C
    .language_version:
      - 2
      - 0
    .max_flat_workgroup_size: 1024
    .name:           _ZN12tensorrt_llm7kernels32fusedQKNormRopeKernelNTokenHeadsIN3c108BFloat16ENS2_4HalfELi64ELb0ELi4EEEvPviiifPKvS7_S7_PKlii
    .private_segment_fixed_size: 0
    .sgpr_count:     28
    .sgpr_spill_count: 0
    .symbol:         _ZN12tensorrt_llm7kernels32fusedQKNormRopeKernelNTokenHeadsIN3c108BFloat16ENS2_4HalfELi64ELb0ELi4EEEvPviiifPKvS7_S7_PKlii.kd
    .uniform_work_group_size: 1
    .uses_dynamic_stack: false
    .vgpr_count:     28
    .vgpr_spill_count: 0
    .wavefront_size: 64
  - .agpr_count:     0
    .args:
      - .address_space:  global
        .offset:         0
        .size:           8
        .value_kind:     global_buffer
      - .offset:         8
        .size:           4
        .value_kind:     by_value
      - .offset:         12
        .size:           4
        .value_kind:     by_value
      - .offset:         16
        .size:           4
        .value_kind:     by_value
      - .offset:         20
        .size:           4
        .value_kind:     by_value
      - .address_space:  global
        .offset:         24
        .size:           8
        .value_kind:     global_buffer
      - .address_space:  global
        .offset:         32
        .size:           8
        .value_kind:     global_buffer
      - .address_space:  global
        .offset:         40
        .size:           8
        .value_kind:     global_buffer
      - .address_space:  global
        .offset:         48
        .size:           8
        .value_kind:     global_buffer
      - .offset:         56
        .size:           4
        .value_kind:     by_value
      - .offset:         60
        .size:           4
        .value_kind:     by_value
      - .offset:         64
        .size:           4
        .value_kind:     hidden_block_count_x
      - .offset:         68
        .size:           4
        .value_kind:     hidden_block_count_y
      - .offset:         72
        .size:           4
        .value_kind:     hidden_block_count_z
      - .offset:         76
        .size:           2
        .value_kind:     hidden_group_size_x
      - .offset:         78
        .size:           2
        .value_kind:     hidden_group_size_y
      - .offset:         80
        .size:           2
        .value_kind:     hidden_group_size_z
      - .offset:         82
        .size:           2
        .value_kind:     hidden_remainder_x
      - .offset:         84
        .size:           2
        .value_kind:     hidden_remainder_y
      - .offset:         86
        .size:           2
        .value_kind:     hidden_remainder_z
      - .offset:         104
        .size:           8
        .value_kind:     hidden_global_offset_x
      - .offset:         112
        .size:           8
        .value_kind:     hidden_global_offset_y
      - .offset:         120
        .size:           8
        .value_kind:     hidden_global_offset_z
      - .offset:         128
        .size:           2
        .value_kind:     hidden_grid_dims
      - .offset:         184
        .size:           4
        .value_kind:     hidden_dynamic_lds_size
    .group_segment_fixed_size: 0
    .kernarg_segment_align: 8
    .kernarg_segment_size: 320
    .language:       OpenCL C
    .language_version:
      - 2
      - 0
    .max_flat_workgroup_size: 1024
    .name:           _ZN12tensorrt_llm7kernels32fusedQKNormRopeKernelNTokenHeadsIN3c108BFloat16ENS2_4HalfELi128ELb1ELi4EEEvPviiifPKvS7_S7_PKlii
    .private_segment_fixed_size: 0
    .sgpr_count:     28
    .sgpr_spill_count: 0
    .symbol:         _ZN12tensorrt_llm7kernels32fusedQKNormRopeKernelNTokenHeadsIN3c108BFloat16ENS2_4HalfELi128ELb1ELi4EEEvPviiifPKvS7_S7_PKlii.kd
    .uniform_work_group_size: 1
    .uses_dynamic_stack: false
    .vgpr_count:     36
    .vgpr_spill_count: 0
    .wavefront_size: 64
  - .agpr_count:     0
    .args:
      - .address_space:  global
        .offset:         0
        .size:           8
        .value_kind:     global_buffer
      - .offset:         8
        .size:           4
        .value_kind:     by_value
      - .offset:         12
        .size:           4
        .value_kind:     by_value
      - .offset:         16
        .size:           4
        .value_kind:     by_value
      - .offset:         20
        .size:           4
        .value_kind:     by_value
      - .address_space:  global
        .offset:         24
        .size:           8
        .value_kind:     global_buffer
      - .address_space:  global
        .offset:         32
        .size:           8
        .value_kind:     global_buffer
      - .address_space:  global
        .offset:         40
        .size:           8
        .value_kind:     global_buffer
      - .address_space:  global
        .offset:         48
        .size:           8
        .value_kind:     global_buffer
      - .offset:         56
        .size:           4
        .value_kind:     by_value
      - .offset:         60
        .size:           4
        .value_kind:     by_value
      - .offset:         64
        .size:           4
        .value_kind:     hidden_block_count_x
      - .offset:         68
        .size:           4
        .value_kind:     hidden_block_count_y
      - .offset:         72
        .size:           4
        .value_kind:     hidden_block_count_z
      - .offset:         76
        .size:           2
        .value_kind:     hidden_group_size_x
      - .offset:         78
        .size:           2
        .value_kind:     hidden_group_size_y
      - .offset:         80
        .size:           2
        .value_kind:     hidden_group_size_z
      - .offset:         82
        .size:           2
        .value_kind:     hidden_remainder_x
      - .offset:         84
        .size:           2
        .value_kind:     hidden_remainder_y
      - .offset:         86
        .size:           2
        .value_kind:     hidden_remainder_z
      - .offset:         104
        .size:           8
        .value_kind:     hidden_global_offset_x
      - .offset:         112
        .size:           8
        .value_kind:     hidden_global_offset_y
      - .offset:         120
        .size:           8
        .value_kind:     hidden_global_offset_z
      - .offset:         128
        .size:           2
        .value_kind:     hidden_grid_dims
      - .offset:         184
        .size:           4
        .value_kind:     hidden_dynamic_lds_size
    .group_segment_fixed_size: 0
    .kernarg_segment_align: 8
    .kernarg_segment_size: 320
    .language:       OpenCL C
    .language_version:
      - 2
      - 0
    .max_flat_workgroup_size: 1024
    .name:           _ZN12tensorrt_llm7kernels32fusedQKNormRopeKernelNTokenHeadsIN3c108BFloat16ENS2_4HalfELi128ELb0ELi4EEEvPviiifPKvS7_S7_PKlii
    .private_segment_fixed_size: 0
    .sgpr_count:     28
    .sgpr_spill_count: 0
    .symbol:         _ZN12tensorrt_llm7kernels32fusedQKNormRopeKernelNTokenHeadsIN3c108BFloat16ENS2_4HalfELi128ELb0ELi4EEEvPviiifPKvS7_S7_PKlii.kd
    .uniform_work_group_size: 1
    .uses_dynamic_stack: false
    .vgpr_count:     42
    .vgpr_spill_count: 0
    .wavefront_size: 64
  - .agpr_count:     0
    .args:
      - .address_space:  global
        .offset:         0
        .size:           8
        .value_kind:     global_buffer
      - .offset:         8
        .size:           4
        .value_kind:     by_value
      - .offset:         12
        .size:           4
        .value_kind:     by_value
      - .offset:         16
        .size:           4
        .value_kind:     by_value
      - .offset:         20
        .size:           4
        .value_kind:     by_value
      - .address_space:  global
        .offset:         24
        .size:           8
        .value_kind:     global_buffer
      - .address_space:  global
        .offset:         32
        .size:           8
        .value_kind:     global_buffer
      - .address_space:  global
        .offset:         40
        .size:           8
        .value_kind:     global_buffer
      - .address_space:  global
        .offset:         48
        .size:           8
        .value_kind:     global_buffer
      - .offset:         56
        .size:           4
        .value_kind:     by_value
      - .offset:         60
        .size:           4
        .value_kind:     by_value
      - .offset:         64
        .size:           4
        .value_kind:     hidden_block_count_x
      - .offset:         68
        .size:           4
        .value_kind:     hidden_block_count_y
      - .offset:         72
        .size:           4
        .value_kind:     hidden_block_count_z
      - .offset:         76
        .size:           2
        .value_kind:     hidden_group_size_x
      - .offset:         78
        .size:           2
        .value_kind:     hidden_group_size_y
      - .offset:         80
        .size:           2
        .value_kind:     hidden_group_size_z
      - .offset:         82
        .size:           2
        .value_kind:     hidden_remainder_x
      - .offset:         84
        .size:           2
        .value_kind:     hidden_remainder_y
      - .offset:         86
        .size:           2
        .value_kind:     hidden_remainder_z
      - .offset:         104
        .size:           8
        .value_kind:     hidden_global_offset_x
      - .offset:         112
        .size:           8
        .value_kind:     hidden_global_offset_y
      - .offset:         120
        .size:           8
        .value_kind:     hidden_global_offset_z
      - .offset:         128
        .size:           2
        .value_kind:     hidden_grid_dims
      - .offset:         184
        .size:           4
        .value_kind:     hidden_dynamic_lds_size
    .group_segment_fixed_size: 0
    .kernarg_segment_align: 8
    .kernarg_segment_size: 320
    .language:       OpenCL C
    .language_version:
      - 2
      - 0
    .max_flat_workgroup_size: 1024
    .name:           _ZN12tensorrt_llm7kernels32fusedQKNormRopeKernelNTokenHeadsIN3c108BFloat16ENS2_4HalfELi256ELb1ELi4EEEvPviiifPKvS7_S7_PKlii
    .private_segment_fixed_size: 0
    .sgpr_count:     28
    .sgpr_spill_count: 0
    .symbol:         _ZN12tensorrt_llm7kernels32fusedQKNormRopeKernelNTokenHeadsIN3c108BFloat16ENS2_4HalfELi256ELb1ELi4EEEvPviiifPKvS7_S7_PKlii.kd
    .uniform_work_group_size: 1
    .uses_dynamic_stack: false
    .vgpr_count:     52
    .vgpr_spill_count: 0
    .wavefront_size: 64
  - .agpr_count:     0
    .args:
      - .address_space:  global
        .offset:         0
        .size:           8
        .value_kind:     global_buffer
      - .offset:         8
        .size:           4
        .value_kind:     by_value
      - .offset:         12
        .size:           4
        .value_kind:     by_value
      - .offset:         16
        .size:           4
        .value_kind:     by_value
      - .offset:         20
        .size:           4
        .value_kind:     by_value
      - .address_space:  global
        .offset:         24
        .size:           8
        .value_kind:     global_buffer
      - .address_space:  global
        .offset:         32
        .size:           8
        .value_kind:     global_buffer
      - .address_space:  global
        .offset:         40
        .size:           8
        .value_kind:     global_buffer
      - .address_space:  global
        .offset:         48
        .size:           8
        .value_kind:     global_buffer
      - .offset:         56
        .size:           4
        .value_kind:     by_value
      - .offset:         60
        .size:           4
        .value_kind:     by_value
      - .offset:         64
        .size:           4
        .value_kind:     hidden_block_count_x
      - .offset:         68
        .size:           4
        .value_kind:     hidden_block_count_y
      - .offset:         72
        .size:           4
        .value_kind:     hidden_block_count_z
      - .offset:         76
        .size:           2
        .value_kind:     hidden_group_size_x
      - .offset:         78
        .size:           2
        .value_kind:     hidden_group_size_y
      - .offset:         80
        .size:           2
        .value_kind:     hidden_group_size_z
      - .offset:         82
        .size:           2
        .value_kind:     hidden_remainder_x
      - .offset:         84
        .size:           2
        .value_kind:     hidden_remainder_y
      - .offset:         86
        .size:           2
        .value_kind:     hidden_remainder_z
      - .offset:         104
        .size:           8
        .value_kind:     hidden_global_offset_x
      - .offset:         112
        .size:           8
        .value_kind:     hidden_global_offset_y
      - .offset:         120
        .size:           8
        .value_kind:     hidden_global_offset_z
      - .offset:         128
        .size:           2
        .value_kind:     hidden_grid_dims
      - .offset:         184
        .size:           4
        .value_kind:     hidden_dynamic_lds_size
    .group_segment_fixed_size: 0
    .kernarg_segment_align: 8
    .kernarg_segment_size: 320
    .language:       OpenCL C
    .language_version:
      - 2
      - 0
    .max_flat_workgroup_size: 1024
    .name:           _ZN12tensorrt_llm7kernels32fusedQKNormRopeKernelNTokenHeadsIN3c108BFloat16ENS2_4HalfELi256ELb0ELi4EEEvPviiifPKvS7_S7_PKlii
    .private_segment_fixed_size: 0
    .sgpr_count:     28
    .sgpr_spill_count: 0
    .symbol:         _ZN12tensorrt_llm7kernels32fusedQKNormRopeKernelNTokenHeadsIN3c108BFloat16ENS2_4HalfELi256ELb0ELi4EEEvPviiifPKvS7_S7_PKlii.kd
    .uniform_work_group_size: 1
    .uses_dynamic_stack: false
    .vgpr_count:     60
    .vgpr_spill_count: 0
    .wavefront_size: 64
  - .agpr_count:     0
    .args:
      - .address_space:  global
        .offset:         0
        .size:           8
        .value_kind:     global_buffer
      - .offset:         8
        .size:           4
        .value_kind:     by_value
      - .offset:         12
        .size:           4
        .value_kind:     by_value
      - .offset:         16
        .size:           4
        .value_kind:     by_value
      - .offset:         20
        .size:           4
        .value_kind:     by_value
      - .address_space:  global
        .offset:         24
        .size:           8
        .value_kind:     global_buffer
      - .address_space:  global
        .offset:         32
        .size:           8
        .value_kind:     global_buffer
      - .address_space:  global
        .offset:         40
        .size:           8
        .value_kind:     global_buffer
      - .address_space:  global
        .offset:         48
        .size:           8
        .value_kind:     global_buffer
      - .offset:         56
        .size:           4
        .value_kind:     by_value
      - .offset:         60
        .size:           4
        .value_kind:     by_value
      - .offset:         64
        .size:           4
        .value_kind:     hidden_block_count_x
      - .offset:         68
        .size:           4
        .value_kind:     hidden_block_count_y
      - .offset:         72
        .size:           4
        .value_kind:     hidden_block_count_z
      - .offset:         76
        .size:           2
        .value_kind:     hidden_group_size_x
      - .offset:         78
        .size:           2
        .value_kind:     hidden_group_size_y
      - .offset:         80
        .size:           2
        .value_kind:     hidden_group_size_z
      - .offset:         82
        .size:           2
        .value_kind:     hidden_remainder_x
      - .offset:         84
        .size:           2
        .value_kind:     hidden_remainder_y
      - .offset:         86
        .size:           2
        .value_kind:     hidden_remainder_z
      - .offset:         104
        .size:           8
        .value_kind:     hidden_global_offset_x
      - .offset:         112
        .size:           8
        .value_kind:     hidden_global_offset_y
      - .offset:         120
        .size:           8
        .value_kind:     hidden_global_offset_z
      - .offset:         128
        .size:           2
        .value_kind:     hidden_grid_dims
      - .offset:         184
        .size:           4
        .value_kind:     hidden_dynamic_lds_size
    .group_segment_fixed_size: 0
    .kernarg_segment_align: 8
    .kernarg_segment_size: 320
    .language:       OpenCL C
    .language_version:
      - 2
      - 0
    .max_flat_workgroup_size: 1024
    .name:           _ZN12tensorrt_llm7kernels32fusedQKNormRopeKernelNTokenHeadsIN3c108BFloat16ENS2_4HalfELi64ELb1ELi8EEEvPviiifPKvS7_S7_PKlii
    .private_segment_fixed_size: 0
    .sgpr_count:     28
    .sgpr_spill_count: 0
    .symbol:         _ZN12tensorrt_llm7kernels32fusedQKNormRopeKernelNTokenHeadsIN3c108BFloat16ENS2_4HalfELi64ELb1ELi8EEEvPviiifPKvS7_S7_PKlii.kd
    .uniform_work_group_size: 1
    .uses_dynamic_stack: false
    .vgpr_count:     26
    .vgpr_spill_count: 0
    .wavefront_size: 64
  - .agpr_count:     0
    .args:
      - .address_space:  global
        .offset:         0
        .size:           8
        .value_kind:     global_buffer
      - .offset:         8
        .size:           4
        .value_kind:     by_value
      - .offset:         12
        .size:           4
        .value_kind:     by_value
      - .offset:         16
        .size:           4
        .value_kind:     by_value
      - .offset:         20
        .size:           4
        .value_kind:     by_value
      - .address_space:  global
        .offset:         24
        .size:           8
        .value_kind:     global_buffer
      - .address_space:  global
        .offset:         32
        .size:           8
        .value_kind:     global_buffer
      - .address_space:  global
        .offset:         40
        .size:           8
        .value_kind:     global_buffer
      - .address_space:  global
        .offset:         48
        .size:           8
        .value_kind:     global_buffer
      - .offset:         56
        .size:           4
        .value_kind:     by_value
      - .offset:         60
        .size:           4
        .value_kind:     by_value
      - .offset:         64
        .size:           4
        .value_kind:     hidden_block_count_x
      - .offset:         68
        .size:           4
        .value_kind:     hidden_block_count_y
      - .offset:         72
        .size:           4
        .value_kind:     hidden_block_count_z
      - .offset:         76
        .size:           2
        .value_kind:     hidden_group_size_x
      - .offset:         78
        .size:           2
        .value_kind:     hidden_group_size_y
      - .offset:         80
        .size:           2
        .value_kind:     hidden_group_size_z
      - .offset:         82
        .size:           2
        .value_kind:     hidden_remainder_x
      - .offset:         84
        .size:           2
        .value_kind:     hidden_remainder_y
      - .offset:         86
        .size:           2
        .value_kind:     hidden_remainder_z
      - .offset:         104
        .size:           8
        .value_kind:     hidden_global_offset_x
      - .offset:         112
        .size:           8
        .value_kind:     hidden_global_offset_y
      - .offset:         120
        .size:           8
        .value_kind:     hidden_global_offset_z
      - .offset:         128
        .size:           2
        .value_kind:     hidden_grid_dims
      - .offset:         184
        .size:           4
        .value_kind:     hidden_dynamic_lds_size
    .group_segment_fixed_size: 0
    .kernarg_segment_align: 8
    .kernarg_segment_size: 320
    .language:       OpenCL C
    .language_version:
      - 2
      - 0
    .max_flat_workgroup_size: 1024
    .name:           _ZN12tensorrt_llm7kernels32fusedQKNormRopeKernelNTokenHeadsIN3c108BFloat16ENS2_4HalfELi64ELb0ELi8EEEvPviiifPKvS7_S7_PKlii
    .private_segment_fixed_size: 0
    .sgpr_count:     28
    .sgpr_spill_count: 0
    .symbol:         _ZN12tensorrt_llm7kernels32fusedQKNormRopeKernelNTokenHeadsIN3c108BFloat16ENS2_4HalfELi64ELb0ELi8EEEvPviiifPKvS7_S7_PKlii.kd
    .uniform_work_group_size: 1
    .uses_dynamic_stack: false
    .vgpr_count:     28
    .vgpr_spill_count: 0
    .wavefront_size: 64
  - .agpr_count:     0
    .args:
      - .address_space:  global
        .offset:         0
        .size:           8
        .value_kind:     global_buffer
      - .offset:         8
        .size:           4
        .value_kind:     by_value
      - .offset:         12
        .size:           4
        .value_kind:     by_value
      - .offset:         16
        .size:           4
        .value_kind:     by_value
      - .offset:         20
        .size:           4
        .value_kind:     by_value
      - .address_space:  global
        .offset:         24
        .size:           8
        .value_kind:     global_buffer
      - .address_space:  global
        .offset:         32
        .size:           8
        .value_kind:     global_buffer
      - .address_space:  global
        .offset:         40
        .size:           8
        .value_kind:     global_buffer
      - .address_space:  global
        .offset:         48
        .size:           8
        .value_kind:     global_buffer
      - .offset:         56
        .size:           4
        .value_kind:     by_value
      - .offset:         60
        .size:           4
        .value_kind:     by_value
      - .offset:         64
        .size:           4
        .value_kind:     hidden_block_count_x
      - .offset:         68
        .size:           4
        .value_kind:     hidden_block_count_y
      - .offset:         72
        .size:           4
        .value_kind:     hidden_block_count_z
      - .offset:         76
        .size:           2
        .value_kind:     hidden_group_size_x
      - .offset:         78
        .size:           2
        .value_kind:     hidden_group_size_y
      - .offset:         80
        .size:           2
        .value_kind:     hidden_group_size_z
      - .offset:         82
        .size:           2
        .value_kind:     hidden_remainder_x
      - .offset:         84
        .size:           2
        .value_kind:     hidden_remainder_y
      - .offset:         86
        .size:           2
        .value_kind:     hidden_remainder_z
      - .offset:         104
        .size:           8
        .value_kind:     hidden_global_offset_x
      - .offset:         112
        .size:           8
        .value_kind:     hidden_global_offset_y
      - .offset:         120
        .size:           8
        .value_kind:     hidden_global_offset_z
      - .offset:         128
        .size:           2
        .value_kind:     hidden_grid_dims
      - .offset:         184
        .size:           4
        .value_kind:     hidden_dynamic_lds_size
    .group_segment_fixed_size: 0
    .kernarg_segment_align: 8
    .kernarg_segment_size: 320
    .language:       OpenCL C
    .language_version:
      - 2
      - 0
    .max_flat_workgroup_size: 1024
    .name:           _ZN12tensorrt_llm7kernels32fusedQKNormRopeKernelNTokenHeadsIN3c108BFloat16ENS2_4HalfELi128ELb1ELi8EEEvPviiifPKvS7_S7_PKlii
    .private_segment_fixed_size: 0
    .sgpr_count:     28
    .sgpr_spill_count: 0
    .symbol:         _ZN12tensorrt_llm7kernels32fusedQKNormRopeKernelNTokenHeadsIN3c108BFloat16ENS2_4HalfELi128ELb1ELi8EEEvPviiifPKvS7_S7_PKlii.kd
    .uniform_work_group_size: 1
    .uses_dynamic_stack: false
    .vgpr_count:     36
    .vgpr_spill_count: 0
    .wavefront_size: 64
  - .agpr_count:     0
    .args:
      - .address_space:  global
        .offset:         0
        .size:           8
        .value_kind:     global_buffer
      - .offset:         8
        .size:           4
        .value_kind:     by_value
      - .offset:         12
        .size:           4
        .value_kind:     by_value
      - .offset:         16
        .size:           4
        .value_kind:     by_value
      - .offset:         20
        .size:           4
        .value_kind:     by_value
      - .address_space:  global
        .offset:         24
        .size:           8
        .value_kind:     global_buffer
      - .address_space:  global
        .offset:         32
        .size:           8
        .value_kind:     global_buffer
      - .address_space:  global
        .offset:         40
        .size:           8
        .value_kind:     global_buffer
      - .address_space:  global
        .offset:         48
        .size:           8
        .value_kind:     global_buffer
      - .offset:         56
        .size:           4
        .value_kind:     by_value
      - .offset:         60
        .size:           4
        .value_kind:     by_value
      - .offset:         64
        .size:           4
        .value_kind:     hidden_block_count_x
      - .offset:         68
        .size:           4
        .value_kind:     hidden_block_count_y
      - .offset:         72
        .size:           4
        .value_kind:     hidden_block_count_z
      - .offset:         76
        .size:           2
        .value_kind:     hidden_group_size_x
      - .offset:         78
        .size:           2
        .value_kind:     hidden_group_size_y
      - .offset:         80
        .size:           2
        .value_kind:     hidden_group_size_z
      - .offset:         82
        .size:           2
        .value_kind:     hidden_remainder_x
      - .offset:         84
        .size:           2
        .value_kind:     hidden_remainder_y
      - .offset:         86
        .size:           2
        .value_kind:     hidden_remainder_z
      - .offset:         104
        .size:           8
        .value_kind:     hidden_global_offset_x
      - .offset:         112
        .size:           8
        .value_kind:     hidden_global_offset_y
      - .offset:         120
        .size:           8
        .value_kind:     hidden_global_offset_z
      - .offset:         128
        .size:           2
        .value_kind:     hidden_grid_dims
      - .offset:         184
        .size:           4
        .value_kind:     hidden_dynamic_lds_size
    .group_segment_fixed_size: 0
    .kernarg_segment_align: 8
    .kernarg_segment_size: 320
    .language:       OpenCL C
    .language_version:
      - 2
      - 0
    .max_flat_workgroup_size: 1024
    .name:           _ZN12tensorrt_llm7kernels32fusedQKNormRopeKernelNTokenHeadsIN3c108BFloat16ENS2_4HalfELi128ELb0ELi8EEEvPviiifPKvS7_S7_PKlii
    .private_segment_fixed_size: 0
    .sgpr_count:     28
    .sgpr_spill_count: 0
    .symbol:         _ZN12tensorrt_llm7kernels32fusedQKNormRopeKernelNTokenHeadsIN3c108BFloat16ENS2_4HalfELi128ELb0ELi8EEEvPviiifPKvS7_S7_PKlii.kd
    .uniform_work_group_size: 1
    .uses_dynamic_stack: false
    .vgpr_count:     42
    .vgpr_spill_count: 0
    .wavefront_size: 64
  - .agpr_count:     0
    .args:
      - .address_space:  global
        .offset:         0
        .size:           8
        .value_kind:     global_buffer
      - .offset:         8
        .size:           4
        .value_kind:     by_value
      - .offset:         12
        .size:           4
        .value_kind:     by_value
      - .offset:         16
        .size:           4
        .value_kind:     by_value
      - .offset:         20
        .size:           4
        .value_kind:     by_value
      - .address_space:  global
        .offset:         24
        .size:           8
        .value_kind:     global_buffer
      - .address_space:  global
        .offset:         32
        .size:           8
        .value_kind:     global_buffer
      - .address_space:  global
        .offset:         40
        .size:           8
        .value_kind:     global_buffer
      - .address_space:  global
        .offset:         48
        .size:           8
        .value_kind:     global_buffer
      - .offset:         56
        .size:           4
        .value_kind:     by_value
      - .offset:         60
        .size:           4
        .value_kind:     by_value
      - .offset:         64
        .size:           4
        .value_kind:     hidden_block_count_x
      - .offset:         68
        .size:           4
        .value_kind:     hidden_block_count_y
      - .offset:         72
        .size:           4
        .value_kind:     hidden_block_count_z
      - .offset:         76
        .size:           2
        .value_kind:     hidden_group_size_x
      - .offset:         78
        .size:           2
        .value_kind:     hidden_group_size_y
      - .offset:         80
        .size:           2
        .value_kind:     hidden_group_size_z
      - .offset:         82
        .size:           2
        .value_kind:     hidden_remainder_x
      - .offset:         84
        .size:           2
        .value_kind:     hidden_remainder_y
      - .offset:         86
        .size:           2
        .value_kind:     hidden_remainder_z
      - .offset:         104
        .size:           8
        .value_kind:     hidden_global_offset_x
      - .offset:         112
        .size:           8
        .value_kind:     hidden_global_offset_y
      - .offset:         120
        .size:           8
        .value_kind:     hidden_global_offset_z
      - .offset:         128
        .size:           2
        .value_kind:     hidden_grid_dims
      - .offset:         184
        .size:           4
        .value_kind:     hidden_dynamic_lds_size
    .group_segment_fixed_size: 0
    .kernarg_segment_align: 8
    .kernarg_segment_size: 320
    .language:       OpenCL C
    .language_version:
      - 2
      - 0
    .max_flat_workgroup_size: 1024
    .name:           _ZN12tensorrt_llm7kernels32fusedQKNormRopeKernelNTokenHeadsIN3c108BFloat16ENS2_4HalfELi256ELb1ELi8EEEvPviiifPKvS7_S7_PKlii
    .private_segment_fixed_size: 0
    .sgpr_count:     28
    .sgpr_spill_count: 0
    .symbol:         _ZN12tensorrt_llm7kernels32fusedQKNormRopeKernelNTokenHeadsIN3c108BFloat16ENS2_4HalfELi256ELb1ELi8EEEvPviiifPKvS7_S7_PKlii.kd
    .uniform_work_group_size: 1
    .uses_dynamic_stack: false
    .vgpr_count:     52
    .vgpr_spill_count: 0
    .wavefront_size: 64
  - .agpr_count:     0
    .args:
      - .address_space:  global
        .offset:         0
        .size:           8
        .value_kind:     global_buffer
      - .offset:         8
        .size:           4
        .value_kind:     by_value
      - .offset:         12
        .size:           4
        .value_kind:     by_value
      - .offset:         16
        .size:           4
        .value_kind:     by_value
      - .offset:         20
        .size:           4
        .value_kind:     by_value
      - .address_space:  global
        .offset:         24
        .size:           8
        .value_kind:     global_buffer
      - .address_space:  global
        .offset:         32
        .size:           8
        .value_kind:     global_buffer
      - .address_space:  global
        .offset:         40
        .size:           8
        .value_kind:     global_buffer
      - .address_space:  global
        .offset:         48
        .size:           8
        .value_kind:     global_buffer
      - .offset:         56
        .size:           4
        .value_kind:     by_value
      - .offset:         60
        .size:           4
        .value_kind:     by_value
      - .offset:         64
        .size:           4
        .value_kind:     hidden_block_count_x
      - .offset:         68
        .size:           4
        .value_kind:     hidden_block_count_y
      - .offset:         72
        .size:           4
        .value_kind:     hidden_block_count_z
      - .offset:         76
        .size:           2
        .value_kind:     hidden_group_size_x
      - .offset:         78
        .size:           2
        .value_kind:     hidden_group_size_y
      - .offset:         80
        .size:           2
        .value_kind:     hidden_group_size_z
      - .offset:         82
        .size:           2
        .value_kind:     hidden_remainder_x
      - .offset:         84
        .size:           2
        .value_kind:     hidden_remainder_y
      - .offset:         86
        .size:           2
        .value_kind:     hidden_remainder_z
      - .offset:         104
        .size:           8
        .value_kind:     hidden_global_offset_x
      - .offset:         112
        .size:           8
        .value_kind:     hidden_global_offset_y
      - .offset:         120
        .size:           8
        .value_kind:     hidden_global_offset_z
      - .offset:         128
        .size:           2
        .value_kind:     hidden_grid_dims
      - .offset:         184
        .size:           4
        .value_kind:     hidden_dynamic_lds_size
    .group_segment_fixed_size: 0
    .kernarg_segment_align: 8
    .kernarg_segment_size: 320
    .language:       OpenCL C
    .language_version:
      - 2
      - 0
    .max_flat_workgroup_size: 1024
    .name:           _ZN12tensorrt_llm7kernels32fusedQKNormRopeKernelNTokenHeadsIN3c108BFloat16ENS2_4HalfELi256ELb0ELi8EEEvPviiifPKvS7_S7_PKlii
    .private_segment_fixed_size: 0
    .sgpr_count:     28
    .sgpr_spill_count: 0
    .symbol:         _ZN12tensorrt_llm7kernels32fusedQKNormRopeKernelNTokenHeadsIN3c108BFloat16ENS2_4HalfELi256ELb0ELi8EEEvPviiifPKvS7_S7_PKlii.kd
    .uniform_work_group_size: 1
    .uses_dynamic_stack: false
    .vgpr_count:     60
    .vgpr_spill_count: 0
    .wavefront_size: 64
  - .agpr_count:     0
    .args:
      - .address_space:  global
        .offset:         0
        .size:           8
        .value_kind:     global_buffer
      - .offset:         8
        .size:           4
        .value_kind:     by_value
      - .offset:         12
        .size:           4
        .value_kind:     by_value
      - .offset:         16
        .size:           4
        .value_kind:     by_value
      - .offset:         20
        .size:           4
        .value_kind:     by_value
      - .address_space:  global
        .offset:         24
        .size:           8
        .value_kind:     global_buffer
      - .address_space:  global
        .offset:         32
        .size:           8
        .value_kind:     global_buffer
      - .address_space:  global
        .offset:         40
        .size:           8
        .value_kind:     global_buffer
      - .address_space:  global
        .offset:         48
        .size:           8
        .value_kind:     global_buffer
      - .offset:         56
        .size:           4
        .value_kind:     by_value
      - .offset:         60
        .size:           4
        .value_kind:     by_value
      - .offset:         64
        .size:           4
        .value_kind:     hidden_block_count_x
      - .offset:         68
        .size:           4
        .value_kind:     hidden_block_count_y
      - .offset:         72
        .size:           4
        .value_kind:     hidden_block_count_z
      - .offset:         76
        .size:           2
        .value_kind:     hidden_group_size_x
      - .offset:         78
        .size:           2
        .value_kind:     hidden_group_size_y
      - .offset:         80
        .size:           2
        .value_kind:     hidden_group_size_z
      - .offset:         82
        .size:           2
        .value_kind:     hidden_remainder_x
      - .offset:         84
        .size:           2
        .value_kind:     hidden_remainder_y
      - .offset:         86
        .size:           2
        .value_kind:     hidden_remainder_z
      - .offset:         104
        .size:           8
        .value_kind:     hidden_global_offset_x
      - .offset:         112
        .size:           8
        .value_kind:     hidden_global_offset_y
      - .offset:         120
        .size:           8
        .value_kind:     hidden_global_offset_z
      - .offset:         128
        .size:           2
        .value_kind:     hidden_grid_dims
    .group_segment_fixed_size: 0
    .kernarg_segment_align: 8
    .kernarg_segment_size: 320
    .language:       OpenCL C
    .language_version:
      - 2
      - 0
    .max_flat_workgroup_size: 1024
    .name:           _ZN12tensorrt_llm7kernels21fusedQKNormRopeKernelIN3c108BFloat16ES3_Li64ELb1EEEvPviiifPKvS6_S6_PKlii
    .private_segment_fixed_size: 0
    .sgpr_count:     18
    .sgpr_spill_count: 0
    .symbol:         _ZN12tensorrt_llm7kernels21fusedQKNormRopeKernelIN3c108BFloat16ES3_Li64ELb1EEEvPviiifPKvS6_S6_PKlii.kd
    .uniform_work_group_size: 1
    .uses_dynamic_stack: false
    .vgpr_count:     14
    .vgpr_spill_count: 0
    .wavefront_size: 64
  - .agpr_count:     0
    .args:
      - .address_space:  global
        .offset:         0
        .size:           8
        .value_kind:     global_buffer
      - .offset:         8
        .size:           4
        .value_kind:     by_value
      - .offset:         12
        .size:           4
        .value_kind:     by_value
      - .offset:         16
        .size:           4
        .value_kind:     by_value
      - .offset:         20
        .size:           4
        .value_kind:     by_value
      - .address_space:  global
        .offset:         24
        .size:           8
        .value_kind:     global_buffer
      - .address_space:  global
        .offset:         32
        .size:           8
        .value_kind:     global_buffer
      - .address_space:  global
        .offset:         40
        .size:           8
        .value_kind:     global_buffer
      - .address_space:  global
        .offset:         48
        .size:           8
        .value_kind:     global_buffer
      - .offset:         56
        .size:           4
        .value_kind:     by_value
      - .offset:         60
        .size:           4
        .value_kind:     by_value
      - .offset:         64
        .size:           4
        .value_kind:     hidden_block_count_x
      - .offset:         68
        .size:           4
        .value_kind:     hidden_block_count_y
      - .offset:         72
        .size:           4
        .value_kind:     hidden_block_count_z
      - .offset:         76
        .size:           2
        .value_kind:     hidden_group_size_x
      - .offset:         78
        .size:           2
        .value_kind:     hidden_group_size_y
      - .offset:         80
        .size:           2
        .value_kind:     hidden_group_size_z
      - .offset:         82
        .size:           2
        .value_kind:     hidden_remainder_x
      - .offset:         84
        .size:           2
        .value_kind:     hidden_remainder_y
      - .offset:         86
        .size:           2
        .value_kind:     hidden_remainder_z
      - .offset:         104
        .size:           8
        .value_kind:     hidden_global_offset_x
      - .offset:         112
        .size:           8
        .value_kind:     hidden_global_offset_y
      - .offset:         120
        .size:           8
        .value_kind:     hidden_global_offset_z
      - .offset:         128
        .size:           2
        .value_kind:     hidden_grid_dims
    .group_segment_fixed_size: 0
    .kernarg_segment_align: 8
    .kernarg_segment_size: 320
    .language:       OpenCL C
    .language_version:
      - 2
      - 0
    .max_flat_workgroup_size: 1024
    .name:           _ZN12tensorrt_llm7kernels21fusedQKNormRopeKernelIN3c108BFloat16ES3_Li64ELb0EEEvPviiifPKvS6_S6_PKlii
    .private_segment_fixed_size: 0
    .sgpr_count:     18
    .sgpr_spill_count: 0
    .symbol:         _ZN12tensorrt_llm7kernels21fusedQKNormRopeKernelIN3c108BFloat16ES3_Li64ELb0EEEvPviiifPKvS6_S6_PKlii.kd
    .uniform_work_group_size: 1
    .uses_dynamic_stack: false
    .vgpr_count:     18
    .vgpr_spill_count: 0
    .wavefront_size: 64
  - .agpr_count:     0
    .args:
      - .address_space:  global
        .offset:         0
        .size:           8
        .value_kind:     global_buffer
      - .offset:         8
        .size:           4
        .value_kind:     by_value
      - .offset:         12
        .size:           4
        .value_kind:     by_value
      - .offset:         16
        .size:           4
        .value_kind:     by_value
      - .offset:         20
        .size:           4
        .value_kind:     by_value
      - .address_space:  global
        .offset:         24
        .size:           8
        .value_kind:     global_buffer
      - .address_space:  global
        .offset:         32
        .size:           8
        .value_kind:     global_buffer
      - .address_space:  global
        .offset:         40
        .size:           8
        .value_kind:     global_buffer
      - .address_space:  global
        .offset:         48
        .size:           8
        .value_kind:     global_buffer
      - .offset:         56
        .size:           4
        .value_kind:     by_value
      - .offset:         60
        .size:           4
        .value_kind:     by_value
      - .offset:         64
        .size:           4
        .value_kind:     hidden_block_count_x
      - .offset:         68
        .size:           4
        .value_kind:     hidden_block_count_y
      - .offset:         72
        .size:           4
        .value_kind:     hidden_block_count_z
      - .offset:         76
        .size:           2
        .value_kind:     hidden_group_size_x
      - .offset:         78
        .size:           2
        .value_kind:     hidden_group_size_y
      - .offset:         80
        .size:           2
        .value_kind:     hidden_group_size_z
      - .offset:         82
        .size:           2
        .value_kind:     hidden_remainder_x
      - .offset:         84
        .size:           2
        .value_kind:     hidden_remainder_y
      - .offset:         86
        .size:           2
        .value_kind:     hidden_remainder_z
      - .offset:         104
        .size:           8
        .value_kind:     hidden_global_offset_x
      - .offset:         112
        .size:           8
        .value_kind:     hidden_global_offset_y
      - .offset:         120
        .size:           8
        .value_kind:     hidden_global_offset_z
      - .offset:         128
        .size:           2
        .value_kind:     hidden_grid_dims
    .group_segment_fixed_size: 0
    .kernarg_segment_align: 8
    .kernarg_segment_size: 320
    .language:       OpenCL C
    .language_version:
      - 2
      - 0
    .max_flat_workgroup_size: 1024
    .name:           _ZN12tensorrt_llm7kernels21fusedQKNormRopeKernelIN3c108BFloat16ES3_Li128ELb1EEEvPviiifPKvS6_S6_PKlii
    .private_segment_fixed_size: 0
    .sgpr_count:     18
    .sgpr_spill_count: 0
    .symbol:         _ZN12tensorrt_llm7kernels21fusedQKNormRopeKernelIN3c108BFloat16ES3_Li128ELb1EEEvPviiifPKvS6_S6_PKlii.kd
    .uniform_work_group_size: 1
    .uses_dynamic_stack: false
    .vgpr_count:     20
    .vgpr_spill_count: 0
    .wavefront_size: 64
  - .agpr_count:     0
    .args:
      - .address_space:  global
        .offset:         0
        .size:           8
        .value_kind:     global_buffer
      - .offset:         8
        .size:           4
        .value_kind:     by_value
      - .offset:         12
        .size:           4
        .value_kind:     by_value
      - .offset:         16
        .size:           4
        .value_kind:     by_value
      - .offset:         20
        .size:           4
        .value_kind:     by_value
      - .address_space:  global
        .offset:         24
        .size:           8
        .value_kind:     global_buffer
      - .address_space:  global
        .offset:         32
        .size:           8
        .value_kind:     global_buffer
      - .address_space:  global
        .offset:         40
        .size:           8
        .value_kind:     global_buffer
      - .address_space:  global
        .offset:         48
        .size:           8
        .value_kind:     global_buffer
      - .offset:         56
        .size:           4
        .value_kind:     by_value
      - .offset:         60
        .size:           4
        .value_kind:     by_value
      - .offset:         64
        .size:           4
        .value_kind:     hidden_block_count_x
      - .offset:         68
        .size:           4
        .value_kind:     hidden_block_count_y
      - .offset:         72
        .size:           4
        .value_kind:     hidden_block_count_z
      - .offset:         76
        .size:           2
        .value_kind:     hidden_group_size_x
      - .offset:         78
        .size:           2
        .value_kind:     hidden_group_size_y
      - .offset:         80
        .size:           2
        .value_kind:     hidden_group_size_z
      - .offset:         82
        .size:           2
        .value_kind:     hidden_remainder_x
      - .offset:         84
        .size:           2
        .value_kind:     hidden_remainder_y
      - .offset:         86
        .size:           2
        .value_kind:     hidden_remainder_z
      - .offset:         104
        .size:           8
        .value_kind:     hidden_global_offset_x
      - .offset:         112
        .size:           8
        .value_kind:     hidden_global_offset_y
      - .offset:         120
        .size:           8
        .value_kind:     hidden_global_offset_z
      - .offset:         128
        .size:           2
        .value_kind:     hidden_grid_dims
    .group_segment_fixed_size: 0
    .kernarg_segment_align: 8
    .kernarg_segment_size: 320
    .language:       OpenCL C
    .language_version:
      - 2
      - 0
    .max_flat_workgroup_size: 1024
    .name:           _ZN12tensorrt_llm7kernels21fusedQKNormRopeKernelIN3c108BFloat16ES3_Li128ELb0EEEvPviiifPKvS6_S6_PKlii
    .private_segment_fixed_size: 0
    .sgpr_count:     18
    .sgpr_spill_count: 0
    .symbol:         _ZN12tensorrt_llm7kernels21fusedQKNormRopeKernelIN3c108BFloat16ES3_Li128ELb0EEEvPviiifPKvS6_S6_PKlii.kd
    .uniform_work_group_size: 1
    .uses_dynamic_stack: false
    .vgpr_count:     32
    .vgpr_spill_count: 0
    .wavefront_size: 64
  - .agpr_count:     0
    .args:
      - .address_space:  global
        .offset:         0
        .size:           8
        .value_kind:     global_buffer
      - .offset:         8
        .size:           4
        .value_kind:     by_value
      - .offset:         12
        .size:           4
        .value_kind:     by_value
      - .offset:         16
        .size:           4
        .value_kind:     by_value
      - .offset:         20
        .size:           4
        .value_kind:     by_value
      - .address_space:  global
        .offset:         24
        .size:           8
        .value_kind:     global_buffer
      - .address_space:  global
        .offset:         32
        .size:           8
        .value_kind:     global_buffer
      - .address_space:  global
        .offset:         40
        .size:           8
        .value_kind:     global_buffer
      - .address_space:  global
        .offset:         48
        .size:           8
        .value_kind:     global_buffer
      - .offset:         56
        .size:           4
        .value_kind:     by_value
      - .offset:         60
        .size:           4
        .value_kind:     by_value
      - .offset:         64
        .size:           4
        .value_kind:     hidden_block_count_x
      - .offset:         68
        .size:           4
        .value_kind:     hidden_block_count_y
      - .offset:         72
        .size:           4
        .value_kind:     hidden_block_count_z
      - .offset:         76
        .size:           2
        .value_kind:     hidden_group_size_x
      - .offset:         78
        .size:           2
        .value_kind:     hidden_group_size_y
      - .offset:         80
        .size:           2
        .value_kind:     hidden_group_size_z
      - .offset:         82
        .size:           2
        .value_kind:     hidden_remainder_x
      - .offset:         84
        .size:           2
        .value_kind:     hidden_remainder_y
      - .offset:         86
        .size:           2
        .value_kind:     hidden_remainder_z
      - .offset:         104
        .size:           8
        .value_kind:     hidden_global_offset_x
      - .offset:         112
        .size:           8
        .value_kind:     hidden_global_offset_y
      - .offset:         120
        .size:           8
        .value_kind:     hidden_global_offset_z
      - .offset:         128
        .size:           2
        .value_kind:     hidden_grid_dims
    .group_segment_fixed_size: 0
    .kernarg_segment_align: 8
    .kernarg_segment_size: 320
    .language:       OpenCL C
    .language_version:
      - 2
      - 0
    .max_flat_workgroup_size: 1024
    .name:           _ZN12tensorrt_llm7kernels21fusedQKNormRopeKernelIN3c108BFloat16ES3_Li256ELb1EEEvPviiifPKvS6_S6_PKlii
    .private_segment_fixed_size: 0
    .sgpr_count:     18
    .sgpr_spill_count: 0
    .symbol:         _ZN12tensorrt_llm7kernels21fusedQKNormRopeKernelIN3c108BFloat16ES3_Li256ELb1EEEvPviiifPKvS6_S6_PKlii.kd
    .uniform_work_group_size: 1
    .uses_dynamic_stack: false
    .vgpr_count:     32
    .vgpr_spill_count: 0
    .wavefront_size: 64
  - .agpr_count:     0
    .args:
      - .address_space:  global
        .offset:         0
        .size:           8
        .value_kind:     global_buffer
      - .offset:         8
        .size:           4
        .value_kind:     by_value
      - .offset:         12
        .size:           4
        .value_kind:     by_value
      - .offset:         16
        .size:           4
        .value_kind:     by_value
      - .offset:         20
        .size:           4
        .value_kind:     by_value
      - .address_space:  global
        .offset:         24
        .size:           8
        .value_kind:     global_buffer
      - .address_space:  global
        .offset:         32
        .size:           8
        .value_kind:     global_buffer
      - .address_space:  global
        .offset:         40
        .size:           8
        .value_kind:     global_buffer
      - .address_space:  global
        .offset:         48
        .size:           8
        .value_kind:     global_buffer
      - .offset:         56
        .size:           4
        .value_kind:     by_value
      - .offset:         60
        .size:           4
        .value_kind:     by_value
      - .offset:         64
        .size:           4
        .value_kind:     hidden_block_count_x
      - .offset:         68
        .size:           4
        .value_kind:     hidden_block_count_y
      - .offset:         72
        .size:           4
        .value_kind:     hidden_block_count_z
      - .offset:         76
        .size:           2
        .value_kind:     hidden_group_size_x
      - .offset:         78
        .size:           2
        .value_kind:     hidden_group_size_y
      - .offset:         80
        .size:           2
        .value_kind:     hidden_group_size_z
      - .offset:         82
        .size:           2
        .value_kind:     hidden_remainder_x
      - .offset:         84
        .size:           2
        .value_kind:     hidden_remainder_y
      - .offset:         86
        .size:           2
        .value_kind:     hidden_remainder_z
      - .offset:         104
        .size:           8
        .value_kind:     hidden_global_offset_x
      - .offset:         112
        .size:           8
        .value_kind:     hidden_global_offset_y
      - .offset:         120
        .size:           8
        .value_kind:     hidden_global_offset_z
      - .offset:         128
        .size:           2
        .value_kind:     hidden_grid_dims
    .group_segment_fixed_size: 0
    .kernarg_segment_align: 8
    .kernarg_segment_size: 320
    .language:       OpenCL C
    .language_version:
      - 2
      - 0
    .max_flat_workgroup_size: 1024
    .name:           _ZN12tensorrt_llm7kernels21fusedQKNormRopeKernelIN3c108BFloat16ES3_Li256ELb0EEEvPviiifPKvS6_S6_PKlii
    .private_segment_fixed_size: 0
    .sgpr_count:     18
    .sgpr_spill_count: 0
    .symbol:         _ZN12tensorrt_llm7kernels21fusedQKNormRopeKernelIN3c108BFloat16ES3_Li256ELb0EEEvPviiifPKvS6_S6_PKlii.kd
    .uniform_work_group_size: 1
    .uses_dynamic_stack: false
    .vgpr_count:     44
    .vgpr_spill_count: 0
    .wavefront_size: 64
  - .agpr_count:     0
    .args:
      - .address_space:  global
        .offset:         0
        .size:           8
        .value_kind:     global_buffer
      - .offset:         8
        .size:           4
        .value_kind:     by_value
      - .offset:         12
        .size:           4
        .value_kind:     by_value
      - .offset:         16
        .size:           4
        .value_kind:     by_value
      - .offset:         20
        .size:           4
        .value_kind:     by_value
      - .address_space:  global
        .offset:         24
        .size:           8
        .value_kind:     global_buffer
      - .address_space:  global
        .offset:         32
        .size:           8
        .value_kind:     global_buffer
      - .address_space:  global
        .offset:         40
        .size:           8
        .value_kind:     global_buffer
      - .address_space:  global
        .offset:         48
        .size:           8
        .value_kind:     global_buffer
      - .offset:         56
        .size:           4
        .value_kind:     by_value
      - .offset:         60
        .size:           4
        .value_kind:     by_value
      - .offset:         64
        .size:           4
        .value_kind:     hidden_block_count_x
      - .offset:         68
        .size:           4
        .value_kind:     hidden_block_count_y
      - .offset:         72
        .size:           4
        .value_kind:     hidden_block_count_z
      - .offset:         76
        .size:           2
        .value_kind:     hidden_group_size_x
      - .offset:         78
        .size:           2
        .value_kind:     hidden_group_size_y
      - .offset:         80
        .size:           2
        .value_kind:     hidden_group_size_z
      - .offset:         82
        .size:           2
        .value_kind:     hidden_remainder_x
      - .offset:         84
        .size:           2
        .value_kind:     hidden_remainder_y
      - .offset:         86
        .size:           2
        .value_kind:     hidden_remainder_z
      - .offset:         104
        .size:           8
        .value_kind:     hidden_global_offset_x
      - .offset:         112
        .size:           8
        .value_kind:     hidden_global_offset_y
      - .offset:         120
        .size:           8
        .value_kind:     hidden_global_offset_z
      - .offset:         128
        .size:           2
        .value_kind:     hidden_grid_dims
      - .offset:         184
        .size:           4
        .value_kind:     hidden_dynamic_lds_size
    .group_segment_fixed_size: 0
    .kernarg_segment_align: 8
    .kernarg_segment_size: 320
    .language:       OpenCL C
    .language_version:
      - 2
      - 0
    .max_flat_workgroup_size: 1024
    .name:           _ZN12tensorrt_llm7kernels32fusedQKNormRopeKernelNTokenHeadsIN3c108BFloat16ES3_Li64ELb1ELi2EEEvPviiifPKvS6_S6_PKlii
    .private_segment_fixed_size: 0
    .sgpr_count:     28
    .sgpr_spill_count: 0
    .symbol:         _ZN12tensorrt_llm7kernels32fusedQKNormRopeKernelNTokenHeadsIN3c108BFloat16ES3_Li64ELb1ELi2EEEvPviiifPKvS6_S6_PKlii.kd
    .uniform_work_group_size: 1
    .uses_dynamic_stack: false
    .vgpr_count:     26
    .vgpr_spill_count: 0
    .wavefront_size: 64
  - .agpr_count:     0
    .args:
      - .address_space:  global
        .offset:         0
        .size:           8
        .value_kind:     global_buffer
      - .offset:         8
        .size:           4
        .value_kind:     by_value
      - .offset:         12
        .size:           4
        .value_kind:     by_value
      - .offset:         16
        .size:           4
        .value_kind:     by_value
      - .offset:         20
        .size:           4
        .value_kind:     by_value
      - .address_space:  global
        .offset:         24
        .size:           8
        .value_kind:     global_buffer
      - .address_space:  global
        .offset:         32
        .size:           8
        .value_kind:     global_buffer
      - .address_space:  global
        .offset:         40
        .size:           8
        .value_kind:     global_buffer
      - .address_space:  global
        .offset:         48
        .size:           8
        .value_kind:     global_buffer
      - .offset:         56
        .size:           4
        .value_kind:     by_value
      - .offset:         60
        .size:           4
        .value_kind:     by_value
      - .offset:         64
        .size:           4
        .value_kind:     hidden_block_count_x
      - .offset:         68
        .size:           4
        .value_kind:     hidden_block_count_y
      - .offset:         72
        .size:           4
        .value_kind:     hidden_block_count_z
      - .offset:         76
        .size:           2
        .value_kind:     hidden_group_size_x
      - .offset:         78
        .size:           2
        .value_kind:     hidden_group_size_y
      - .offset:         80
        .size:           2
        .value_kind:     hidden_group_size_z
      - .offset:         82
        .size:           2
        .value_kind:     hidden_remainder_x
      - .offset:         84
        .size:           2
        .value_kind:     hidden_remainder_y
      - .offset:         86
        .size:           2
        .value_kind:     hidden_remainder_z
      - .offset:         104
        .size:           8
        .value_kind:     hidden_global_offset_x
      - .offset:         112
        .size:           8
        .value_kind:     hidden_global_offset_y
      - .offset:         120
        .size:           8
        .value_kind:     hidden_global_offset_z
      - .offset:         128
        .size:           2
        .value_kind:     hidden_grid_dims
      - .offset:         184
        .size:           4
        .value_kind:     hidden_dynamic_lds_size
    .group_segment_fixed_size: 0
    .kernarg_segment_align: 8
    .kernarg_segment_size: 320
    .language:       OpenCL C
    .language_version:
      - 2
      - 0
    .max_flat_workgroup_size: 1024
    .name:           _ZN12tensorrt_llm7kernels32fusedQKNormRopeKernelNTokenHeadsIN3c108BFloat16ES3_Li64ELb0ELi2EEEvPviiifPKvS6_S6_PKlii
    .private_segment_fixed_size: 0
    .sgpr_count:     28
    .sgpr_spill_count: 0
    .symbol:         _ZN12tensorrt_llm7kernels32fusedQKNormRopeKernelNTokenHeadsIN3c108BFloat16ES3_Li64ELb0ELi2EEEvPviiifPKvS6_S6_PKlii.kd
    .uniform_work_group_size: 1
    .uses_dynamic_stack: false
    .vgpr_count:     28
    .vgpr_spill_count: 0
    .wavefront_size: 64
  - .agpr_count:     0
    .args:
      - .address_space:  global
        .offset:         0
        .size:           8
        .value_kind:     global_buffer
      - .offset:         8
        .size:           4
        .value_kind:     by_value
      - .offset:         12
        .size:           4
        .value_kind:     by_value
      - .offset:         16
        .size:           4
        .value_kind:     by_value
      - .offset:         20
        .size:           4
        .value_kind:     by_value
      - .address_space:  global
        .offset:         24
        .size:           8
        .value_kind:     global_buffer
      - .address_space:  global
        .offset:         32
        .size:           8
        .value_kind:     global_buffer
      - .address_space:  global
        .offset:         40
        .size:           8
        .value_kind:     global_buffer
      - .address_space:  global
        .offset:         48
        .size:           8
        .value_kind:     global_buffer
      - .offset:         56
        .size:           4
        .value_kind:     by_value
      - .offset:         60
        .size:           4
        .value_kind:     by_value
      - .offset:         64
        .size:           4
        .value_kind:     hidden_block_count_x
      - .offset:         68
        .size:           4
        .value_kind:     hidden_block_count_y
      - .offset:         72
        .size:           4
        .value_kind:     hidden_block_count_z
      - .offset:         76
        .size:           2
        .value_kind:     hidden_group_size_x
      - .offset:         78
        .size:           2
        .value_kind:     hidden_group_size_y
      - .offset:         80
        .size:           2
        .value_kind:     hidden_group_size_z
      - .offset:         82
        .size:           2
        .value_kind:     hidden_remainder_x
      - .offset:         84
        .size:           2
        .value_kind:     hidden_remainder_y
      - .offset:         86
        .size:           2
        .value_kind:     hidden_remainder_z
      - .offset:         104
        .size:           8
        .value_kind:     hidden_global_offset_x
      - .offset:         112
        .size:           8
        .value_kind:     hidden_global_offset_y
      - .offset:         120
        .size:           8
        .value_kind:     hidden_global_offset_z
      - .offset:         128
        .size:           2
        .value_kind:     hidden_grid_dims
      - .offset:         184
        .size:           4
        .value_kind:     hidden_dynamic_lds_size
    .group_segment_fixed_size: 0
    .kernarg_segment_align: 8
    .kernarg_segment_size: 320
    .language:       OpenCL C
    .language_version:
      - 2
      - 0
    .max_flat_workgroup_size: 1024
    .name:           _ZN12tensorrt_llm7kernels32fusedQKNormRopeKernelNTokenHeadsIN3c108BFloat16ES3_Li128ELb1ELi2EEEvPviiifPKvS6_S6_PKlii
    .private_segment_fixed_size: 0
    .sgpr_count:     28
    .sgpr_spill_count: 0
    .symbol:         _ZN12tensorrt_llm7kernels32fusedQKNormRopeKernelNTokenHeadsIN3c108BFloat16ES3_Li128ELb1ELi2EEEvPviiifPKvS6_S6_PKlii.kd
    .uniform_work_group_size: 1
    .uses_dynamic_stack: false
    .vgpr_count:     36
    .vgpr_spill_count: 0
    .wavefront_size: 64
  - .agpr_count:     0
    .args:
      - .address_space:  global
        .offset:         0
        .size:           8
        .value_kind:     global_buffer
      - .offset:         8
        .size:           4
        .value_kind:     by_value
      - .offset:         12
        .size:           4
        .value_kind:     by_value
      - .offset:         16
        .size:           4
        .value_kind:     by_value
      - .offset:         20
        .size:           4
        .value_kind:     by_value
      - .address_space:  global
        .offset:         24
        .size:           8
        .value_kind:     global_buffer
      - .address_space:  global
        .offset:         32
        .size:           8
        .value_kind:     global_buffer
      - .address_space:  global
        .offset:         40
        .size:           8
        .value_kind:     global_buffer
      - .address_space:  global
        .offset:         48
        .size:           8
        .value_kind:     global_buffer
      - .offset:         56
        .size:           4
        .value_kind:     by_value
      - .offset:         60
        .size:           4
        .value_kind:     by_value
      - .offset:         64
        .size:           4
        .value_kind:     hidden_block_count_x
      - .offset:         68
        .size:           4
        .value_kind:     hidden_block_count_y
      - .offset:         72
        .size:           4
        .value_kind:     hidden_block_count_z
      - .offset:         76
        .size:           2
        .value_kind:     hidden_group_size_x
      - .offset:         78
        .size:           2
        .value_kind:     hidden_group_size_y
      - .offset:         80
        .size:           2
        .value_kind:     hidden_group_size_z
      - .offset:         82
        .size:           2
        .value_kind:     hidden_remainder_x
      - .offset:         84
        .size:           2
        .value_kind:     hidden_remainder_y
      - .offset:         86
        .size:           2
        .value_kind:     hidden_remainder_z
      - .offset:         104
        .size:           8
        .value_kind:     hidden_global_offset_x
      - .offset:         112
        .size:           8
        .value_kind:     hidden_global_offset_y
      - .offset:         120
        .size:           8
        .value_kind:     hidden_global_offset_z
      - .offset:         128
        .size:           2
        .value_kind:     hidden_grid_dims
      - .offset:         184
        .size:           4
        .value_kind:     hidden_dynamic_lds_size
    .group_segment_fixed_size: 0
    .kernarg_segment_align: 8
    .kernarg_segment_size: 320
    .language:       OpenCL C
    .language_version:
      - 2
      - 0
    .max_flat_workgroup_size: 1024
    .name:           _ZN12tensorrt_llm7kernels32fusedQKNormRopeKernelNTokenHeadsIN3c108BFloat16ES3_Li128ELb0ELi2EEEvPviiifPKvS6_S6_PKlii
    .private_segment_fixed_size: 0
    .sgpr_count:     28
    .sgpr_spill_count: 0
    .symbol:         _ZN12tensorrt_llm7kernels32fusedQKNormRopeKernelNTokenHeadsIN3c108BFloat16ES3_Li128ELb0ELi2EEEvPviiifPKvS6_S6_PKlii.kd
    .uniform_work_group_size: 1
    .uses_dynamic_stack: false
    .vgpr_count:     43
    .vgpr_spill_count: 0
    .wavefront_size: 64
  - .agpr_count:     0
    .args:
      - .address_space:  global
        .offset:         0
        .size:           8
        .value_kind:     global_buffer
      - .offset:         8
        .size:           4
        .value_kind:     by_value
      - .offset:         12
        .size:           4
        .value_kind:     by_value
      - .offset:         16
        .size:           4
        .value_kind:     by_value
      - .offset:         20
        .size:           4
        .value_kind:     by_value
      - .address_space:  global
        .offset:         24
        .size:           8
        .value_kind:     global_buffer
      - .address_space:  global
        .offset:         32
        .size:           8
        .value_kind:     global_buffer
      - .address_space:  global
        .offset:         40
        .size:           8
        .value_kind:     global_buffer
      - .address_space:  global
        .offset:         48
        .size:           8
        .value_kind:     global_buffer
      - .offset:         56
        .size:           4
        .value_kind:     by_value
      - .offset:         60
        .size:           4
        .value_kind:     by_value
      - .offset:         64
        .size:           4
        .value_kind:     hidden_block_count_x
      - .offset:         68
        .size:           4
        .value_kind:     hidden_block_count_y
      - .offset:         72
        .size:           4
        .value_kind:     hidden_block_count_z
      - .offset:         76
        .size:           2
        .value_kind:     hidden_group_size_x
      - .offset:         78
        .size:           2
        .value_kind:     hidden_group_size_y
      - .offset:         80
        .size:           2
        .value_kind:     hidden_group_size_z
      - .offset:         82
        .size:           2
        .value_kind:     hidden_remainder_x
      - .offset:         84
        .size:           2
        .value_kind:     hidden_remainder_y
      - .offset:         86
        .size:           2
        .value_kind:     hidden_remainder_z
      - .offset:         104
        .size:           8
        .value_kind:     hidden_global_offset_x
      - .offset:         112
        .size:           8
        .value_kind:     hidden_global_offset_y
      - .offset:         120
        .size:           8
        .value_kind:     hidden_global_offset_z
      - .offset:         128
        .size:           2
        .value_kind:     hidden_grid_dims
      - .offset:         184
        .size:           4
        .value_kind:     hidden_dynamic_lds_size
    .group_segment_fixed_size: 0
    .kernarg_segment_align: 8
    .kernarg_segment_size: 320
    .language:       OpenCL C
    .language_version:
      - 2
      - 0
    .max_flat_workgroup_size: 1024
    .name:           _ZN12tensorrt_llm7kernels32fusedQKNormRopeKernelNTokenHeadsIN3c108BFloat16ES3_Li256ELb1ELi2EEEvPviiifPKvS6_S6_PKlii
    .private_segment_fixed_size: 0
    .sgpr_count:     28
    .sgpr_spill_count: 0
    .symbol:         _ZN12tensorrt_llm7kernels32fusedQKNormRopeKernelNTokenHeadsIN3c108BFloat16ES3_Li256ELb1ELi2EEEvPviiifPKvS6_S6_PKlii.kd
    .uniform_work_group_size: 1
    .uses_dynamic_stack: false
    .vgpr_count:     52
    .vgpr_spill_count: 0
    .wavefront_size: 64
  - .agpr_count:     0
    .args:
      - .address_space:  global
        .offset:         0
        .size:           8
        .value_kind:     global_buffer
      - .offset:         8
        .size:           4
        .value_kind:     by_value
      - .offset:         12
        .size:           4
        .value_kind:     by_value
      - .offset:         16
        .size:           4
        .value_kind:     by_value
      - .offset:         20
        .size:           4
        .value_kind:     by_value
      - .address_space:  global
        .offset:         24
        .size:           8
        .value_kind:     global_buffer
      - .address_space:  global
        .offset:         32
        .size:           8
        .value_kind:     global_buffer
      - .address_space:  global
        .offset:         40
        .size:           8
        .value_kind:     global_buffer
      - .address_space:  global
        .offset:         48
        .size:           8
        .value_kind:     global_buffer
      - .offset:         56
        .size:           4
        .value_kind:     by_value
      - .offset:         60
        .size:           4
        .value_kind:     by_value
      - .offset:         64
        .size:           4
        .value_kind:     hidden_block_count_x
      - .offset:         68
        .size:           4
        .value_kind:     hidden_block_count_y
      - .offset:         72
        .size:           4
        .value_kind:     hidden_block_count_z
      - .offset:         76
        .size:           2
        .value_kind:     hidden_group_size_x
      - .offset:         78
        .size:           2
        .value_kind:     hidden_group_size_y
      - .offset:         80
        .size:           2
        .value_kind:     hidden_group_size_z
      - .offset:         82
        .size:           2
        .value_kind:     hidden_remainder_x
      - .offset:         84
        .size:           2
        .value_kind:     hidden_remainder_y
      - .offset:         86
        .size:           2
        .value_kind:     hidden_remainder_z
      - .offset:         104
        .size:           8
        .value_kind:     hidden_global_offset_x
      - .offset:         112
        .size:           8
        .value_kind:     hidden_global_offset_y
      - .offset:         120
        .size:           8
        .value_kind:     hidden_global_offset_z
      - .offset:         128
        .size:           2
        .value_kind:     hidden_grid_dims
      - .offset:         184
        .size:           4
        .value_kind:     hidden_dynamic_lds_size
    .group_segment_fixed_size: 0
    .kernarg_segment_align: 8
    .kernarg_segment_size: 320
    .language:       OpenCL C
    .language_version:
      - 2
      - 0
    .max_flat_workgroup_size: 1024
    .name:           _ZN12tensorrt_llm7kernels32fusedQKNormRopeKernelNTokenHeadsIN3c108BFloat16ES3_Li256ELb0ELi2EEEvPviiifPKvS6_S6_PKlii
    .private_segment_fixed_size: 0
    .sgpr_count:     28
    .sgpr_spill_count: 0
    .symbol:         _ZN12tensorrt_llm7kernels32fusedQKNormRopeKernelNTokenHeadsIN3c108BFloat16ES3_Li256ELb0ELi2EEEvPviiifPKvS6_S6_PKlii.kd
    .uniform_work_group_size: 1
    .uses_dynamic_stack: false
    .vgpr_count:     62
    .vgpr_spill_count: 0
    .wavefront_size: 64
  - .agpr_count:     0
    .args:
      - .address_space:  global
        .offset:         0
        .size:           8
        .value_kind:     global_buffer
      - .offset:         8
        .size:           4
        .value_kind:     by_value
      - .offset:         12
        .size:           4
        .value_kind:     by_value
      - .offset:         16
        .size:           4
        .value_kind:     by_value
      - .offset:         20
        .size:           4
        .value_kind:     by_value
      - .address_space:  global
        .offset:         24
        .size:           8
        .value_kind:     global_buffer
      - .address_space:  global
        .offset:         32
        .size:           8
        .value_kind:     global_buffer
      - .address_space:  global
        .offset:         40
        .size:           8
        .value_kind:     global_buffer
      - .address_space:  global
        .offset:         48
        .size:           8
        .value_kind:     global_buffer
      - .offset:         56
        .size:           4
        .value_kind:     by_value
      - .offset:         60
        .size:           4
        .value_kind:     by_value
      - .offset:         64
        .size:           4
        .value_kind:     hidden_block_count_x
      - .offset:         68
        .size:           4
        .value_kind:     hidden_block_count_y
      - .offset:         72
        .size:           4
        .value_kind:     hidden_block_count_z
      - .offset:         76
        .size:           2
        .value_kind:     hidden_group_size_x
      - .offset:         78
        .size:           2
        .value_kind:     hidden_group_size_y
      - .offset:         80
        .size:           2
        .value_kind:     hidden_group_size_z
      - .offset:         82
        .size:           2
        .value_kind:     hidden_remainder_x
      - .offset:         84
        .size:           2
        .value_kind:     hidden_remainder_y
      - .offset:         86
        .size:           2
        .value_kind:     hidden_remainder_z
      - .offset:         104
        .size:           8
        .value_kind:     hidden_global_offset_x
      - .offset:         112
        .size:           8
        .value_kind:     hidden_global_offset_y
      - .offset:         120
        .size:           8
        .value_kind:     hidden_global_offset_z
      - .offset:         128
        .size:           2
        .value_kind:     hidden_grid_dims
      - .offset:         184
        .size:           4
        .value_kind:     hidden_dynamic_lds_size
    .group_segment_fixed_size: 0
    .kernarg_segment_align: 8
    .kernarg_segment_size: 320
    .language:       OpenCL C
    .language_version:
      - 2
      - 0
    .max_flat_workgroup_size: 1024
    .name:           _ZN12tensorrt_llm7kernels32fusedQKNormRopeKernelNTokenHeadsIN3c108BFloat16ES3_Li64ELb1ELi4EEEvPviiifPKvS6_S6_PKlii
    .private_segment_fixed_size: 0
    .sgpr_count:     28
    .sgpr_spill_count: 0
    .symbol:         _ZN12tensorrt_llm7kernels32fusedQKNormRopeKernelNTokenHeadsIN3c108BFloat16ES3_Li64ELb1ELi4EEEvPviiifPKvS6_S6_PKlii.kd
    .uniform_work_group_size: 1
    .uses_dynamic_stack: false
    .vgpr_count:     26
    .vgpr_spill_count: 0
    .wavefront_size: 64
  - .agpr_count:     0
    .args:
      - .address_space:  global
        .offset:         0
        .size:           8
        .value_kind:     global_buffer
      - .offset:         8
        .size:           4
        .value_kind:     by_value
      - .offset:         12
        .size:           4
        .value_kind:     by_value
      - .offset:         16
        .size:           4
        .value_kind:     by_value
      - .offset:         20
        .size:           4
        .value_kind:     by_value
      - .address_space:  global
        .offset:         24
        .size:           8
        .value_kind:     global_buffer
      - .address_space:  global
        .offset:         32
        .size:           8
        .value_kind:     global_buffer
      - .address_space:  global
        .offset:         40
        .size:           8
        .value_kind:     global_buffer
      - .address_space:  global
        .offset:         48
        .size:           8
        .value_kind:     global_buffer
      - .offset:         56
        .size:           4
        .value_kind:     by_value
      - .offset:         60
        .size:           4
        .value_kind:     by_value
      - .offset:         64
        .size:           4
        .value_kind:     hidden_block_count_x
      - .offset:         68
        .size:           4
        .value_kind:     hidden_block_count_y
      - .offset:         72
        .size:           4
        .value_kind:     hidden_block_count_z
      - .offset:         76
        .size:           2
        .value_kind:     hidden_group_size_x
      - .offset:         78
        .size:           2
        .value_kind:     hidden_group_size_y
      - .offset:         80
        .size:           2
        .value_kind:     hidden_group_size_z
      - .offset:         82
        .size:           2
        .value_kind:     hidden_remainder_x
      - .offset:         84
        .size:           2
        .value_kind:     hidden_remainder_y
      - .offset:         86
        .size:           2
        .value_kind:     hidden_remainder_z
      - .offset:         104
        .size:           8
        .value_kind:     hidden_global_offset_x
      - .offset:         112
        .size:           8
        .value_kind:     hidden_global_offset_y
      - .offset:         120
        .size:           8
        .value_kind:     hidden_global_offset_z
      - .offset:         128
        .size:           2
        .value_kind:     hidden_grid_dims
      - .offset:         184
        .size:           4
        .value_kind:     hidden_dynamic_lds_size
    .group_segment_fixed_size: 0
    .kernarg_segment_align: 8
    .kernarg_segment_size: 320
    .language:       OpenCL C
    .language_version:
      - 2
      - 0
    .max_flat_workgroup_size: 1024
    .name:           _ZN12tensorrt_llm7kernels32fusedQKNormRopeKernelNTokenHeadsIN3c108BFloat16ES3_Li64ELb0ELi4EEEvPviiifPKvS6_S6_PKlii
    .private_segment_fixed_size: 0
    .sgpr_count:     28
    .sgpr_spill_count: 0
    .symbol:         _ZN12tensorrt_llm7kernels32fusedQKNormRopeKernelNTokenHeadsIN3c108BFloat16ES3_Li64ELb0ELi4EEEvPviiifPKvS6_S6_PKlii.kd
    .uniform_work_group_size: 1
    .uses_dynamic_stack: false
    .vgpr_count:     28
    .vgpr_spill_count: 0
    .wavefront_size: 64
  - .agpr_count:     0
    .args:
      - .address_space:  global
        .offset:         0
        .size:           8
        .value_kind:     global_buffer
      - .offset:         8
        .size:           4
        .value_kind:     by_value
      - .offset:         12
        .size:           4
        .value_kind:     by_value
      - .offset:         16
        .size:           4
        .value_kind:     by_value
      - .offset:         20
        .size:           4
        .value_kind:     by_value
      - .address_space:  global
        .offset:         24
        .size:           8
        .value_kind:     global_buffer
      - .address_space:  global
        .offset:         32
        .size:           8
        .value_kind:     global_buffer
      - .address_space:  global
        .offset:         40
        .size:           8
        .value_kind:     global_buffer
      - .address_space:  global
        .offset:         48
        .size:           8
        .value_kind:     global_buffer
      - .offset:         56
        .size:           4
        .value_kind:     by_value
      - .offset:         60
        .size:           4
        .value_kind:     by_value
      - .offset:         64
        .size:           4
        .value_kind:     hidden_block_count_x
      - .offset:         68
        .size:           4
        .value_kind:     hidden_block_count_y
      - .offset:         72
        .size:           4
        .value_kind:     hidden_block_count_z
      - .offset:         76
        .size:           2
        .value_kind:     hidden_group_size_x
      - .offset:         78
        .size:           2
        .value_kind:     hidden_group_size_y
      - .offset:         80
        .size:           2
        .value_kind:     hidden_group_size_z
      - .offset:         82
        .size:           2
        .value_kind:     hidden_remainder_x
      - .offset:         84
        .size:           2
        .value_kind:     hidden_remainder_y
      - .offset:         86
        .size:           2
        .value_kind:     hidden_remainder_z
      - .offset:         104
        .size:           8
        .value_kind:     hidden_global_offset_x
      - .offset:         112
        .size:           8
        .value_kind:     hidden_global_offset_y
      - .offset:         120
        .size:           8
        .value_kind:     hidden_global_offset_z
      - .offset:         128
        .size:           2
        .value_kind:     hidden_grid_dims
      - .offset:         184
        .size:           4
        .value_kind:     hidden_dynamic_lds_size
    .group_segment_fixed_size: 0
    .kernarg_segment_align: 8
    .kernarg_segment_size: 320
    .language:       OpenCL C
    .language_version:
      - 2
      - 0
    .max_flat_workgroup_size: 1024
    .name:           _ZN12tensorrt_llm7kernels32fusedQKNormRopeKernelNTokenHeadsIN3c108BFloat16ES3_Li128ELb1ELi4EEEvPviiifPKvS6_S6_PKlii
    .private_segment_fixed_size: 0
    .sgpr_count:     28
    .sgpr_spill_count: 0
    .symbol:         _ZN12tensorrt_llm7kernels32fusedQKNormRopeKernelNTokenHeadsIN3c108BFloat16ES3_Li128ELb1ELi4EEEvPviiifPKvS6_S6_PKlii.kd
    .uniform_work_group_size: 1
    .uses_dynamic_stack: false
    .vgpr_count:     36
    .vgpr_spill_count: 0
    .wavefront_size: 64
  - .agpr_count:     0
    .args:
      - .address_space:  global
        .offset:         0
        .size:           8
        .value_kind:     global_buffer
      - .offset:         8
        .size:           4
        .value_kind:     by_value
      - .offset:         12
        .size:           4
        .value_kind:     by_value
      - .offset:         16
        .size:           4
        .value_kind:     by_value
      - .offset:         20
        .size:           4
        .value_kind:     by_value
      - .address_space:  global
        .offset:         24
        .size:           8
        .value_kind:     global_buffer
      - .address_space:  global
        .offset:         32
        .size:           8
        .value_kind:     global_buffer
      - .address_space:  global
        .offset:         40
        .size:           8
        .value_kind:     global_buffer
      - .address_space:  global
        .offset:         48
        .size:           8
        .value_kind:     global_buffer
      - .offset:         56
        .size:           4
        .value_kind:     by_value
      - .offset:         60
        .size:           4
        .value_kind:     by_value
      - .offset:         64
        .size:           4
        .value_kind:     hidden_block_count_x
      - .offset:         68
        .size:           4
        .value_kind:     hidden_block_count_y
      - .offset:         72
        .size:           4
        .value_kind:     hidden_block_count_z
      - .offset:         76
        .size:           2
        .value_kind:     hidden_group_size_x
      - .offset:         78
        .size:           2
        .value_kind:     hidden_group_size_y
      - .offset:         80
        .size:           2
        .value_kind:     hidden_group_size_z
      - .offset:         82
        .size:           2
        .value_kind:     hidden_remainder_x
      - .offset:         84
        .size:           2
        .value_kind:     hidden_remainder_y
      - .offset:         86
        .size:           2
        .value_kind:     hidden_remainder_z
      - .offset:         104
        .size:           8
        .value_kind:     hidden_global_offset_x
      - .offset:         112
        .size:           8
        .value_kind:     hidden_global_offset_y
      - .offset:         120
        .size:           8
        .value_kind:     hidden_global_offset_z
      - .offset:         128
        .size:           2
        .value_kind:     hidden_grid_dims
      - .offset:         184
        .size:           4
        .value_kind:     hidden_dynamic_lds_size
    .group_segment_fixed_size: 0
    .kernarg_segment_align: 8
    .kernarg_segment_size: 320
    .language:       OpenCL C
    .language_version:
      - 2
      - 0
    .max_flat_workgroup_size: 1024
    .name:           _ZN12tensorrt_llm7kernels32fusedQKNormRopeKernelNTokenHeadsIN3c108BFloat16ES3_Li128ELb0ELi4EEEvPviiifPKvS6_S6_PKlii
    .private_segment_fixed_size: 0
    .sgpr_count:     28
    .sgpr_spill_count: 0
    .symbol:         _ZN12tensorrt_llm7kernels32fusedQKNormRopeKernelNTokenHeadsIN3c108BFloat16ES3_Li128ELb0ELi4EEEvPviiifPKvS6_S6_PKlii.kd
    .uniform_work_group_size: 1
    .uses_dynamic_stack: false
    .vgpr_count:     43
    .vgpr_spill_count: 0
    .wavefront_size: 64
  - .agpr_count:     0
    .args:
      - .address_space:  global
        .offset:         0
        .size:           8
        .value_kind:     global_buffer
      - .offset:         8
        .size:           4
        .value_kind:     by_value
      - .offset:         12
        .size:           4
        .value_kind:     by_value
      - .offset:         16
        .size:           4
        .value_kind:     by_value
      - .offset:         20
        .size:           4
        .value_kind:     by_value
      - .address_space:  global
        .offset:         24
        .size:           8
        .value_kind:     global_buffer
      - .address_space:  global
        .offset:         32
        .size:           8
        .value_kind:     global_buffer
      - .address_space:  global
        .offset:         40
        .size:           8
        .value_kind:     global_buffer
      - .address_space:  global
        .offset:         48
        .size:           8
        .value_kind:     global_buffer
      - .offset:         56
        .size:           4
        .value_kind:     by_value
      - .offset:         60
        .size:           4
        .value_kind:     by_value
      - .offset:         64
        .size:           4
        .value_kind:     hidden_block_count_x
      - .offset:         68
        .size:           4
        .value_kind:     hidden_block_count_y
      - .offset:         72
        .size:           4
        .value_kind:     hidden_block_count_z
      - .offset:         76
        .size:           2
        .value_kind:     hidden_group_size_x
      - .offset:         78
        .size:           2
        .value_kind:     hidden_group_size_y
      - .offset:         80
        .size:           2
        .value_kind:     hidden_group_size_z
      - .offset:         82
        .size:           2
        .value_kind:     hidden_remainder_x
      - .offset:         84
        .size:           2
        .value_kind:     hidden_remainder_y
      - .offset:         86
        .size:           2
        .value_kind:     hidden_remainder_z
      - .offset:         104
        .size:           8
        .value_kind:     hidden_global_offset_x
      - .offset:         112
        .size:           8
        .value_kind:     hidden_global_offset_y
      - .offset:         120
        .size:           8
        .value_kind:     hidden_global_offset_z
      - .offset:         128
        .size:           2
        .value_kind:     hidden_grid_dims
      - .offset:         184
        .size:           4
        .value_kind:     hidden_dynamic_lds_size
    .group_segment_fixed_size: 0
    .kernarg_segment_align: 8
    .kernarg_segment_size: 320
    .language:       OpenCL C
    .language_version:
      - 2
      - 0
    .max_flat_workgroup_size: 1024
    .name:           _ZN12tensorrt_llm7kernels32fusedQKNormRopeKernelNTokenHeadsIN3c108BFloat16ES3_Li256ELb1ELi4EEEvPviiifPKvS6_S6_PKlii
    .private_segment_fixed_size: 0
    .sgpr_count:     28
    .sgpr_spill_count: 0
    .symbol:         _ZN12tensorrt_llm7kernels32fusedQKNormRopeKernelNTokenHeadsIN3c108BFloat16ES3_Li256ELb1ELi4EEEvPviiifPKvS6_S6_PKlii.kd
    .uniform_work_group_size: 1
    .uses_dynamic_stack: false
    .vgpr_count:     52
    .vgpr_spill_count: 0
    .wavefront_size: 64
  - .agpr_count:     0
    .args:
      - .address_space:  global
        .offset:         0
        .size:           8
        .value_kind:     global_buffer
      - .offset:         8
        .size:           4
        .value_kind:     by_value
      - .offset:         12
        .size:           4
        .value_kind:     by_value
      - .offset:         16
        .size:           4
        .value_kind:     by_value
      - .offset:         20
        .size:           4
        .value_kind:     by_value
      - .address_space:  global
        .offset:         24
        .size:           8
        .value_kind:     global_buffer
      - .address_space:  global
        .offset:         32
        .size:           8
        .value_kind:     global_buffer
      - .address_space:  global
        .offset:         40
        .size:           8
        .value_kind:     global_buffer
      - .address_space:  global
        .offset:         48
        .size:           8
        .value_kind:     global_buffer
      - .offset:         56
        .size:           4
        .value_kind:     by_value
      - .offset:         60
        .size:           4
        .value_kind:     by_value
      - .offset:         64
        .size:           4
        .value_kind:     hidden_block_count_x
      - .offset:         68
        .size:           4
        .value_kind:     hidden_block_count_y
      - .offset:         72
        .size:           4
        .value_kind:     hidden_block_count_z
      - .offset:         76
        .size:           2
        .value_kind:     hidden_group_size_x
      - .offset:         78
        .size:           2
        .value_kind:     hidden_group_size_y
      - .offset:         80
        .size:           2
        .value_kind:     hidden_group_size_z
      - .offset:         82
        .size:           2
        .value_kind:     hidden_remainder_x
      - .offset:         84
        .size:           2
        .value_kind:     hidden_remainder_y
      - .offset:         86
        .size:           2
        .value_kind:     hidden_remainder_z
      - .offset:         104
        .size:           8
        .value_kind:     hidden_global_offset_x
      - .offset:         112
        .size:           8
        .value_kind:     hidden_global_offset_y
      - .offset:         120
        .size:           8
        .value_kind:     hidden_global_offset_z
      - .offset:         128
        .size:           2
        .value_kind:     hidden_grid_dims
      - .offset:         184
        .size:           4
        .value_kind:     hidden_dynamic_lds_size
    .group_segment_fixed_size: 0
    .kernarg_segment_align: 8
    .kernarg_segment_size: 320
    .language:       OpenCL C
    .language_version:
      - 2
      - 0
    .max_flat_workgroup_size: 1024
    .name:           _ZN12tensorrt_llm7kernels32fusedQKNormRopeKernelNTokenHeadsIN3c108BFloat16ES3_Li256ELb0ELi4EEEvPviiifPKvS6_S6_PKlii
    .private_segment_fixed_size: 0
    .sgpr_count:     28
    .sgpr_spill_count: 0
    .symbol:         _ZN12tensorrt_llm7kernels32fusedQKNormRopeKernelNTokenHeadsIN3c108BFloat16ES3_Li256ELb0ELi4EEEvPviiifPKvS6_S6_PKlii.kd
    .uniform_work_group_size: 1
    .uses_dynamic_stack: false
    .vgpr_count:     62
    .vgpr_spill_count: 0
    .wavefront_size: 64
  - .agpr_count:     0
    .args:
      - .address_space:  global
        .offset:         0
        .size:           8
        .value_kind:     global_buffer
      - .offset:         8
        .size:           4
        .value_kind:     by_value
      - .offset:         12
        .size:           4
        .value_kind:     by_value
      - .offset:         16
        .size:           4
        .value_kind:     by_value
      - .offset:         20
        .size:           4
        .value_kind:     by_value
      - .address_space:  global
        .offset:         24
        .size:           8
        .value_kind:     global_buffer
      - .address_space:  global
        .offset:         32
        .size:           8
        .value_kind:     global_buffer
      - .address_space:  global
        .offset:         40
        .size:           8
        .value_kind:     global_buffer
      - .address_space:  global
        .offset:         48
        .size:           8
        .value_kind:     global_buffer
      - .offset:         56
        .size:           4
        .value_kind:     by_value
      - .offset:         60
        .size:           4
        .value_kind:     by_value
      - .offset:         64
        .size:           4
        .value_kind:     hidden_block_count_x
      - .offset:         68
        .size:           4
        .value_kind:     hidden_block_count_y
      - .offset:         72
        .size:           4
        .value_kind:     hidden_block_count_z
      - .offset:         76
        .size:           2
        .value_kind:     hidden_group_size_x
      - .offset:         78
        .size:           2
        .value_kind:     hidden_group_size_y
      - .offset:         80
        .size:           2
        .value_kind:     hidden_group_size_z
      - .offset:         82
        .size:           2
        .value_kind:     hidden_remainder_x
      - .offset:         84
        .size:           2
        .value_kind:     hidden_remainder_y
      - .offset:         86
        .size:           2
        .value_kind:     hidden_remainder_z
      - .offset:         104
        .size:           8
        .value_kind:     hidden_global_offset_x
      - .offset:         112
        .size:           8
        .value_kind:     hidden_global_offset_y
      - .offset:         120
        .size:           8
        .value_kind:     hidden_global_offset_z
      - .offset:         128
        .size:           2
        .value_kind:     hidden_grid_dims
      - .offset:         184
        .size:           4
        .value_kind:     hidden_dynamic_lds_size
    .group_segment_fixed_size: 0
    .kernarg_segment_align: 8
    .kernarg_segment_size: 320
    .language:       OpenCL C
    .language_version:
      - 2
      - 0
    .max_flat_workgroup_size: 1024
    .name:           _ZN12tensorrt_llm7kernels32fusedQKNormRopeKernelNTokenHeadsIN3c108BFloat16ES3_Li64ELb1ELi8EEEvPviiifPKvS6_S6_PKlii
    .private_segment_fixed_size: 0
    .sgpr_count:     28
    .sgpr_spill_count: 0
    .symbol:         _ZN12tensorrt_llm7kernels32fusedQKNormRopeKernelNTokenHeadsIN3c108BFloat16ES3_Li64ELb1ELi8EEEvPviiifPKvS6_S6_PKlii.kd
    .uniform_work_group_size: 1
    .uses_dynamic_stack: false
    .vgpr_count:     26
    .vgpr_spill_count: 0
    .wavefront_size: 64
  - .agpr_count:     0
    .args:
      - .address_space:  global
        .offset:         0
        .size:           8
        .value_kind:     global_buffer
      - .offset:         8
        .size:           4
        .value_kind:     by_value
      - .offset:         12
        .size:           4
        .value_kind:     by_value
      - .offset:         16
        .size:           4
        .value_kind:     by_value
      - .offset:         20
        .size:           4
        .value_kind:     by_value
      - .address_space:  global
        .offset:         24
        .size:           8
        .value_kind:     global_buffer
      - .address_space:  global
        .offset:         32
        .size:           8
        .value_kind:     global_buffer
      - .address_space:  global
        .offset:         40
        .size:           8
        .value_kind:     global_buffer
      - .address_space:  global
        .offset:         48
        .size:           8
        .value_kind:     global_buffer
      - .offset:         56
        .size:           4
        .value_kind:     by_value
      - .offset:         60
        .size:           4
        .value_kind:     by_value
      - .offset:         64
        .size:           4
        .value_kind:     hidden_block_count_x
      - .offset:         68
        .size:           4
        .value_kind:     hidden_block_count_y
      - .offset:         72
        .size:           4
        .value_kind:     hidden_block_count_z
      - .offset:         76
        .size:           2
        .value_kind:     hidden_group_size_x
      - .offset:         78
        .size:           2
        .value_kind:     hidden_group_size_y
      - .offset:         80
        .size:           2
        .value_kind:     hidden_group_size_z
      - .offset:         82
        .size:           2
        .value_kind:     hidden_remainder_x
      - .offset:         84
        .size:           2
        .value_kind:     hidden_remainder_y
      - .offset:         86
        .size:           2
        .value_kind:     hidden_remainder_z
      - .offset:         104
        .size:           8
        .value_kind:     hidden_global_offset_x
      - .offset:         112
        .size:           8
        .value_kind:     hidden_global_offset_y
      - .offset:         120
        .size:           8
        .value_kind:     hidden_global_offset_z
      - .offset:         128
        .size:           2
        .value_kind:     hidden_grid_dims
      - .offset:         184
        .size:           4
        .value_kind:     hidden_dynamic_lds_size
    .group_segment_fixed_size: 0
    .kernarg_segment_align: 8
    .kernarg_segment_size: 320
    .language:       OpenCL C
    .language_version:
      - 2
      - 0
    .max_flat_workgroup_size: 1024
    .name:           _ZN12tensorrt_llm7kernels32fusedQKNormRopeKernelNTokenHeadsIN3c108BFloat16ES3_Li64ELb0ELi8EEEvPviiifPKvS6_S6_PKlii
    .private_segment_fixed_size: 0
    .sgpr_count:     28
    .sgpr_spill_count: 0
    .symbol:         _ZN12tensorrt_llm7kernels32fusedQKNormRopeKernelNTokenHeadsIN3c108BFloat16ES3_Li64ELb0ELi8EEEvPviiifPKvS6_S6_PKlii.kd
    .uniform_work_group_size: 1
    .uses_dynamic_stack: false
    .vgpr_count:     28
    .vgpr_spill_count: 0
    .wavefront_size: 64
  - .agpr_count:     0
    .args:
      - .address_space:  global
        .offset:         0
        .size:           8
        .value_kind:     global_buffer
      - .offset:         8
        .size:           4
        .value_kind:     by_value
      - .offset:         12
        .size:           4
        .value_kind:     by_value
      - .offset:         16
        .size:           4
        .value_kind:     by_value
      - .offset:         20
        .size:           4
        .value_kind:     by_value
      - .address_space:  global
        .offset:         24
        .size:           8
        .value_kind:     global_buffer
      - .address_space:  global
        .offset:         32
        .size:           8
        .value_kind:     global_buffer
      - .address_space:  global
        .offset:         40
        .size:           8
        .value_kind:     global_buffer
      - .address_space:  global
        .offset:         48
        .size:           8
        .value_kind:     global_buffer
      - .offset:         56
        .size:           4
        .value_kind:     by_value
      - .offset:         60
        .size:           4
        .value_kind:     by_value
      - .offset:         64
        .size:           4
        .value_kind:     hidden_block_count_x
      - .offset:         68
        .size:           4
        .value_kind:     hidden_block_count_y
      - .offset:         72
        .size:           4
        .value_kind:     hidden_block_count_z
      - .offset:         76
        .size:           2
        .value_kind:     hidden_group_size_x
      - .offset:         78
        .size:           2
        .value_kind:     hidden_group_size_y
      - .offset:         80
        .size:           2
        .value_kind:     hidden_group_size_z
      - .offset:         82
        .size:           2
        .value_kind:     hidden_remainder_x
      - .offset:         84
        .size:           2
        .value_kind:     hidden_remainder_y
      - .offset:         86
        .size:           2
        .value_kind:     hidden_remainder_z
      - .offset:         104
        .size:           8
        .value_kind:     hidden_global_offset_x
      - .offset:         112
        .size:           8
        .value_kind:     hidden_global_offset_y
      - .offset:         120
        .size:           8
        .value_kind:     hidden_global_offset_z
      - .offset:         128
        .size:           2
        .value_kind:     hidden_grid_dims
      - .offset:         184
        .size:           4
        .value_kind:     hidden_dynamic_lds_size
    .group_segment_fixed_size: 0
    .kernarg_segment_align: 8
    .kernarg_segment_size: 320
    .language:       OpenCL C
    .language_version:
      - 2
      - 0
    .max_flat_workgroup_size: 1024
    .name:           _ZN12tensorrt_llm7kernels32fusedQKNormRopeKernelNTokenHeadsIN3c108BFloat16ES3_Li128ELb1ELi8EEEvPviiifPKvS6_S6_PKlii
    .private_segment_fixed_size: 0
    .sgpr_count:     28
    .sgpr_spill_count: 0
    .symbol:         _ZN12tensorrt_llm7kernels32fusedQKNormRopeKernelNTokenHeadsIN3c108BFloat16ES3_Li128ELb1ELi8EEEvPviiifPKvS6_S6_PKlii.kd
    .uniform_work_group_size: 1
    .uses_dynamic_stack: false
    .vgpr_count:     36
    .vgpr_spill_count: 0
    .wavefront_size: 64
  - .agpr_count:     0
    .args:
      - .address_space:  global
        .offset:         0
        .size:           8
        .value_kind:     global_buffer
      - .offset:         8
        .size:           4
        .value_kind:     by_value
      - .offset:         12
        .size:           4
        .value_kind:     by_value
      - .offset:         16
        .size:           4
        .value_kind:     by_value
      - .offset:         20
        .size:           4
        .value_kind:     by_value
      - .address_space:  global
        .offset:         24
        .size:           8
        .value_kind:     global_buffer
      - .address_space:  global
        .offset:         32
        .size:           8
        .value_kind:     global_buffer
      - .address_space:  global
        .offset:         40
        .size:           8
        .value_kind:     global_buffer
      - .address_space:  global
        .offset:         48
        .size:           8
        .value_kind:     global_buffer
      - .offset:         56
        .size:           4
        .value_kind:     by_value
      - .offset:         60
        .size:           4
        .value_kind:     by_value
      - .offset:         64
        .size:           4
        .value_kind:     hidden_block_count_x
      - .offset:         68
        .size:           4
        .value_kind:     hidden_block_count_y
      - .offset:         72
        .size:           4
        .value_kind:     hidden_block_count_z
      - .offset:         76
        .size:           2
        .value_kind:     hidden_group_size_x
      - .offset:         78
        .size:           2
        .value_kind:     hidden_group_size_y
      - .offset:         80
        .size:           2
        .value_kind:     hidden_group_size_z
      - .offset:         82
        .size:           2
        .value_kind:     hidden_remainder_x
      - .offset:         84
        .size:           2
        .value_kind:     hidden_remainder_y
      - .offset:         86
        .size:           2
        .value_kind:     hidden_remainder_z
      - .offset:         104
        .size:           8
        .value_kind:     hidden_global_offset_x
      - .offset:         112
        .size:           8
        .value_kind:     hidden_global_offset_y
      - .offset:         120
        .size:           8
        .value_kind:     hidden_global_offset_z
      - .offset:         128
        .size:           2
        .value_kind:     hidden_grid_dims
      - .offset:         184
        .size:           4
        .value_kind:     hidden_dynamic_lds_size
    .group_segment_fixed_size: 0
    .kernarg_segment_align: 8
    .kernarg_segment_size: 320
    .language:       OpenCL C
    .language_version:
      - 2
      - 0
    .max_flat_workgroup_size: 1024
    .name:           _ZN12tensorrt_llm7kernels32fusedQKNormRopeKernelNTokenHeadsIN3c108BFloat16ES3_Li128ELb0ELi8EEEvPviiifPKvS6_S6_PKlii
    .private_segment_fixed_size: 0
    .sgpr_count:     28
    .sgpr_spill_count: 0
    .symbol:         _ZN12tensorrt_llm7kernels32fusedQKNormRopeKernelNTokenHeadsIN3c108BFloat16ES3_Li128ELb0ELi8EEEvPviiifPKvS6_S6_PKlii.kd
    .uniform_work_group_size: 1
    .uses_dynamic_stack: false
    .vgpr_count:     43
    .vgpr_spill_count: 0
    .wavefront_size: 64
  - .agpr_count:     0
    .args:
      - .address_space:  global
        .offset:         0
        .size:           8
        .value_kind:     global_buffer
      - .offset:         8
        .size:           4
        .value_kind:     by_value
      - .offset:         12
        .size:           4
        .value_kind:     by_value
      - .offset:         16
        .size:           4
        .value_kind:     by_value
      - .offset:         20
        .size:           4
        .value_kind:     by_value
      - .address_space:  global
        .offset:         24
        .size:           8
        .value_kind:     global_buffer
      - .address_space:  global
        .offset:         32
        .size:           8
        .value_kind:     global_buffer
      - .address_space:  global
        .offset:         40
        .size:           8
        .value_kind:     global_buffer
      - .address_space:  global
        .offset:         48
        .size:           8
        .value_kind:     global_buffer
      - .offset:         56
        .size:           4
        .value_kind:     by_value
      - .offset:         60
        .size:           4
        .value_kind:     by_value
      - .offset:         64
        .size:           4
        .value_kind:     hidden_block_count_x
      - .offset:         68
        .size:           4
        .value_kind:     hidden_block_count_y
      - .offset:         72
        .size:           4
        .value_kind:     hidden_block_count_z
      - .offset:         76
        .size:           2
        .value_kind:     hidden_group_size_x
      - .offset:         78
        .size:           2
        .value_kind:     hidden_group_size_y
      - .offset:         80
        .size:           2
        .value_kind:     hidden_group_size_z
      - .offset:         82
        .size:           2
        .value_kind:     hidden_remainder_x
      - .offset:         84
        .size:           2
        .value_kind:     hidden_remainder_y
      - .offset:         86
        .size:           2
        .value_kind:     hidden_remainder_z
      - .offset:         104
        .size:           8
        .value_kind:     hidden_global_offset_x
      - .offset:         112
        .size:           8
        .value_kind:     hidden_global_offset_y
      - .offset:         120
        .size:           8
        .value_kind:     hidden_global_offset_z
      - .offset:         128
        .size:           2
        .value_kind:     hidden_grid_dims
      - .offset:         184
        .size:           4
        .value_kind:     hidden_dynamic_lds_size
    .group_segment_fixed_size: 0
    .kernarg_segment_align: 8
    .kernarg_segment_size: 320
    .language:       OpenCL C
    .language_version:
      - 2
      - 0
    .max_flat_workgroup_size: 1024
    .name:           _ZN12tensorrt_llm7kernels32fusedQKNormRopeKernelNTokenHeadsIN3c108BFloat16ES3_Li256ELb1ELi8EEEvPviiifPKvS6_S6_PKlii
    .private_segment_fixed_size: 0
    .sgpr_count:     28
    .sgpr_spill_count: 0
    .symbol:         _ZN12tensorrt_llm7kernels32fusedQKNormRopeKernelNTokenHeadsIN3c108BFloat16ES3_Li256ELb1ELi8EEEvPviiifPKvS6_S6_PKlii.kd
    .uniform_work_group_size: 1
    .uses_dynamic_stack: false
    .vgpr_count:     52
    .vgpr_spill_count: 0
    .wavefront_size: 64
  - .agpr_count:     0
    .args:
      - .address_space:  global
        .offset:         0
        .size:           8
        .value_kind:     global_buffer
      - .offset:         8
        .size:           4
        .value_kind:     by_value
      - .offset:         12
        .size:           4
        .value_kind:     by_value
      - .offset:         16
        .size:           4
        .value_kind:     by_value
      - .offset:         20
        .size:           4
        .value_kind:     by_value
      - .address_space:  global
        .offset:         24
        .size:           8
        .value_kind:     global_buffer
      - .address_space:  global
        .offset:         32
        .size:           8
        .value_kind:     global_buffer
      - .address_space:  global
        .offset:         40
        .size:           8
        .value_kind:     global_buffer
      - .address_space:  global
        .offset:         48
        .size:           8
        .value_kind:     global_buffer
      - .offset:         56
        .size:           4
        .value_kind:     by_value
      - .offset:         60
        .size:           4
        .value_kind:     by_value
      - .offset:         64
        .size:           4
        .value_kind:     hidden_block_count_x
      - .offset:         68
        .size:           4
        .value_kind:     hidden_block_count_y
      - .offset:         72
        .size:           4
        .value_kind:     hidden_block_count_z
      - .offset:         76
        .size:           2
        .value_kind:     hidden_group_size_x
      - .offset:         78
        .size:           2
        .value_kind:     hidden_group_size_y
      - .offset:         80
        .size:           2
        .value_kind:     hidden_group_size_z
      - .offset:         82
        .size:           2
        .value_kind:     hidden_remainder_x
      - .offset:         84
        .size:           2
        .value_kind:     hidden_remainder_y
      - .offset:         86
        .size:           2
        .value_kind:     hidden_remainder_z
      - .offset:         104
        .size:           8
        .value_kind:     hidden_global_offset_x
      - .offset:         112
        .size:           8
        .value_kind:     hidden_global_offset_y
      - .offset:         120
        .size:           8
        .value_kind:     hidden_global_offset_z
      - .offset:         128
        .size:           2
        .value_kind:     hidden_grid_dims
      - .offset:         184
        .size:           4
        .value_kind:     hidden_dynamic_lds_size
    .group_segment_fixed_size: 0
    .kernarg_segment_align: 8
    .kernarg_segment_size: 320
    .language:       OpenCL C
    .language_version:
      - 2
      - 0
    .max_flat_workgroup_size: 1024
    .name:           _ZN12tensorrt_llm7kernels32fusedQKNormRopeKernelNTokenHeadsIN3c108BFloat16ES3_Li256ELb0ELi8EEEvPviiifPKvS6_S6_PKlii
    .private_segment_fixed_size: 0
    .sgpr_count:     28
    .sgpr_spill_count: 0
    .symbol:         _ZN12tensorrt_llm7kernels32fusedQKNormRopeKernelNTokenHeadsIN3c108BFloat16ES3_Li256ELb0ELi8EEEvPviiifPKvS6_S6_PKlii.kd
    .uniform_work_group_size: 1
    .uses_dynamic_stack: false
    .vgpr_count:     62
    .vgpr_spill_count: 0
    .wavefront_size: 64
amdhsa.target:   amdgcn-amd-amdhsa--gfx90a
amdhsa.version:
  - 1
  - 2
...

	.end_amdgpu_metadata
